;; amdgpu-corpus repo=ROCm/rocBLAS kind=compiled arch=gfx90a opt=O3
	.text
	.amdgcn_target "amdgcn-amd-amdhsa--gfx90a"
	.amdhsa_code_object_version 6
	.section	.text._ZL23rocblas_set_matrix_trsmILi128ELi8EfPfEvlliT2_llT1_li,"axG",@progbits,_ZL23rocblas_set_matrix_trsmILi128ELi8EfPfEvlliT2_llT1_li,comdat
	.globl	_ZL23rocblas_set_matrix_trsmILi128ELi8EfPfEvlliT2_llT1_li ; -- Begin function _ZL23rocblas_set_matrix_trsmILi128ELi8EfPfEvlliT2_llT1_li
	.p2align	8
	.type	_ZL23rocblas_set_matrix_trsmILi128ELi8EfPfEvlliT2_llT1_li,@function
_ZL23rocblas_set_matrix_trsmILi128ELi8EfPfEvlliT2_llT1_li: ; @_ZL23rocblas_set_matrix_trsmILi128ELi8EfPfEvlliT2_llT1_li
; %bb.0:
	s_load_dwordx4 s[0:3], s[4:5], 0x0
	v_and_b32_e32 v1, 0x3ff, v0
	v_mov_b32_e32 v3, 0
	v_bfe_u32 v0, v0, 10, 10
	v_lshl_add_u32 v2, s6, 7, v1
	v_lshl_add_u32 v0, s7, 3, v0
	v_mov_b32_e32 v1, v3
	s_waitcnt lgkmcnt(0)
	v_cmp_gt_u64_e32 vcc, s[0:1], v[2:3]
	v_cmp_gt_u64_e64 s[0:1], s[2:3], v[0:1]
	s_and_b64 s[0:1], vcc, s[0:1]
	s_and_saveexec_b64 s[2:3], s[0:1]
	s_cbranch_execz .LBB0_2
; %bb.1:
	s_load_dwordx2 s[6:7], s[4:5], 0x28
	s_load_dwordx4 s[0:3], s[4:5], 0x18
	s_load_dwordx2 s[10:11], s[4:5], 0x38
	s_waitcnt lgkmcnt(0)
	s_mul_i32 s5, s8, s7
	s_mul_hi_u32 s7, s8, s6
	s_mul_i32 s4, s8, s6
	s_add_i32 s5, s7, s5
	s_lshl_b64 s[4:5], s[4:5], 2
	s_add_u32 s4, s0, s4
	s_addc_u32 s5, s1, s5
	s_lshl_b64 s[0:1], s[10:11], 2
	s_add_u32 s4, s4, s0
	s_addc_u32 s5, s5, s1
	v_mad_u64_u32 v[4:5], s[0:1], v0, s2, 0
	v_mov_b32_e32 v6, v5
	v_mad_u64_u32 v[0:1], s[0:1], v0, s3, v[6:7]
	v_mov_b32_e32 v5, v0
	v_lshlrev_b64 v[0:1], 2, v[4:5]
	v_mov_b32_e32 v4, s5
	v_add_co_u32_e32 v5, vcc, s4, v0
	v_addc_co_u32_e32 v4, vcc, v4, v1, vcc
	v_lshlrev_b64 v[0:1], 2, v[2:3]
	v_add_co_u32_e32 v0, vcc, v5, v0
	v_addc_co_u32_e32 v1, vcc, v4, v1, vcc
	global_store_dword v[0:1], v3, off
.LBB0_2:
	s_endpgm
	.section	.rodata,"a",@progbits
	.p2align	6, 0x0
	.amdhsa_kernel _ZL23rocblas_set_matrix_trsmILi128ELi8EfPfEvlliT2_llT1_li
		.amdhsa_group_segment_fixed_size 0
		.amdhsa_private_segment_fixed_size 0
		.amdhsa_kernarg_size 68
		.amdhsa_user_sgpr_count 6
		.amdhsa_user_sgpr_private_segment_buffer 1
		.amdhsa_user_sgpr_dispatch_ptr 0
		.amdhsa_user_sgpr_queue_ptr 0
		.amdhsa_user_sgpr_kernarg_segment_ptr 1
		.amdhsa_user_sgpr_dispatch_id 0
		.amdhsa_user_sgpr_flat_scratch_init 0
		.amdhsa_user_sgpr_kernarg_preload_length 0
		.amdhsa_user_sgpr_kernarg_preload_offset 0
		.amdhsa_user_sgpr_private_segment_size 0
		.amdhsa_uses_dynamic_stack 0
		.amdhsa_system_sgpr_private_segment_wavefront_offset 0
		.amdhsa_system_sgpr_workgroup_id_x 1
		.amdhsa_system_sgpr_workgroup_id_y 1
		.amdhsa_system_sgpr_workgroup_id_z 1
		.amdhsa_system_sgpr_workgroup_info 0
		.amdhsa_system_vgpr_workitem_id 1
		.amdhsa_next_free_vgpr 8
		.amdhsa_next_free_sgpr 12
		.amdhsa_accum_offset 8
		.amdhsa_reserve_vcc 1
		.amdhsa_reserve_flat_scratch 0
		.amdhsa_float_round_mode_32 0
		.amdhsa_float_round_mode_16_64 0
		.amdhsa_float_denorm_mode_32 3
		.amdhsa_float_denorm_mode_16_64 3
		.amdhsa_dx10_clamp 1
		.amdhsa_ieee_mode 1
		.amdhsa_fp16_overflow 0
		.amdhsa_tg_split 0
		.amdhsa_exception_fp_ieee_invalid_op 0
		.amdhsa_exception_fp_denorm_src 0
		.amdhsa_exception_fp_ieee_div_zero 0
		.amdhsa_exception_fp_ieee_overflow 0
		.amdhsa_exception_fp_ieee_underflow 0
		.amdhsa_exception_fp_ieee_inexact 0
		.amdhsa_exception_int_div_zero 0
	.end_amdhsa_kernel
	.section	.text._ZL23rocblas_set_matrix_trsmILi128ELi8EfPfEvlliT2_llT1_li,"axG",@progbits,_ZL23rocblas_set_matrix_trsmILi128ELi8EfPfEvlliT2_llT1_li,comdat
.Lfunc_end0:
	.size	_ZL23rocblas_set_matrix_trsmILi128ELi8EfPfEvlliT2_llT1_li, .Lfunc_end0-_ZL23rocblas_set_matrix_trsmILi128ELi8EfPfEvlliT2_llT1_li
                                        ; -- End function
	.section	.AMDGPU.csdata,"",@progbits
; Kernel info:
; codeLenInByte = 216
; NumSgprs: 16
; NumVgprs: 8
; NumAgprs: 0
; TotalNumVgprs: 8
; ScratchSize: 0
; MemoryBound: 0
; FloatMode: 240
; IeeeMode: 1
; LDSByteSize: 0 bytes/workgroup (compile time only)
; SGPRBlocks: 1
; VGPRBlocks: 0
; NumSGPRsForWavesPerEU: 16
; NumVGPRsForWavesPerEU: 8
; AccumOffset: 8
; Occupancy: 8
; WaveLimiterHint : 0
; COMPUTE_PGM_RSRC2:SCRATCH_EN: 0
; COMPUTE_PGM_RSRC2:USER_SGPR: 6
; COMPUTE_PGM_RSRC2:TRAP_HANDLER: 0
; COMPUTE_PGM_RSRC2:TGID_X_EN: 1
; COMPUTE_PGM_RSRC2:TGID_Y_EN: 1
; COMPUTE_PGM_RSRC2:TGID_Z_EN: 1
; COMPUTE_PGM_RSRC2:TIDIG_COMP_CNT: 1
; COMPUTE_PGM_RSRC3_GFX90A:ACCUM_OFFSET: 1
; COMPUTE_PGM_RSRC3_GFX90A:TG_SPLIT: 0
	.section	.text._ZL38rocblas_trsm_small_left_device_sharedBILi4ELi4ELb0EffPKfPfEv13rocblas_fill_18rocblas_operation_17rocblas_diagonal_iiT3_T4_lilT5_lili,"axG",@progbits,_ZL38rocblas_trsm_small_left_device_sharedBILi4ELi4ELb0EffPKfPfEv13rocblas_fill_18rocblas_operation_17rocblas_diagonal_iiT3_T4_lilT5_lili,comdat
	.globl	_ZL38rocblas_trsm_small_left_device_sharedBILi4ELi4ELb0EffPKfPfEv13rocblas_fill_18rocblas_operation_17rocblas_diagonal_iiT3_T4_lilT5_lili ; -- Begin function _ZL38rocblas_trsm_small_left_device_sharedBILi4ELi4ELb0EffPKfPfEv13rocblas_fill_18rocblas_operation_17rocblas_diagonal_iiT3_T4_lilT5_lili
	.p2align	8
	.type	_ZL38rocblas_trsm_small_left_device_sharedBILi4ELi4ELb0EffPKfPfEv13rocblas_fill_18rocblas_operation_17rocblas_diagonal_iiT3_T4_lilT5_lili,@function
_ZL38rocblas_trsm_small_left_device_sharedBILi4ELi4ELb0EffPKfPfEv13rocblas_fill_18rocblas_operation_17rocblas_diagonal_iiT3_T4_lilT5_lili: ; @_ZL38rocblas_trsm_small_left_device_sharedBILi4ELi4ELb0EffPKfPfEv13rocblas_fill_18rocblas_operation_17rocblas_diagonal_iiT3_T4_lilT5_lili
; %bb.0:
	s_load_dwordx4 s[0:3], s[4:5], 0x4
	s_load_dword s25, s[4:5], 0x14
	s_load_dwordx4 s[8:11], s[4:5], 0x30
	s_load_dwordx2 s[16:17], s[4:5], 0x40
	s_mov_b32 s26, 0
	s_waitcnt lgkmcnt(0)
	s_min_i32 s24, s2, 4
	v_cmp_gt_i32_e32 vcc, s24, v0
	s_and_saveexec_b64 s[18:19], vcc
	s_cbranch_execz .LBB1_15
; %bb.1:
	s_load_dword s20, s[4:5], 0x28
	s_load_dwordx4 s[12:15], s[4:5], 0x18
	s_cmp_gt_u32 s24, 1
	s_cselect_b64 s[22:23], -1, 0
	s_mov_b32 s21, 1
	s_waitcnt lgkmcnt(0)
	s_cmp_eq_u32 s20, 1
	s_cselect_b64 s[28:29], -1, 0
	s_and_b64 s[28:29], s[22:23], s[28:29]
	s_mov_b64 s[22:23], -1
	s_and_b64 vcc, exec, s[28:29]
	s_cbranch_vccz .LBB1_9
; %bb.2:
	s_add_i32 s22, s24, -2
	s_lshr_b32 s23, s22, 1
	s_add_i32 s23, s23, 1
	s_cmp_lt_u32 s22, 14
	s_mov_b32 s22, s26
	s_cbranch_scc1 .LBB1_5
; %bb.3:
	s_mul_i32 s21, s9, s7
	s_mul_hi_u32 s22, s8, s7
	s_add_i32 s29, s22, s21
	s_mul_i32 s28, s8, s7
	s_and_b32 s27, s23, -8
	s_lshl_b64 s[28:29], s[28:29], 2
	s_lshl_b64 s[30:31], s[14:15], 2
	s_add_u32 s21, s28, s30
	s_addc_u32 s22, s29, s31
	s_add_u32 s21, s12, s21
	v_lshlrev_b32_e32 v1, 2, v0
	s_addc_u32 s22, s13, s22
	v_mov_b32_e32 v2, s22
	v_add_co_u32_e32 v1, vcc, s21, v1
	v_addc_co_u32_e32 v3, vcc, 0, v2, vcc
	v_add_co_u32_e32 v2, vcc, 56, v1
	v_addc_co_u32_e32 v3, vcc, 0, v3, vcc
	s_mov_b32 s21, 1
	s_mov_b32 s22, 0
.LBB1_4:                                ; =>This Inner Loop Header: Depth=1
	global_load_dwordx4 v[4:7], v[2:3], off offset:-56
	global_load_dwordx4 v[8:11], v[2:3], off offset:-40
	;; [unrolled: 1-line block ×4, first 2 shown]
	s_lshl_b32 s28, s26, 2
	s_lshl_b32 s29, s21, 2
	s_add_i32 s22, s22, 16
	s_add_i32 s21, s21, 16
	;; [unrolled: 1-line block ×3, first 2 shown]
	s_add_i32 s27, s27, -8
	v_add_co_u32_e32 v2, vcc, 64, v2
	v_or_b32_e32 v1, s29, v0
	v_or_b32_e32 v20, s28, v0
	s_add_i32 s30, s28, 8
	s_add_i32 s31, s29, 8
	;; [unrolled: 1-line block ×14, first 2 shown]
	v_addc_co_u32_e32 v3, vcc, 0, v3, vcc
	v_lshlrev_b32_e32 v20, 2, v20
	v_or_b32_e32 v21, s31, v0
	v_or_b32_e32 v22, s30, v0
	;; [unrolled: 1-line block ×14, first 2 shown]
	s_cmp_lg_u32 s27, 0
	v_lshlrev_b32_e32 v1, 2, v1
	v_lshlrev_b32_e32 v22, 2, v22
	;; [unrolled: 1-line block ×15, first 2 shown]
	s_waitcnt vmcnt(3)
	ds_write_b32 v20, v4
	ds_write_b32 v1, v5
	ds_write_b32 v22, v6
	ds_write_b32 v21, v7
	s_waitcnt vmcnt(2)
	ds_write_b32 v24, v8
	ds_write_b32 v23, v9
	ds_write_b32 v26, v10
	ds_write_b32 v25, v11
	s_waitcnt vmcnt(1)
	ds_write_b32 v28, v12
	ds_write_b32 v27, v13
	ds_write_b32 v30, v14
	ds_write_b32 v29, v15
	s_waitcnt vmcnt(0)
	ds_write_b32 v32, v16
	ds_write_b32 v31, v17
	ds_write_b32 v34, v18
	ds_write_b32 v33, v19
	s_cbranch_scc1 .LBB1_4
.LBB1_5:
	s_and_b32 s27, s23, 7
	s_cmp_eq_u32 s27, 0
	s_mov_b32 s23, 0
	s_cbranch_scc1 .LBB1_8
; %bb.6:
	s_mul_i32 s28, s9, s7
	s_mul_hi_u32 s29, s8, s7
	s_add_i32 s29, s29, s28
	s_mul_i32 s28, s8, s7
	s_lshl_b64 s[28:29], s[28:29], 2
	s_lshl_b64 s[30:31], s[14:15], 2
	s_add_u32 s28, s28, s30
	s_addc_u32 s29, s29, s31
	s_lshl_b64 s[22:23], s[22:23], 2
	s_add_u32 s22, s12, s22
	s_addc_u32 s23, s13, s23
	s_add_u32 s22, s22, s28
	v_lshlrev_b32_e32 v1, 2, v0
	s_addc_u32 s23, s23, s29
	v_mov_b32_e32 v3, s23
	v_add_co_u32_e32 v2, vcc, s22, v1
	v_addc_co_u32_e32 v3, vcc, 0, v3, vcc
	s_lshl_b32 s22, s27, 3
.LBB1_7:                                ; =>This Inner Loop Header: Depth=1
	global_load_dwordx2 v[4:5], v[2:3], off
	v_lshl_or_b32 v6, s26, 4, v1
	v_lshl_or_b32 v7, s21, 4, v1
	s_add_i32 s21, s21, 2
	s_add_i32 s26, s26, 2
	v_add_co_u32_e32 v2, vcc, 8, v2
	s_add_i32 s22, s22, -8
	v_addc_co_u32_e32 v3, vcc, 0, v3, vcc
	s_cmp_lg_u32 s22, 0
	s_waitcnt vmcnt(0)
	ds_write_b32 v6, v4
	ds_write_b32 v7, v5
	s_cbranch_scc1 .LBB1_7
.LBB1_8:
	s_and_b32 s26, s24, -2
	s_cmp_lg_u32 s24, s26
	s_cselect_b64 s[22:23], -1, 0
.LBB1_9:
	s_and_b64 vcc, exec, s[22:23]
	s_cbranch_vccz .LBB1_12
; %bb.10:
	s_ashr_i32 s21, s20, 31
	s_mul_i32 s9, s9, s7
	s_mul_hi_u32 s22, s8, s7
	s_add_i32 s9, s22, s9
	s_mul_hi_u32 s22, s20, s26
	s_mul_i32 s23, s21, s26
	s_mul_i32 s8, s8, s7
	s_add_i32 s23, s22, s23
	s_mul_i32 s22, s20, s26
	s_lshl_b64 s[8:9], s[8:9], 2
	s_lshl_b64 s[22:23], s[22:23], 2
	s_add_u32 s22, s8, s22
	s_addc_u32 s23, s9, s23
	s_lshl_b64 s[8:9], s[14:15], 2
	s_add_u32 s8, s22, s8
	s_addc_u32 s9, s23, s9
	s_add_u32 s8, s12, s8
	v_lshlrev_b32_e32 v1, 2, v0
	s_addc_u32 s9, s13, s9
	v_mov_b32_e32 v3, s9
	v_add_co_u32_e32 v2, vcc, s8, v1
	s_lshl_b64 s[8:9], s[20:21], 2
	v_addc_co_u32_e32 v3, vcc, 0, v3, vcc
	v_lshl_or_b32 v1, s26, 4, v1
	s_sub_i32 s12, s24, s26
	v_mov_b32_e32 v4, s9
.LBB1_11:                               ; =>This Inner Loop Header: Depth=1
	global_load_dword v5, v[2:3], off
	v_add_co_u32_e32 v2, vcc, s8, v2
	s_add_i32 s12, s12, -1
	v_addc_co_u32_e32 v3, vcc, v3, v4, vcc
	s_cmp_eq_u32 s12, 0
	s_waitcnt vmcnt(0)
	ds_write_b32 v1, v5
	v_add_u32_e32 v1, 16, v1
	s_cbranch_scc0 .LBB1_11
.LBB1_12:
	v_mul_u32_u24_e32 v1, 5, v0
	s_cmpk_lg_i32 s1, 0x84
	v_lshlrev_b32_e32 v1, 2, v1
	v_mov_b32_e32 v2, 1.0
	s_cbranch_scc0 .LBB1_14
; %bb.13:
	ds_read_b32 v2, v1
	s_waitcnt lgkmcnt(0)
	v_div_scale_f32 v3, s[8:9], v2, v2, 1.0
	v_rcp_f32_e32 v4, v3
	v_div_scale_f32 v5, vcc, 1.0, v2, 1.0
	v_fma_f32 v6, -v3, v4, 1.0
	v_fmac_f32_e32 v4, v6, v4
	v_mul_f32_e32 v6, v5, v4
	v_fma_f32 v7, -v3, v6, v5
	v_fmac_f32_e32 v6, v7, v4
	v_fma_f32 v3, -v3, v6, v5
	v_div_fmas_f32 v3, v3, v4, v6
	v_div_fixup_f32 v2, v3, v2, 1.0
.LBB1_14:
	ds_write_b32 v1, v2
.LBB1_15:
	s_or_b64 exec, exec, s[18:19]
	s_load_dword s1, s[4:5], 0x60
	s_load_dwordx2 s[12:13], s[4:5], 0x50
	s_load_dword s8, s[4:5], 0x48
	v_lshl_or_b32 v5, v0, 2, 64
	s_waitcnt lgkmcnt(0)
	s_mul_i32 s5, s7, s13
	s_mul_hi_u32 s9, s7, s12
	s_mul_i32 s4, s7, s12
	s_add_i32 s5, s9, s5
	s_lshl_b64 s[4:5], s[4:5], 2
	s_add_u32 s7, s10, s4
	s_addc_u32 s9, s11, s5
	s_lshl_b64 s[4:5], s[16:17], 2
	s_add_u32 s7, s7, s4
	s_addc_u32 s9, s9, s5
	s_lshl_b32 s4, s6, 2
	s_add_i32 s1, s1, -1
	s_sub_i32 s3, s3, s4
	s_cmp_ge_u32 s6, s1
	s_mul_hi_i32 s5, s8, s4
	s_mul_i32 s4, s8, s4
	s_cselect_b32 s1, s3, 4
	s_lshl_b64 s[4:5], s[4:5], 2
	s_add_u32 s3, s7, s4
	s_addc_u32 s9, s9, s5
	s_cmp_gt_i32 s2, 0
	v_cmp_gt_i32_e32 vcc, s1, v0
	s_cselect_b64 s[4:5], -1, 0
	s_and_b64 s[4:5], vcc, s[4:5]
	s_and_saveexec_b64 s[6:7], s[4:5]
	s_cbranch_execz .LBB1_18
; %bb.16:
	v_mad_i64_i32 v[2:3], s[10:11], s8, v0, 0
	v_lshlrev_b64 v[2:3], 2, v[2:3]
	v_mov_b32_e32 v1, s9
	v_add_co_u32_e32 v2, vcc, s3, v2
	v_addc_co_u32_e32 v3, vcc, v1, v3, vcc
	v_lshl_or_b32 v1, v0, 2, 64
	s_mov_b32 s1, s24
.LBB1_17:                               ; =>This Inner Loop Header: Depth=1
	global_load_dword v4, v[2:3], off
	s_add_i32 s1, s1, -1
	v_add_co_u32_e32 v2, vcc, 4, v2
	v_addc_co_u32_e32 v3, vcc, 0, v3, vcc
	s_cmp_lg_u32 s1, 0
	s_waitcnt vmcnt(0)
	v_mul_f32_e32 v4, s25, v4
	ds_write_b32 v1, v4
	v_add_u32_e32 v1, 16, v1
	s_cbranch_scc1 .LBB1_17
.LBB1_18:
	s_or_b64 exec, exec, s[6:7]
	s_cmpk_eq_i32 s0, 0x6f
	s_mov_b64 s[0:1], -1
	s_waitcnt lgkmcnt(0)
	; wave barrier
	s_waitcnt lgkmcnt(0)
	s_cbranch_scc1 .LBB1_28
; %bb.19:
	s_cmp_gt_i32 s2, 3
	s_cbranch_scc0 .LBB1_21
; %bb.20:
	v_lshlrev_b32_e32 v1, 2, v0
	ds_read2_b32 v[10:11], v1 offset0:16 offset1:20
	v_mov_b32_e32 v6, 0
	ds_read_b32 v16, v6
	ds_read_b64 v[12:13], v6 offset:16
	ds_read2_b32 v[14:15], v1 offset0:24 offset1:28
	ds_read_b96 v[2:4], v6 offset:32
	ds_read_b128 v[6:9], v6 offset:48
	s_mov_b32 s0, 4
	s_waitcnt lgkmcnt(4)
	v_mul_f32_e32 v10, v10, v16
	s_waitcnt lgkmcnt(3)
	v_fma_f32 v11, -v10, v12, v11
	v_mul_f32_e32 v11, v11, v13
	s_waitcnt lgkmcnt(1)
	v_fma_f32 v2, -v10, v2, v14
	v_fma_f32 v2, -v11, v3, v2
	s_waitcnt lgkmcnt(0)
	v_fma_f32 v3, -v10, v6, v15
	v_mul_f32_e32 v2, v2, v4
	v_fma_f32 v3, -v11, v7, v3
	v_fma_f32 v3, -v2, v8, v3
	v_mul_f32_e32 v3, v3, v9
	ds_write2_b32 v1, v10, v11 offset0:16 offset1:20
	ds_write2_b32 v1, v2, v3 offset0:24 offset1:28
	s_cmp_ge_i32 s0, s24
	s_cbranch_scc0 .LBB1_22
	s_branch .LBB1_27
.LBB1_21:
	s_mov_b32 s0, 0
	s_cmp_ge_i32 s0, s24
	s_cbranch_scc1 .LBB1_27
.LBB1_22:
	s_lshl_b32 s1, s0, 4
	v_lshl_or_b32 v1, v0, 2, 64
	v_lshlrev_b32_e32 v3, 2, v0
	s_branch .LBB1_24
.LBB1_23:                               ;   in Loop: Header=BB1_24 Depth=1
	s_mul_i32 s6, s0, 20
	v_mov_b32_e32 v6, s6
	ds_read_b32 v6, v6
	s_add_i32 s0, s0, 1
	s_add_i32 s1, s1, 16
	v_add_u32_e32 v4, 64, v4
	s_cmp_ge_i32 s0, s24
	s_waitcnt lgkmcnt(0)
	v_mul_f32_e32 v2, v2, v6
	ds_write_b32 v4, v2
	s_cbranch_scc1 .LBB1_27
.LBB1_24:                               ; =>This Loop Header: Depth=1
                                        ;     Child Loop BB1_26 Depth 2
	v_lshl_or_b32 v4, s0, 4, v3
	ds_read_b32 v2, v4 offset:64
	s_cmp_eq_u32 s0, 0
	s_cbranch_scc1 .LBB1_23
; %bb.25:                               ;   in Loop: Header=BB1_24 Depth=1
	s_mov_b32 s6, 0
	v_mov_b32_e32 v6, v1
	s_mov_b32 s7, s1
.LBB1_26:                               ;   Parent Loop BB1_24 Depth=1
                                        ; =>  This Inner Loop Header: Depth=2
	v_mov_b32_e32 v8, s7
	ds_read_b32 v7, v6
	ds_read_b32 v8, v8
	s_add_i32 s6, s6, 1
	s_add_i32 s7, s7, 4
	v_add_u32_e32 v6, 16, v6
	s_cmp_lt_u32 s6, s0
	s_waitcnt lgkmcnt(0)
	v_fma_f32 v2, -v7, v8, v2
	s_cbranch_scc1 .LBB1_26
	s_branch .LBB1_23
.LBB1_27:
	s_mov_b64 s[0:1], 0
.LBB1_28:
	s_and_b64 vcc, exec, s[0:1]
	s_cbranch_vccz .LBB1_44
; %bb.29:
	s_add_i32 s0, s24, -1
	s_cmp_gt_i32 s2, 3
	s_cbranch_scc0 .LBB1_31
; %bb.30:
	s_lshl_b32 s2, s24, 2
	s_add_i32 s6, s2, -8
	v_or_b32_e32 v2, s6, v0
	s_add_i32 s6, s2, -12
	v_lshlrev_b32_e32 v4, 2, v2
	v_or_b32_e32 v2, s6, v0
	s_add_i32 s2, s2, -16
	s_lshl_b32 s1, s0, 2
	v_lshlrev_b32_e32 v10, 2, v2
	v_or_b32_e32 v2, s2, v0
	s_add_i32 s2, s24, -2
	s_add_i32 s7, s2, s1
	v_or_b32_e32 v1, s1, v0
	s_lshl_b32 s7, s7, 2
	v_lshlrev_b32_e32 v1, 2, v1
	v_lshlrev_b32_e32 v2, 2, v2
	v_mov_b32_e32 v3, s7
	s_mul_i32 s7, s0, 20
	ds_read_b32 v6, v1 offset:64
	ds_read_b32 v7, v4 offset:64
	;; [unrolled: 1-line block ×4, first 2 shown]
	ds_read2_b32 v[2:3], v3 offset1:1
	s_sub_i32 s10, s7, 20
	v_mov_b32_e32 v8, s10
	ds_read_b32 v8, v8
	s_add_i32 s10, s24, -4
	s_add_i32 s1, s10, s1
	s_waitcnt lgkmcnt(1)
	v_mul_f32_e32 v13, v6, v3
	s_lshl_b32 s2, s2, 2
	s_lshl_b32 s1, s1, 2
	ds_write_b32 v1, v13 offset:64
	v_fma_f32 v1, -v13, v2, v7
	v_mov_b32_e32 v2, s1
	s_add_i32 s1, s10, s2
	s_waitcnt lgkmcnt(1)
	v_mul_f32_e32 v1, v1, v8
	s_lshl_b32 s1, s1, 2
	ds_write_b32 v4, v1 offset:64
	v_mov_b32_e32 v4, s1
	s_add_i32 s1, s10, s6
	s_lshl_b32 s1, s1, 2
	v_mov_b32_e32 v8, s1
	s_sub_i32 s1, s7, 60
	ds_read2_b32 v[2:3], v2 offset1:1
	ds_read2_b32 v[6:7], v4 offset1:1
	;; [unrolled: 1-line block ×3, first 2 shown]
	v_mov_b32_e32 v4, s1
	ds_read_b32 v4, v4
	s_waitcnt lgkmcnt(3)
	v_fma_f32 v3, -v13, v3, v11
	s_waitcnt lgkmcnt(2)
	v_fma_f32 v3, -v1, v7, v3
	v_fma_f32 v2, -v13, v2, v12
	s_waitcnt lgkmcnt(1)
	v_mul_f32_e32 v3, v3, v9
	v_fma_f32 v1, -v1, v6, v2
	v_fma_f32 v1, -v3, v8, v1
	v_lshlrev_b32_e32 v2, 2, v0
	s_waitcnt lgkmcnt(0)
	v_mul_f32_e32 v1, v1, v4
	v_lshl_or_b32 v2, s10, 4, v2
	s_add_i32 s2, s24, -5
	ds_write_b32 v10, v3 offset:64
	ds_write_b32 v2, v1 offset:64
	s_cmp_lt_i32 s2, 0
	s_cbranch_scc0 .LBB1_32
	s_branch .LBB1_44
.LBB1_31:
	s_mov_b32 s2, s0
	s_cmp_lt_i32 s2, 0
	s_cbranch_scc1 .LBB1_44
.LBB1_32:
	s_bitcmp1_b32 s2, 0
	s_cselect_b64 s[6:7], -1, 0
	s_and_b64 vcc, exec, s[6:7]
	s_mov_b32 s1, s2
	s_cbranch_vccnz .LBB1_37
; %bb.33:
	s_lshl_b32 s1, s2, 2
	v_or_b32_e32 v1, s1, v0
	v_lshlrev_b32_e32 v1, 2, v1
	ds_read_b32 v2, v1 offset:64
	s_cmp_le_i32 s0, s2
	s_cbranch_scc1 .LBB1_36
; %bb.34:
	s_lshl_b32 s6, s24, 4
	s_add_i32 s1, s6, s1
	v_lshl_or_b32 v3, v0, 2, s6
	s_add_i32 s1, s1, -16
	v_add_u32_e32 v3, 48, v3
	s_mov_b32 s6, s0
.LBB1_35:                               ; =>This Inner Loop Header: Depth=1
	v_mov_b32_e32 v6, s1
	ds_read_b32 v4, v3
	ds_read_b32 v6, v6
	s_add_i32 s6, s6, -1
	s_add_i32 s1, s1, -16
	v_add_u32_e32 v3, -16, v3
	s_cmp_gt_i32 s6, s2
	s_waitcnt lgkmcnt(0)
	v_fma_f32 v2, -v4, v6, v2
	s_cbranch_scc1 .LBB1_35
.LBB1_36:
	s_mul_i32 s1, s2, 20
	v_mov_b32_e32 v3, s1
	ds_read_b32 v3, v3
	v_add_u32_e32 v1, 64, v1
	s_add_i32 s1, s2, -1
	s_waitcnt lgkmcnt(0)
	v_mul_f32_e32 v2, v2, v3
	ds_write_b32 v1, v2
.LBB1_37:
	s_cmp_eq_u32 s2, 0
	s_cbranch_scc1 .LBB1_44
; %bb.38:
	s_lshl_b32 s6, s24, 4
	s_lshl_b32 s2, s1, 2
	s_add_i32 s7, s6, s2
	v_lshl_or_b32 v1, v0, 2, s6
	s_add_i32 s2, s7, -16
	v_add_u32_e32 v1, 48, v1
	s_sub_i32 s6, s7, 20
	v_lshlrev_b32_e32 v3, 2, v0
	s_branch .LBB1_40
.LBB1_39:                               ;   in Loop: Header=BB1_40 Depth=1
	s_sub_i32 s7, s7, 20
	v_add_u32_e32 v4, 64, v6
	v_mov_b32_e32 v6, s7
	ds_read_b32 v6, v6
	s_add_i32 s7, s1, -2
	s_add_i32 s2, s2, -8
	;; [unrolled: 1-line block ×3, first 2 shown]
	s_cmp_lt_i32 s1, 2
	s_waitcnt lgkmcnt(0)
	v_mul_f32_e32 v2, v2, v6
	s_mov_b32 s1, s7
	ds_write_b32 v4, v2
	s_cbranch_scc1 .LBB1_44
.LBB1_40:                               ; =>This Loop Header: Depth=1
                                        ;     Child Loop BB1_41 Depth 2
                                        ;     Child Loop BB1_43 Depth 2
	v_lshl_or_b32 v2, s1, 4, v3
	ds_read_b32 v4, v2 offset:64
	s_cmp_le_i32 s0, s1
	v_mov_b32_e32 v6, v1
	s_mov_b32 s7, s2
	s_mov_b32 s10, s0
	s_cbranch_scc1 .LBB1_42
.LBB1_41:                               ;   Parent Loop BB1_40 Depth=1
                                        ; =>  This Inner Loop Header: Depth=2
	v_mov_b32_e32 v8, s7
	ds_read_b32 v7, v6
	ds_read_b32 v8, v8
	s_add_i32 s10, s10, -1
	s_add_i32 s7, s7, -16
	v_add_u32_e32 v6, -16, v6
	s_cmp_gt_i32 s10, s1
	s_waitcnt lgkmcnt(0)
	v_fma_f32 v4, -v7, v8, v4
	s_cbranch_scc1 .LBB1_41
.LBB1_42:                               ;   in Loop: Header=BB1_40 Depth=1
	s_mul_i32 s7, s1, 20
	v_add_u32_e32 v7, 64, v2
	v_mov_b32_e32 v2, s7
	s_lshl_b32 s10, s1, 4
	ds_read_b32 v8, v2
	s_add_i32 s10, s10, -16
	v_lshl_or_b32 v6, v0, 2, s10
	ds_read_b32 v2, v6 offset:64
	s_cmp_le_i32 s24, s1
	s_waitcnt lgkmcnt(1)
	v_mul_f32_e32 v4, v4, v8
	ds_write_b32 v7, v4
	v_mov_b32_e32 v4, v1
	s_mov_b32 s10, s6
	s_mov_b32 s11, s24
	s_cbranch_scc1 .LBB1_39
.LBB1_43:                               ;   Parent Loop BB1_40 Depth=1
                                        ; =>  This Inner Loop Header: Depth=2
	v_mov_b32_e32 v8, s10
	ds_read_b32 v7, v4
	ds_read_b32 v8, v8
	s_add_i32 s11, s11, -1
	s_add_i32 s10, s10, -16
	v_add_u32_e32 v4, -16, v4
	s_cmp_gt_i32 s11, s1
	s_waitcnt lgkmcnt(0)
	v_fma_f32 v2, -v7, v8, v2
	s_cbranch_scc1 .LBB1_43
	s_branch .LBB1_39
.LBB1_44:
	s_waitcnt lgkmcnt(0)
	; wave barrier
	s_waitcnt lgkmcnt(0)
	s_and_saveexec_b64 s[0:1], s[4:5]
	s_cbranch_execz .LBB1_47
; %bb.45:
	v_mad_i64_i32 v[0:1], s[0:1], s8, v0, 0
	v_lshlrev_b64 v[0:1], 2, v[0:1]
	v_mov_b32_e32 v2, s9
	v_add_co_u32_e32 v0, vcc, s3, v0
	v_addc_co_u32_e32 v1, vcc, v2, v1, vcc
.LBB1_46:                               ; =>This Inner Loop Header: Depth=1
	ds_read_b32 v2, v5
	s_add_i32 s24, s24, -1
	v_add_u32_e32 v5, 16, v5
	s_cmp_lg_u32 s24, 0
	s_waitcnt lgkmcnt(0)
	global_store_dword v[0:1], v2, off
	v_add_co_u32_e32 v0, vcc, 4, v0
	v_addc_co_u32_e32 v1, vcc, 0, v1, vcc
	s_cbranch_scc1 .LBB1_46
.LBB1_47:
	s_endpgm
	.section	.rodata,"a",@progbits
	.p2align	6, 0x0
	.amdhsa_kernel _ZL38rocblas_trsm_small_left_device_sharedBILi4ELi4ELb0EffPKfPfEv13rocblas_fill_18rocblas_operation_17rocblas_diagonal_iiT3_T4_lilT5_lili
		.amdhsa_group_segment_fixed_size 128
		.amdhsa_private_segment_fixed_size 0
		.amdhsa_kernarg_size 352
		.amdhsa_user_sgpr_count 6
		.amdhsa_user_sgpr_private_segment_buffer 1
		.amdhsa_user_sgpr_dispatch_ptr 0
		.amdhsa_user_sgpr_queue_ptr 0
		.amdhsa_user_sgpr_kernarg_segment_ptr 1
		.amdhsa_user_sgpr_dispatch_id 0
		.amdhsa_user_sgpr_flat_scratch_init 0
		.amdhsa_user_sgpr_kernarg_preload_length 0
		.amdhsa_user_sgpr_kernarg_preload_offset 0
		.amdhsa_user_sgpr_private_segment_size 0
		.amdhsa_uses_dynamic_stack 0
		.amdhsa_system_sgpr_private_segment_wavefront_offset 0
		.amdhsa_system_sgpr_workgroup_id_x 1
		.amdhsa_system_sgpr_workgroup_id_y 0
		.amdhsa_system_sgpr_workgroup_id_z 1
		.amdhsa_system_sgpr_workgroup_info 0
		.amdhsa_system_vgpr_workitem_id 0
		.amdhsa_next_free_vgpr 35
		.amdhsa_next_free_sgpr 43
		.amdhsa_accum_offset 36
		.amdhsa_reserve_vcc 1
		.amdhsa_reserve_flat_scratch 0
		.amdhsa_float_round_mode_32 0
		.amdhsa_float_round_mode_16_64 0
		.amdhsa_float_denorm_mode_32 3
		.amdhsa_float_denorm_mode_16_64 3
		.amdhsa_dx10_clamp 1
		.amdhsa_ieee_mode 1
		.amdhsa_fp16_overflow 0
		.amdhsa_tg_split 0
		.amdhsa_exception_fp_ieee_invalid_op 0
		.amdhsa_exception_fp_denorm_src 0
		.amdhsa_exception_fp_ieee_div_zero 0
		.amdhsa_exception_fp_ieee_overflow 0
		.amdhsa_exception_fp_ieee_underflow 0
		.amdhsa_exception_fp_ieee_inexact 0
		.amdhsa_exception_int_div_zero 0
	.end_amdhsa_kernel
	.section	.text._ZL38rocblas_trsm_small_left_device_sharedBILi4ELi4ELb0EffPKfPfEv13rocblas_fill_18rocblas_operation_17rocblas_diagonal_iiT3_T4_lilT5_lili,"axG",@progbits,_ZL38rocblas_trsm_small_left_device_sharedBILi4ELi4ELb0EffPKfPfEv13rocblas_fill_18rocblas_operation_17rocblas_diagonal_iiT3_T4_lilT5_lili,comdat
.Lfunc_end1:
	.size	_ZL38rocblas_trsm_small_left_device_sharedBILi4ELi4ELb0EffPKfPfEv13rocblas_fill_18rocblas_operation_17rocblas_diagonal_iiT3_T4_lilT5_lili, .Lfunc_end1-_ZL38rocblas_trsm_small_left_device_sharedBILi4ELi4ELb0EffPKfPfEv13rocblas_fill_18rocblas_operation_17rocblas_diagonal_iiT3_T4_lilT5_lili
                                        ; -- End function
	.section	.AMDGPU.csdata,"",@progbits
; Kernel info:
; codeLenInByte = 2652
; NumSgprs: 47
; NumVgprs: 35
; NumAgprs: 0
; TotalNumVgprs: 35
; ScratchSize: 0
; MemoryBound: 0
; FloatMode: 240
; IeeeMode: 1
; LDSByteSize: 128 bytes/workgroup (compile time only)
; SGPRBlocks: 5
; VGPRBlocks: 4
; NumSGPRsForWavesPerEU: 47
; NumVGPRsForWavesPerEU: 35
; AccumOffset: 36
; Occupancy: 8
; WaveLimiterHint : 0
; COMPUTE_PGM_RSRC2:SCRATCH_EN: 0
; COMPUTE_PGM_RSRC2:USER_SGPR: 6
; COMPUTE_PGM_RSRC2:TRAP_HANDLER: 0
; COMPUTE_PGM_RSRC2:TGID_X_EN: 1
; COMPUTE_PGM_RSRC2:TGID_Y_EN: 0
; COMPUTE_PGM_RSRC2:TGID_Z_EN: 1
; COMPUTE_PGM_RSRC2:TIDIG_COMP_CNT: 0
; COMPUTE_PGM_RSRC3_GFX90A:ACCUM_OFFSET: 8
; COMPUTE_PGM_RSRC3_GFX90A:TG_SPLIT: 0
	.section	.text._ZL30rocblas_trsm_small_left_deviceILi4ELi4ELb0EffPKfPfEv13rocblas_fill_18rocblas_operation_17rocblas_diagonal_iiT3_T4_lilT5_lili,"axG",@progbits,_ZL30rocblas_trsm_small_left_deviceILi4ELi4ELb0EffPKfPfEv13rocblas_fill_18rocblas_operation_17rocblas_diagonal_iiT3_T4_lilT5_lili,comdat
	.globl	_ZL30rocblas_trsm_small_left_deviceILi4ELi4ELb0EffPKfPfEv13rocblas_fill_18rocblas_operation_17rocblas_diagonal_iiT3_T4_lilT5_lili ; -- Begin function _ZL30rocblas_trsm_small_left_deviceILi4ELi4ELb0EffPKfPfEv13rocblas_fill_18rocblas_operation_17rocblas_diagonal_iiT3_T4_lilT5_lili
	.p2align	8
	.type	_ZL30rocblas_trsm_small_left_deviceILi4ELi4ELb0EffPKfPfEv13rocblas_fill_18rocblas_operation_17rocblas_diagonal_iiT3_T4_lilT5_lili,@function
_ZL30rocblas_trsm_small_left_deviceILi4ELi4ELb0EffPKfPfEv13rocblas_fill_18rocblas_operation_17rocblas_diagonal_iiT3_T4_lilT5_lili: ; @_ZL30rocblas_trsm_small_left_deviceILi4ELi4ELb0EffPKfPfEv13rocblas_fill_18rocblas_operation_17rocblas_diagonal_iiT3_T4_lilT5_lili
; %bb.0:
	s_load_dwordx4 s[8:11], s[4:5], 0x4
	s_load_dword s26, s[4:5], 0x14
	s_load_dwordx4 s[0:3], s[4:5], 0x30
	s_load_dwordx2 s[18:19], s[4:5], 0x40
	s_mov_b32 s27, 0
	s_waitcnt lgkmcnt(0)
	s_min_i32 s16, s10, 4
	v_cmp_gt_i32_e32 vcc, s16, v0
	s_and_saveexec_b64 s[20:21], vcc
	s_cbranch_execz .LBB2_15
; %bb.1:
	s_load_dword s22, s[4:5], 0x28
	s_load_dwordx4 s[12:15], s[4:5], 0x18
	s_cmp_gt_u32 s16, 1
	s_cselect_b64 s[24:25], -1, 0
	s_mov_b32 s17, 1
	s_waitcnt lgkmcnt(0)
	s_cmp_eq_u32 s22, 1
	s_cselect_b64 s[28:29], -1, 0
	s_and_b64 s[28:29], s[24:25], s[28:29]
	s_mov_b64 s[24:25], -1
	s_and_b64 vcc, exec, s[28:29]
	s_cbranch_vccz .LBB2_9
; %bb.2:
	s_add_i32 s24, s16, -2
	s_lshr_b32 s25, s24, 1
	s_add_i32 s25, s25, 1
	s_mov_b32 s23, 0
	s_cmp_lt_u32 s24, 14
	s_mov_b32 s24, s23
	s_cbranch_scc1 .LBB2_5
; %bb.3:
	s_mul_i32 s17, s1, s7
	s_mul_hi_u32 s23, s0, s7
	s_add_i32 s29, s23, s17
	s_mul_i32 s28, s0, s7
	s_and_b32 s27, s25, -8
	s_lshl_b64 s[28:29], s[28:29], 2
	s_lshl_b64 s[30:31], s[14:15], 2
	s_add_u32 s17, s28, s30
	s_addc_u32 s23, s29, s31
	s_add_u32 s17, s12, s17
	v_lshlrev_b32_e32 v1, 2, v0
	s_addc_u32 s23, s13, s23
	v_mov_b32_e32 v2, s23
	v_add_co_u32_e32 v1, vcc, s17, v1
	v_addc_co_u32_e32 v3, vcc, 0, v2, vcc
	v_add_co_u32_e32 v2, vcc, 56, v1
	v_addc_co_u32_e32 v3, vcc, 0, v3, vcc
	s_mov_b32 s17, 1
	s_mov_b32 s24, 0
	;; [unrolled: 1-line block ×3, first 2 shown]
.LBB2_4:                                ; =>This Inner Loop Header: Depth=1
	global_load_dwordx4 v[4:7], v[2:3], off offset:-56
	global_load_dwordx4 v[8:11], v[2:3], off offset:-40
	;; [unrolled: 1-line block ×4, first 2 shown]
	s_lshl_b32 s28, s23, 2
	s_lshl_b32 s29, s17, 2
	s_add_i32 s24, s24, 16
	s_add_i32 s17, s17, 16
	;; [unrolled: 1-line block ×3, first 2 shown]
	s_add_i32 s27, s27, -8
	v_add_co_u32_e32 v2, vcc, 64, v2
	v_or_b32_e32 v1, s29, v0
	v_or_b32_e32 v20, s28, v0
	s_add_i32 s30, s28, 8
	s_add_i32 s31, s29, 8
	;; [unrolled: 1-line block ×14, first 2 shown]
	v_addc_co_u32_e32 v3, vcc, 0, v3, vcc
	v_lshlrev_b32_e32 v20, 2, v20
	v_or_b32_e32 v21, s31, v0
	v_or_b32_e32 v22, s30, v0
	;; [unrolled: 1-line block ×14, first 2 shown]
	s_cmp_lg_u32 s27, 0
	v_lshlrev_b32_e32 v1, 2, v1
	v_lshlrev_b32_e32 v22, 2, v22
	;; [unrolled: 1-line block ×15, first 2 shown]
	s_waitcnt vmcnt(3)
	ds_write_b32 v20, v4
	ds_write_b32 v1, v5
	ds_write_b32 v22, v6
	ds_write_b32 v21, v7
	s_waitcnt vmcnt(2)
	ds_write_b32 v24, v8
	ds_write_b32 v23, v9
	ds_write_b32 v26, v10
	ds_write_b32 v25, v11
	;; [unrolled: 5-line block ×4, first 2 shown]
	s_cbranch_scc1 .LBB2_4
.LBB2_5:
	s_and_b32 s27, s25, 7
	s_cmp_eq_u32 s27, 0
	s_mov_b32 s25, 0
	s_cbranch_scc1 .LBB2_8
; %bb.6:
	s_mul_i32 s28, s1, s7
	s_mul_hi_u32 s29, s0, s7
	s_add_i32 s29, s29, s28
	s_mul_i32 s28, s0, s7
	s_lshl_b64 s[28:29], s[28:29], 2
	s_lshl_b64 s[30:31], s[14:15], 2
	s_add_u32 s28, s28, s30
	s_addc_u32 s29, s29, s31
	s_lshl_b64 s[24:25], s[24:25], 2
	s_add_u32 s24, s12, s24
	s_addc_u32 s25, s13, s25
	s_add_u32 s24, s24, s28
	v_lshlrev_b32_e32 v1, 2, v0
	s_addc_u32 s25, s25, s29
	v_mov_b32_e32 v3, s25
	v_add_co_u32_e32 v2, vcc, s24, v1
	v_addc_co_u32_e32 v3, vcc, 0, v3, vcc
	s_lshl_b32 s24, s27, 3
.LBB2_7:                                ; =>This Inner Loop Header: Depth=1
	global_load_dwordx2 v[4:5], v[2:3], off
	v_lshl_or_b32 v6, s23, 4, v1
	v_lshl_or_b32 v7, s17, 4, v1
	s_add_i32 s17, s17, 2
	s_add_i32 s23, s23, 2
	v_add_co_u32_e32 v2, vcc, 8, v2
	s_add_i32 s24, s24, -8
	v_addc_co_u32_e32 v3, vcc, 0, v3, vcc
	s_cmp_lg_u32 s24, 0
	s_waitcnt vmcnt(0)
	ds_write_b32 v6, v4
	ds_write_b32 v7, v5
	s_cbranch_scc1 .LBB2_7
.LBB2_8:
	s_and_b32 s27, s16, -2
	s_cmp_lg_u32 s16, s27
	s_cselect_b64 s[24:25], -1, 0
.LBB2_9:
	s_and_b64 vcc, exec, s[24:25]
	s_cbranch_vccz .LBB2_12
; %bb.10:
	s_ashr_i32 s23, s22, 31
	s_mul_i32 s1, s1, s7
	s_mul_hi_u32 s17, s0, s7
	s_add_i32 s1, s17, s1
	s_mul_hi_u32 s17, s22, s27
	s_mul_i32 s24, s23, s27
	s_mul_i32 s0, s0, s7
	s_add_i32 s25, s17, s24
	s_mul_i32 s24, s22, s27
	s_lshl_b64 s[0:1], s[0:1], 2
	s_lshl_b64 s[24:25], s[24:25], 2
	s_add_u32 s17, s0, s24
	s_addc_u32 s24, s1, s25
	s_lshl_b64 s[0:1], s[14:15], 2
	s_add_u32 s0, s17, s0
	s_addc_u32 s1, s24, s1
	s_add_u32 s0, s12, s0
	v_lshlrev_b32_e32 v1, 2, v0
	s_addc_u32 s1, s13, s1
	v_mov_b32_e32 v3, s1
	v_add_co_u32_e32 v2, vcc, s0, v1
	s_lshl_b64 s[0:1], s[22:23], 2
	v_addc_co_u32_e32 v3, vcc, 0, v3, vcc
	v_lshl_or_b32 v1, s27, 4, v1
	s_sub_i32 s12, s16, s27
	v_mov_b32_e32 v4, s1
.LBB2_11:                               ; =>This Inner Loop Header: Depth=1
	global_load_dword v5, v[2:3], off
	v_add_co_u32_e32 v2, vcc, s0, v2
	s_add_i32 s12, s12, -1
	v_addc_co_u32_e32 v3, vcc, v3, v4, vcc
	s_cmp_eq_u32 s12, 0
	s_waitcnt vmcnt(0)
	ds_write_b32 v1, v5
	v_add_u32_e32 v1, 16, v1
	s_cbranch_scc0 .LBB2_11
.LBB2_12:
	v_mul_u32_u24_e32 v1, 5, v0
	s_cmpk_lg_i32 s9, 0x84
	v_lshlrev_b32_e32 v1, 2, v1
	v_mov_b32_e32 v2, 1.0
	s_cbranch_scc0 .LBB2_14
; %bb.13:
	ds_read_b32 v2, v1
	s_waitcnt lgkmcnt(0)
	v_div_scale_f32 v3, s[0:1], v2, v2, 1.0
	v_rcp_f32_e32 v4, v3
	v_div_scale_f32 v5, vcc, 1.0, v2, 1.0
	v_fma_f32 v6, -v3, v4, 1.0
	v_fmac_f32_e32 v4, v6, v4
	v_mul_f32_e32 v6, v5, v4
	v_fma_f32 v7, -v3, v6, v5
	v_fmac_f32_e32 v6, v7, v4
	v_fma_f32 v3, -v3, v6, v5
	v_div_fmas_f32 v3, v3, v4, v6
	v_div_fixup_f32 v2, v3, v2, 1.0
.LBB2_14:
	ds_write_b32 v1, v2
.LBB2_15:
	s_or_b64 exec, exec, s[20:21]
	s_load_dword s0, s[4:5], 0x60
	s_waitcnt lgkmcnt(0)
	; wave barrier
	s_waitcnt lgkmcnt(0)
	s_add_i32 s1, s0, -1
	s_lshl_b32 s0, s6, 2
	s_sub_i32 s9, s11, s0
	s_cmp_ge_u32 s6, s1
	s_cselect_b32 s1, s9, 4
	v_cmp_gt_i32_e32 vcc, s1, v0
	s_and_saveexec_b64 s[12:13], vcc
	s_cbranch_execz .LBB2_46
; %bb.16:
	s_load_dwordx2 s[12:13], s[4:5], 0x50
	s_load_dword s1, s[4:5], 0x48
	v_add_u32_e32 v0, s0, v0
	s_waitcnt lgkmcnt(0)
	s_mul_i32 s5, s7, s13
	s_mul_hi_u32 s6, s7, s12
	s_mul_i32 s4, s7, s12
	s_add_i32 s5, s6, s5
	s_lshl_b64 s[6:7], s[4:5], 2
	s_add_u32 s4, s2, s6
	s_addc_u32 s5, s3, s7
	s_lshl_b64 s[12:13], s[18:19], 2
	s_add_u32 s4, s4, s12
	v_mad_i64_i32 v[0:1], s[0:1], s1, v0, 0
	s_addc_u32 s5, s5, s13
	v_lshlrev_b64 v[4:5], 2, v[0:1]
	v_mov_b32_e32 v0, s5
	v_add_co_u32_e32 v2, vcc, s4, v4
	v_addc_co_u32_e32 v3, vcc, v0, v5, vcc
	s_cmpk_eq_i32 s8, 0x6f
	s_mov_b64 s[0:1], -1
	s_cbranch_scc1 .LBB2_26
; %bb.17:
	s_cmp_gt_i32 s10, 3
	s_cbranch_scc0 .LBB2_19
; %bb.18:
	global_load_dwordx4 v[6:9], v[2:3], off
	v_mov_b32_e32 v10, 0
	ds_read_b32 v17, v10
	ds_read_b64 v[0:1], v10 offset:16
	ds_read_b96 v[14:16], v10 offset:32
	ds_read_b128 v[10:13], v10 offset:48
	s_mov_b32 s0, 4
	s_waitcnt vmcnt(0)
	v_mul_f32_e32 v6, s26, v6
	s_waitcnt lgkmcnt(3)
	v_mul_f32_e32 v6, v6, v17
	s_waitcnt lgkmcnt(2)
	;; [unrolled: 2-line block ×3, first 2 shown]
	v_mul_f32_e32 v14, v6, v14
	v_fma_f32 v0, v7, s26, -v0
	s_waitcnt lgkmcnt(0)
	v_mul_f32_e32 v10, v6, v10
	v_fma_f32 v8, v8, s26, -v14
	v_mul_f32_e32 v7, v0, v1
	v_fma_f32 v9, v9, s26, -v10
	v_fma_f32 v0, -v7, v15, v8
	v_fma_f32 v1, -v7, v11, v9
	v_mul_f32_e32 v8, v0, v16
	v_fma_f32 v0, -v8, v12, v1
	v_mul_f32_e32 v9, v0, v13
	global_store_dwordx4 v[2:3], v[6:9], off
	s_cmp_ge_i32 s0, s16
	s_cbranch_scc0 .LBB2_20
	s_branch .LBB2_25
.LBB2_19:
	s_mov_b32 s0, 0
	s_cmp_ge_i32 s0, s16
	s_cbranch_scc1 .LBB2_25
.LBB2_20:
	s_lshl_b32 s4, s0, 4
	s_mov_b32 s1, 0
	s_branch .LBB2_22
.LBB2_21:                               ;   in Loop: Header=BB2_22 Depth=1
	s_mul_i32 s5, s0, 20
	v_mov_b32_e32 v1, s5
	ds_read_b32 v1, v1
	s_add_i32 s0, s0, 1
	s_add_i32 s4, s4, 16
	s_cmp_ge_i32 s0, s16
	s_waitcnt lgkmcnt(0)
	v_mul_f32_e32 v0, v0, v1
	global_store_dword v[6:7], v0, off
	s_cbranch_scc1 .LBB2_25
.LBB2_22:                               ; =>This Loop Header: Depth=1
                                        ;     Child Loop BB2_24 Depth 2
	s_lshl_b64 s[8:9], s[0:1], 2
	v_mov_b32_e32 v0, s9
	v_add_co_u32_e32 v6, vcc, s8, v2
	v_addc_co_u32_e32 v7, vcc, v3, v0, vcc
	global_load_dword v0, v[6:7], off
	s_cmp_eq_u32 s0, 0
	s_waitcnt vmcnt(0)
	v_mul_f32_e32 v0, s26, v0
	s_cbranch_scc1 .LBB2_21
; %bb.23:                               ;   in Loop: Header=BB2_22 Depth=1
	s_mov_b32 s5, 0
	v_pk_mov_b32 v[8:9], v[2:3], v[2:3] op_sel:[0,1]
	s_mov_b32 s8, s4
.LBB2_24:                               ;   Parent Loop BB2_22 Depth=1
                                        ; =>  This Inner Loop Header: Depth=2
	global_load_dword v1, v[8:9], off
	v_mov_b32_e32 v10, s8
	ds_read_b32 v10, v10
	s_add_i32 s5, s5, 1
	s_add_i32 s8, s8, 4
	v_add_co_u32_e32 v8, vcc, 4, v8
	v_addc_co_u32_e32 v9, vcc, 0, v9, vcc
	s_cmp_lt_u32 s5, s0
	s_waitcnt vmcnt(0) lgkmcnt(0)
	v_fma_f32 v0, -v1, v10, v0
	s_cbranch_scc1 .LBB2_24
	s_branch .LBB2_21
.LBB2_25:
	s_mov_b64 s[0:1], 0
.LBB2_26:
	s_and_b64 vcc, exec, s[0:1]
	s_cbranch_vccz .LBB2_46
; %bb.27:
	s_add_i32 s0, s16, -1
	s_cmp_gt_i32 s10, 3
	s_cbranch_scc0 .LBB2_29
; %bb.28:
	s_ashr_i32 s17, s16, 31
	s_lshl_b64 s[4:5], s[16:17], 2
	v_mov_b32_e32 v1, s5
	v_add_co_u32_e32 v0, vcc, s4, v2
	v_addc_co_u32_e32 v1, vcc, v3, v1, vcc
	s_mov_b32 s17, 0
	global_load_dword v9, v[0:1], off offset:-4
	s_lshl_b64 s[4:5], s[16:17], 2
	v_mov_b32_e32 v7, s5
	v_add_co_u32_e32 v6, vcc, s4, v2
	v_addc_co_u32_e32 v7, vcc, v3, v7, vcc
	global_load_dwordx3 v[6:8], v[6:7], off offset:-16
	s_add_i32 s4, s16, -2
	s_lshl_b32 s5, s0, 2
	s_lshl_b32 s8, s16, 2
	s_add_i32 s9, s16, -4
	s_mul_i32 s1, s0, 20
	s_add_i32 s11, s4, s5
	s_lshl_b32 s4, s4, 2
	s_add_i32 s8, s8, s9
	s_sub_i32 s14, s1, 20
	s_add_i32 s5, s9, s5
	s_sub_i32 s1, s1, 60
	s_add_i32 s9, s9, s4
	s_lshl_b32 s4, s8, 2
	s_lshl_b32 s11, s11, 2
	;; [unrolled: 1-line block ×3, first 2 shown]
	v_mov_b32_e32 v18, s1
	s_lshl_b32 s1, s9, 2
	s_sub_i32 s4, s4, 48
	v_mov_b32_e32 v12, s14
	v_mov_b32_e32 v10, s11
	;; [unrolled: 1-line block ×5, first 2 shown]
	ds_read2_b32 v[10:11], v10 offset1:1
	ds_read_b32 v19, v12
	ds_read2_b32 v[12:13], v13 offset1:1
	ds_read2_b32 v[14:15], v14 offset1:1
	;; [unrolled: 1-line block ×3, first 2 shown]
	ds_read_b32 v18, v18
	s_add_i32 s8, s16, -5
	s_waitcnt vmcnt(1)
	v_mul_f32_e32 v9, s26, v9
	s_waitcnt lgkmcnt(5)
	v_mul_f32_e32 v9, v9, v11
	v_mul_f32_e32 v10, v9, v10
	s_waitcnt lgkmcnt(3)
	v_mul_f32_e32 v11, v9, v13
	v_mul_f32_e32 v12, v9, v12
	s_waitcnt vmcnt(0)
	v_fma_f32 v8, v8, s26, -v10
	v_fma_f32 v7, v7, s26, -v11
	v_mul_f32_e32 v8, v8, v19
	v_fma_f32 v6, v6, s26, -v12
	s_waitcnt lgkmcnt(2)
	v_fma_f32 v7, -v8, v15, v7
	v_fma_f32 v6, -v8, v14, v6
	s_waitcnt lgkmcnt(1)
	v_mul_f32_e32 v7, v7, v17
	v_fma_f32 v6, -v7, v16, v6
	s_waitcnt lgkmcnt(0)
	v_mul_f32_e32 v6, v6, v18
	global_store_dwordx4 v[0:1], v[6:9], off offset:-16
	s_cmp_lt_i32 s8, 0
	s_cbranch_scc0 .LBB2_30
	s_branch .LBB2_46
.LBB2_29:
	s_mov_b32 s8, s0
	s_cmp_lt_i32 s8, 0
	s_cbranch_scc1 .LBB2_46
.LBB2_30:
	s_add_i32 s1, s8, 1
	s_and_b32 s9, s1, 3
	s_cmp_eq_u32 s9, 0
	s_mov_b32 s4, s8
	s_cbranch_scc1 .LBB2_35
; %bb.31:
	s_lshl_b32 s1, s16, 4
	s_lshl_b32 s4, s8, 2
	s_add_i32 s1, s1, s4
	s_add_i32 s11, s1, -16
	s_ashr_i32 s1, s0, 31
	s_lshl_b64 s[4:5], s[0:1], 2
	s_add_u32 s1, s2, s4
	s_addc_u32 s4, s3, s5
	s_add_u32 s1, s1, s12
	s_addc_u32 s4, s4, s13
	s_add_u32 s1, s1, s6
	s_addc_u32 s4, s4, s7
	v_mov_b32_e32 v0, s4
	v_add_co_u32_e32 v6, vcc, s1, v4
	s_mov_b32 s5, 0
	v_addc_co_u32_e32 v7, vcc, v0, v5, vcc
	s_mov_b32 s4, s8
	s_mov_b32 s1, s5
	s_branch .LBB2_33
.LBB2_32:                               ;   in Loop: Header=BB2_33 Depth=1
	s_mul_i32 s14, s4, 20
	v_mov_b32_e32 v1, s14
	ds_read_b32 v1, v1
	s_ashr_i32 s15, s4, 31
	s_mov_b32 s14, s4
	s_lshl_b64 s[14:15], s[14:15], 2
	v_mov_b32_e32 v8, s15
	s_waitcnt lgkmcnt(0)
	v_mul_f32_e32 v9, v0, v1
	v_add_co_u32_e32 v0, vcc, s14, v2
	s_add_i32 s4, s4, -1
	s_add_i32 s1, s1, 1
	s_add_i32 s11, s11, -4
	v_addc_co_u32_e32 v1, vcc, v3, v8, vcc
	s_cmp_lg_u32 s1, s9
	global_store_dword v[0:1], v9, off
	s_cbranch_scc0 .LBB2_35
.LBB2_33:                               ; =>This Loop Header: Depth=1
                                        ;     Child Loop BB2_34 Depth 2
	s_lshl_b64 s[14:15], s[4:5], 2
	v_mov_b32_e32 v1, s15
	v_add_co_u32_e32 v0, vcc, s14, v2
	v_addc_co_u32_e32 v1, vcc, v3, v1, vcc
	global_load_dword v0, v[0:1], off
	v_pk_mov_b32 v[8:9], v[6:7], v[6:7] op_sel:[0,1]
	s_mov_b32 s14, s11
	s_cmp_le_i32 s0, s4
	s_mov_b32 s15, s0
	s_waitcnt vmcnt(0)
	v_mul_f32_e32 v0, s26, v0
	s_cbranch_scc1 .LBB2_32
.LBB2_34:                               ;   Parent Loop BB2_33 Depth=1
                                        ; =>  This Inner Loop Header: Depth=2
	global_load_dword v1, v[8:9], off
	v_mov_b32_e32 v10, s14
	ds_read_b32 v10, v10
	s_add_i32 s15, s15, -1
	s_add_i32 s14, s14, -16
	v_add_co_u32_e32 v8, vcc, -4, v8
	v_addc_co_u32_e32 v9, vcc, -1, v9, vcc
	s_cmp_gt_i32 s15, s4
	s_waitcnt vmcnt(0) lgkmcnt(0)
	v_fma_f32 v0, -v1, v10, v0
	s_cbranch_scc1 .LBB2_34
	s_branch .LBB2_32
.LBB2_35:
	s_cmp_lt_u32 s8, 3
	s_cbranch_scc1 .LBB2_46
; %bb.36:
	s_lshl_b32 s1, s16, 4
	s_lshl_b32 s5, s4, 2
	s_add_i32 s9, s1, s5
	s_add_i32 s8, s9, -16
	s_add_u32 s1, s12, s6
	s_addc_u32 s5, s13, s7
	v_add_co_u32_e32 v1, vcc, s1, v4
	s_ashr_i32 s1, s0, 31
	s_lshl_b64 s[6:7], s[0:1], 2
	v_mov_b32_e32 v0, s5
	s_add_u32 s1, s2, s6
	v_addc_co_u32_e32 v0, vcc, v0, v5, vcc
	s_addc_u32 s5, s3, s7
	s_ashr_i32 s11, s10, 31
	v_add_co_u32_e32 v4, vcc, s1, v1
	s_sub_i32 s1, s9, 20
	v_cmp_lt_i64_e64 s[6:7], s[10:11], 4
	s_and_b64 s[6:7], s[6:7], exec
	s_cselect_b32 s7, s11, 0
	s_cselect_b32 s6, s10, 4
	s_lshl_b64 s[6:7], s[6:7], 2
	v_mov_b32_e32 v5, s5
	s_add_u32 s2, s2, s6
	v_addc_co_u32_e32 v5, vcc, v5, v0, vcc
	s_addc_u32 s3, s3, s7
	v_mov_b32_e32 v6, s3
	v_add_co_u32_e32 v1, vcc, s2, v1
	v_addc_co_u32_e32 v0, vcc, v6, v0, vcc
	v_add_co_u32_e32 v6, vcc, -4, v1
	s_mov_b32 s5, 0
	v_addc_co_u32_e32 v7, vcc, -1, v0, vcc
	s_sub_i32 s6, s9, 24
	s_sub_i32 s7, s9, 28
	s_branch .LBB2_38
.LBB2_37:                               ;   in Loop: Header=BB2_38 Depth=1
	s_sub_i32 s2, s3, 20
	v_mov_b32_e32 v1, s2
	ds_read_b32 v1, v1
	s_add_i32 s2, s4, -4
	s_add_i32 s8, s8, -16
	;; [unrolled: 1-line block ×5, first 2 shown]
	s_waitcnt lgkmcnt(0)
	v_mul_f32_e32 v0, v0, v1
	s_cmp_lt_i32 s4, 4
	s_mov_b32 s4, s2
	global_store_dword v[8:9], v0, off offset:-12
	s_cbranch_scc1 .LBB2_46
.LBB2_38:                               ; =>This Loop Header: Depth=1
                                        ;     Child Loop BB2_39 Depth 2
                                        ;     Child Loop BB2_41 Depth 2
	;; [unrolled: 1-line block ×4, first 2 shown]
	s_lshl_b64 s[2:3], s[4:5], 2
	v_mov_b32_e32 v1, s3
	v_add_co_u32_e32 v0, vcc, s2, v2
	v_addc_co_u32_e32 v1, vcc, v3, v1, vcc
	global_load_dword v0, v[0:1], off
	v_pk_mov_b32 v[8:9], v[4:5], v[4:5] op_sel:[0,1]
	s_mov_b32 s2, s8
	s_cmp_le_i32 s0, s4
	s_mov_b32 s3, s0
	s_waitcnt vmcnt(0)
	v_mul_f32_e32 v0, s26, v0
	s_cbranch_scc1 .LBB2_40
.LBB2_39:                               ;   Parent Loop BB2_38 Depth=1
                                        ; =>  This Inner Loop Header: Depth=2
	global_load_dword v1, v[8:9], off
	v_mov_b32_e32 v10, s2
	ds_read_b32 v10, v10
	s_add_i32 s3, s3, -1
	s_add_i32 s2, s2, -16
	v_add_co_u32_e32 v8, vcc, -4, v8
	v_addc_co_u32_e32 v9, vcc, -1, v9, vcc
	s_cmp_gt_i32 s3, s4
	s_waitcnt vmcnt(0) lgkmcnt(0)
	v_fma_f32 v0, -v1, v10, v0
	s_cbranch_scc1 .LBB2_39
.LBB2_40:                               ;   in Loop: Header=BB2_38 Depth=1
	s_add_i32 s2, s4, -1
	s_mov_b32 s3, s5
	s_lshl_b64 s[2:3], s[2:3], 2
	v_mov_b32_e32 v1, s3
	v_add_co_u32_e32 v8, vcc, s2, v2
	v_addc_co_u32_e32 v9, vcc, v3, v1, vcc
	global_load_dword v1, v[8:9], off
	s_mul_i32 s9, s4, 20
	v_mov_b32_e32 v8, s9
	ds_read_b32 v12, v8
	s_ashr_i32 s11, s4, 31
	s_mov_b32 s10, s4
	s_lshl_b64 s[10:11], s[10:11], 2
	v_mov_b32_e32 v9, s11
	v_add_co_u32_e32 v8, vcc, s10, v2
	v_addc_co_u32_e32 v9, vcc, v3, v9, vcc
	s_waitcnt lgkmcnt(0)
	v_mul_f32_e32 v0, v0, v12
	v_pk_mov_b32 v[10:11], v[6:7], v[6:7] op_sel:[0,1]
	s_mov_b32 s2, s1
	s_cmp_le_i32 s16, s4
	global_store_dword v[8:9], v0, off
	s_mov_b32 s3, s16
	s_waitcnt vmcnt(1)
	v_mul_f32_e32 v0, s26, v1
	s_cbranch_scc1 .LBB2_42
.LBB2_41:                               ;   Parent Loop BB2_38 Depth=1
                                        ; =>  This Inner Loop Header: Depth=2
	global_load_dword v1, v[10:11], off
	v_mov_b32_e32 v12, s2
	ds_read_b32 v12, v12
	s_add_i32 s3, s3, -1
	s_add_i32 s2, s2, -16
	v_add_co_u32_e32 v10, vcc, -4, v10
	v_addc_co_u32_e32 v11, vcc, -1, v11, vcc
	s_cmp_gt_i32 s3, s4
	s_waitcnt vmcnt(0) lgkmcnt(0)
	v_fma_f32 v0, -v1, v12, v0
	s_cbranch_scc1 .LBB2_41
.LBB2_42:                               ;   in Loop: Header=BB2_38 Depth=1
	s_add_i32 s2, s4, -2
	s_mov_b32 s3, s5
	s_lshl_b64 s[10:11], s[2:3], 2
	v_mov_b32_e32 v1, s11
	v_add_co_u32_e32 v10, vcc, s10, v2
	v_addc_co_u32_e32 v11, vcc, v3, v1, vcc
	global_load_dword v1, v[10:11], off
	s_sub_i32 s9, s9, 20
	v_mov_b32_e32 v10, s9
	ds_read_b32 v12, v10
	v_pk_mov_b32 v[10:11], v[4:5], v[4:5] op_sel:[0,1]
	s_mov_b32 s3, s6
	s_cmp_le_i32 s0, s2
	s_mov_b32 s10, s0
	s_waitcnt lgkmcnt(0)
	v_mul_f32_e32 v0, v0, v12
	global_store_dword v[8:9], v0, off offset:-4
	s_waitcnt vmcnt(1)
	v_mul_f32_e32 v0, s26, v1
	s_cbranch_scc1 .LBB2_44
.LBB2_43:                               ;   Parent Loop BB2_38 Depth=1
                                        ; =>  This Inner Loop Header: Depth=2
	global_load_dword v1, v[10:11], off
	v_mov_b32_e32 v12, s3
	ds_read_b32 v12, v12
	s_add_i32 s10, s10, -1
	s_add_i32 s3, s3, -16
	v_add_co_u32_e32 v10, vcc, -4, v10
	v_addc_co_u32_e32 v11, vcc, -1, v11, vcc
	s_cmp_gt_i32 s10, s2
	s_waitcnt vmcnt(0) lgkmcnt(0)
	v_fma_f32 v0, -v1, v12, v0
	s_cbranch_scc1 .LBB2_43
.LBB2_44:                               ;   in Loop: Header=BB2_38 Depth=1
	s_add_i32 s2, s4, -3
	s_mov_b32 s3, s5
	s_lshl_b64 s[10:11], s[2:3], 2
	v_mov_b32_e32 v1, s11
	v_add_co_u32_e32 v10, vcc, s10, v2
	v_addc_co_u32_e32 v11, vcc, v3, v1, vcc
	global_load_dword v1, v[10:11], off
	s_sub_i32 s3, s9, 20
	v_mov_b32_e32 v10, s3
	ds_read_b32 v12, v10
	v_pk_mov_b32 v[10:11], v[4:5], v[4:5] op_sel:[0,1]
	s_mov_b32 s9, s7
	s_cmp_le_i32 s0, s2
	s_mov_b32 s10, s0
	s_waitcnt lgkmcnt(0)
	v_mul_f32_e32 v0, v0, v12
	global_store_dword v[8:9], v0, off offset:-8
	s_waitcnt vmcnt(1)
	v_mul_f32_e32 v0, s26, v1
	s_cbranch_scc1 .LBB2_37
.LBB2_45:                               ;   Parent Loop BB2_38 Depth=1
                                        ; =>  This Inner Loop Header: Depth=2
	global_load_dword v1, v[10:11], off
	v_mov_b32_e32 v12, s9
	ds_read_b32 v12, v12
	s_add_i32 s10, s10, -1
	s_add_i32 s9, s9, -16
	v_add_co_u32_e32 v10, vcc, -4, v10
	v_addc_co_u32_e32 v11, vcc, -1, v11, vcc
	s_cmp_gt_i32 s10, s2
	s_waitcnt vmcnt(0) lgkmcnt(0)
	v_fma_f32 v0, -v1, v12, v0
	s_cbranch_scc1 .LBB2_45
	s_branch .LBB2_37
.LBB2_46:
	s_endpgm
	.section	.rodata,"a",@progbits
	.p2align	6, 0x0
	.amdhsa_kernel _ZL30rocblas_trsm_small_left_deviceILi4ELi4ELb0EffPKfPfEv13rocblas_fill_18rocblas_operation_17rocblas_diagonal_iiT3_T4_lilT5_lili
		.amdhsa_group_segment_fixed_size 64
		.amdhsa_private_segment_fixed_size 0
		.amdhsa_kernarg_size 352
		.amdhsa_user_sgpr_count 6
		.amdhsa_user_sgpr_private_segment_buffer 1
		.amdhsa_user_sgpr_dispatch_ptr 0
		.amdhsa_user_sgpr_queue_ptr 0
		.amdhsa_user_sgpr_kernarg_segment_ptr 1
		.amdhsa_user_sgpr_dispatch_id 0
		.amdhsa_user_sgpr_flat_scratch_init 0
		.amdhsa_user_sgpr_kernarg_preload_length 0
		.amdhsa_user_sgpr_kernarg_preload_offset 0
		.amdhsa_user_sgpr_private_segment_size 0
		.amdhsa_uses_dynamic_stack 0
		.amdhsa_system_sgpr_private_segment_wavefront_offset 0
		.amdhsa_system_sgpr_workgroup_id_x 1
		.amdhsa_system_sgpr_workgroup_id_y 0
		.amdhsa_system_sgpr_workgroup_id_z 1
		.amdhsa_system_sgpr_workgroup_info 0
		.amdhsa_system_vgpr_workitem_id 0
		.amdhsa_next_free_vgpr 35
		.amdhsa_next_free_sgpr 43
		.amdhsa_accum_offset 36
		.amdhsa_reserve_vcc 1
		.amdhsa_reserve_flat_scratch 0
		.amdhsa_float_round_mode_32 0
		.amdhsa_float_round_mode_16_64 0
		.amdhsa_float_denorm_mode_32 3
		.amdhsa_float_denorm_mode_16_64 3
		.amdhsa_dx10_clamp 1
		.amdhsa_ieee_mode 1
		.amdhsa_fp16_overflow 0
		.amdhsa_tg_split 0
		.amdhsa_exception_fp_ieee_invalid_op 0
		.amdhsa_exception_fp_denorm_src 0
		.amdhsa_exception_fp_ieee_div_zero 0
		.amdhsa_exception_fp_ieee_overflow 0
		.amdhsa_exception_fp_ieee_underflow 0
		.amdhsa_exception_fp_ieee_inexact 0
		.amdhsa_exception_int_div_zero 0
	.end_amdhsa_kernel
	.section	.text._ZL30rocblas_trsm_small_left_deviceILi4ELi4ELb0EffPKfPfEv13rocblas_fill_18rocblas_operation_17rocblas_diagonal_iiT3_T4_lilT5_lili,"axG",@progbits,_ZL30rocblas_trsm_small_left_deviceILi4ELi4ELb0EffPKfPfEv13rocblas_fill_18rocblas_operation_17rocblas_diagonal_iiT3_T4_lilT5_lili,comdat
.Lfunc_end2:
	.size	_ZL30rocblas_trsm_small_left_deviceILi4ELi4ELb0EffPKfPfEv13rocblas_fill_18rocblas_operation_17rocblas_diagonal_iiT3_T4_lilT5_lili, .Lfunc_end2-_ZL30rocblas_trsm_small_left_deviceILi4ELi4ELb0EffPKfPfEv13rocblas_fill_18rocblas_operation_17rocblas_diagonal_iiT3_T4_lilT5_lili
                                        ; -- End function
	.section	.AMDGPU.csdata,"",@progbits
; Kernel info:
; codeLenInByte = 3048
; NumSgprs: 47
; NumVgprs: 35
; NumAgprs: 0
; TotalNumVgprs: 35
; ScratchSize: 0
; MemoryBound: 0
; FloatMode: 240
; IeeeMode: 1
; LDSByteSize: 64 bytes/workgroup (compile time only)
; SGPRBlocks: 5
; VGPRBlocks: 4
; NumSGPRsForWavesPerEU: 47
; NumVGPRsForWavesPerEU: 35
; AccumOffset: 36
; Occupancy: 8
; WaveLimiterHint : 0
; COMPUTE_PGM_RSRC2:SCRATCH_EN: 0
; COMPUTE_PGM_RSRC2:USER_SGPR: 6
; COMPUTE_PGM_RSRC2:TRAP_HANDLER: 0
; COMPUTE_PGM_RSRC2:TGID_X_EN: 1
; COMPUTE_PGM_RSRC2:TGID_Y_EN: 0
; COMPUTE_PGM_RSRC2:TGID_Z_EN: 1
; COMPUTE_PGM_RSRC2:TIDIG_COMP_CNT: 0
; COMPUTE_PGM_RSRC3_GFX90A:ACCUM_OFFSET: 8
; COMPUTE_PGM_RSRC3_GFX90A:TG_SPLIT: 0
	.section	.text._ZL38rocblas_trsm_small_left_device_sharedBILi4ELi4ELb1EffPKfPfEv13rocblas_fill_18rocblas_operation_17rocblas_diagonal_iiT3_T4_lilT5_lili,"axG",@progbits,_ZL38rocblas_trsm_small_left_device_sharedBILi4ELi4ELb1EffPKfPfEv13rocblas_fill_18rocblas_operation_17rocblas_diagonal_iiT3_T4_lilT5_lili,comdat
	.globl	_ZL38rocblas_trsm_small_left_device_sharedBILi4ELi4ELb1EffPKfPfEv13rocblas_fill_18rocblas_operation_17rocblas_diagonal_iiT3_T4_lilT5_lili ; -- Begin function _ZL38rocblas_trsm_small_left_device_sharedBILi4ELi4ELb1EffPKfPfEv13rocblas_fill_18rocblas_operation_17rocblas_diagonal_iiT3_T4_lilT5_lili
	.p2align	8
	.type	_ZL38rocblas_trsm_small_left_device_sharedBILi4ELi4ELb1EffPKfPfEv13rocblas_fill_18rocblas_operation_17rocblas_diagonal_iiT3_T4_lilT5_lili,@function
_ZL38rocblas_trsm_small_left_device_sharedBILi4ELi4ELb1EffPKfPfEv13rocblas_fill_18rocblas_operation_17rocblas_diagonal_iiT3_T4_lilT5_lili: ; @_ZL38rocblas_trsm_small_left_device_sharedBILi4ELi4ELb1EffPKfPfEv13rocblas_fill_18rocblas_operation_17rocblas_diagonal_iiT3_T4_lilT5_lili
; %bb.0:
	s_load_dwordx4 s[0:3], s[4:5], 0x4
	s_load_dword s25, s[4:5], 0x14
	s_load_dwordx4 s[8:11], s[4:5], 0x30
	s_load_dwordx2 s[16:17], s[4:5], 0x40
	s_mov_b32 s26, 0
	s_waitcnt lgkmcnt(0)
	s_min_i32 s24, s2, 4
	v_cmp_gt_i32_e32 vcc, s24, v0
	s_and_saveexec_b64 s[18:19], vcc
	s_cbranch_execz .LBB3_15
; %bb.1:
	s_load_dword s20, s[4:5], 0x28
	s_load_dwordx4 s[12:15], s[4:5], 0x18
	s_cmp_gt_u32 s24, 1
	s_cselect_b64 s[22:23], -1, 0
	s_mov_b32 s21, 1
	s_waitcnt lgkmcnt(0)
	s_cmp_eq_u32 s20, 1
	s_cselect_b64 s[28:29], -1, 0
	s_and_b64 s[28:29], s[22:23], s[28:29]
	s_mov_b64 s[22:23], -1
	s_and_b64 vcc, exec, s[28:29]
	s_cbranch_vccz .LBB3_9
; %bb.2:
	s_add_i32 s22, s24, -2
	s_lshr_b32 s23, s22, 1
	s_add_i32 s23, s23, 1
	s_cmp_lt_u32 s22, 14
	s_mov_b32 s22, s26
	s_cbranch_scc1 .LBB3_5
; %bb.3:
	s_mul_i32 s21, s9, s7
	s_mul_hi_u32 s22, s8, s7
	s_add_i32 s29, s22, s21
	s_mul_i32 s28, s8, s7
	s_and_b32 s27, s23, -8
	s_lshl_b64 s[28:29], s[28:29], 2
	s_lshl_b64 s[30:31], s[14:15], 2
	s_add_u32 s21, s28, s30
	s_addc_u32 s22, s29, s31
	s_add_u32 s21, s12, s21
	v_lshlrev_b32_e32 v1, 2, v0
	s_addc_u32 s22, s13, s22
	v_mov_b32_e32 v2, s22
	v_add_co_u32_e32 v1, vcc, s21, v1
	v_addc_co_u32_e32 v3, vcc, 0, v2, vcc
	v_add_co_u32_e32 v2, vcc, 56, v1
	v_addc_co_u32_e32 v3, vcc, 0, v3, vcc
	s_mov_b32 s21, 1
	s_mov_b32 s22, 0
.LBB3_4:                                ; =>This Inner Loop Header: Depth=1
	global_load_dwordx4 v[4:7], v[2:3], off offset:-56
	global_load_dwordx4 v[8:11], v[2:3], off offset:-40
	;; [unrolled: 1-line block ×4, first 2 shown]
	s_lshl_b32 s28, s26, 2
	s_lshl_b32 s29, s21, 2
	s_add_i32 s22, s22, 16
	s_add_i32 s21, s21, 16
	;; [unrolled: 1-line block ×3, first 2 shown]
	s_add_i32 s27, s27, -8
	v_add_co_u32_e32 v2, vcc, 64, v2
	v_or_b32_e32 v1, s29, v0
	v_or_b32_e32 v20, s28, v0
	s_add_i32 s30, s28, 8
	s_add_i32 s31, s29, 8
	;; [unrolled: 1-line block ×14, first 2 shown]
	v_addc_co_u32_e32 v3, vcc, 0, v3, vcc
	v_lshlrev_b32_e32 v20, 2, v20
	v_or_b32_e32 v21, s31, v0
	v_or_b32_e32 v22, s30, v0
	;; [unrolled: 1-line block ×14, first 2 shown]
	s_cmp_lg_u32 s27, 0
	v_lshlrev_b32_e32 v1, 2, v1
	v_lshlrev_b32_e32 v22, 2, v22
	;; [unrolled: 1-line block ×15, first 2 shown]
	s_waitcnt vmcnt(3)
	ds_write_b32 v20, v4
	ds_write_b32 v1, v5
	ds_write_b32 v22, v6
	ds_write_b32 v21, v7
	s_waitcnt vmcnt(2)
	ds_write_b32 v24, v8
	ds_write_b32 v23, v9
	ds_write_b32 v26, v10
	ds_write_b32 v25, v11
	;; [unrolled: 5-line block ×4, first 2 shown]
	s_cbranch_scc1 .LBB3_4
.LBB3_5:
	s_and_b32 s27, s23, 7
	s_cmp_eq_u32 s27, 0
	s_mov_b32 s23, 0
	s_cbranch_scc1 .LBB3_8
; %bb.6:
	s_mul_i32 s28, s9, s7
	s_mul_hi_u32 s29, s8, s7
	s_add_i32 s29, s29, s28
	s_mul_i32 s28, s8, s7
	s_lshl_b64 s[28:29], s[28:29], 2
	s_lshl_b64 s[30:31], s[14:15], 2
	s_add_u32 s28, s28, s30
	s_addc_u32 s29, s29, s31
	s_lshl_b64 s[22:23], s[22:23], 2
	s_add_u32 s22, s12, s22
	s_addc_u32 s23, s13, s23
	s_add_u32 s22, s22, s28
	v_lshlrev_b32_e32 v1, 2, v0
	s_addc_u32 s23, s23, s29
	v_mov_b32_e32 v3, s23
	v_add_co_u32_e32 v2, vcc, s22, v1
	v_addc_co_u32_e32 v3, vcc, 0, v3, vcc
	s_lshl_b32 s22, s27, 3
.LBB3_7:                                ; =>This Inner Loop Header: Depth=1
	global_load_dwordx2 v[4:5], v[2:3], off
	v_lshl_or_b32 v6, s26, 4, v1
	v_lshl_or_b32 v7, s21, 4, v1
	s_add_i32 s21, s21, 2
	s_add_i32 s26, s26, 2
	v_add_co_u32_e32 v2, vcc, 8, v2
	s_add_i32 s22, s22, -8
	v_addc_co_u32_e32 v3, vcc, 0, v3, vcc
	s_cmp_lg_u32 s22, 0
	s_waitcnt vmcnt(0)
	ds_write_b32 v6, v4
	ds_write_b32 v7, v5
	s_cbranch_scc1 .LBB3_7
.LBB3_8:
	s_and_b32 s26, s24, -2
	s_cmp_lg_u32 s24, s26
	s_cselect_b64 s[22:23], -1, 0
.LBB3_9:
	s_and_b64 vcc, exec, s[22:23]
	s_cbranch_vccz .LBB3_12
; %bb.10:
	s_ashr_i32 s21, s20, 31
	s_mul_i32 s9, s9, s7
	s_mul_hi_u32 s22, s8, s7
	s_add_i32 s9, s22, s9
	s_mul_hi_u32 s22, s20, s26
	s_mul_i32 s23, s21, s26
	s_mul_i32 s8, s8, s7
	s_add_i32 s23, s22, s23
	s_mul_i32 s22, s20, s26
	s_lshl_b64 s[8:9], s[8:9], 2
	s_lshl_b64 s[22:23], s[22:23], 2
	s_add_u32 s22, s8, s22
	s_addc_u32 s23, s9, s23
	s_lshl_b64 s[8:9], s[14:15], 2
	s_add_u32 s8, s22, s8
	s_addc_u32 s9, s23, s9
	s_add_u32 s8, s12, s8
	v_lshlrev_b32_e32 v1, 2, v0
	s_addc_u32 s9, s13, s9
	v_mov_b32_e32 v3, s9
	v_add_co_u32_e32 v2, vcc, s8, v1
	s_lshl_b64 s[8:9], s[20:21], 2
	v_addc_co_u32_e32 v3, vcc, 0, v3, vcc
	v_lshl_or_b32 v1, s26, 4, v1
	s_sub_i32 s12, s24, s26
	v_mov_b32_e32 v4, s9
.LBB3_11:                               ; =>This Inner Loop Header: Depth=1
	global_load_dword v5, v[2:3], off
	v_add_co_u32_e32 v2, vcc, s8, v2
	s_add_i32 s12, s12, -1
	v_addc_co_u32_e32 v3, vcc, v3, v4, vcc
	s_cmp_eq_u32 s12, 0
	s_waitcnt vmcnt(0)
	ds_write_b32 v1, v5
	v_add_u32_e32 v1, 16, v1
	s_cbranch_scc0 .LBB3_11
.LBB3_12:
	v_mul_u32_u24_e32 v1, 5, v0
	s_cmpk_lg_i32 s1, 0x84
	v_lshlrev_b32_e32 v1, 2, v1
	v_mov_b32_e32 v2, 1.0
	s_cbranch_scc0 .LBB3_14
; %bb.13:
	ds_read_b32 v2, v1
	s_waitcnt lgkmcnt(0)
	v_div_scale_f32 v3, s[8:9], v2, v2, 1.0
	v_rcp_f32_e32 v4, v3
	v_div_scale_f32 v5, vcc, 1.0, v2, 1.0
	v_fma_f32 v6, -v3, v4, 1.0
	v_fmac_f32_e32 v4, v6, v4
	v_mul_f32_e32 v6, v5, v4
	v_fma_f32 v7, -v3, v6, v5
	v_fmac_f32_e32 v6, v7, v4
	v_fma_f32 v3, -v3, v6, v5
	v_div_fmas_f32 v3, v3, v4, v6
	v_div_fixup_f32 v2, v3, v2, 1.0
.LBB3_14:
	ds_write_b32 v1, v2
.LBB3_15:
	s_or_b64 exec, exec, s[18:19]
	s_load_dword s1, s[4:5], 0x60
	s_load_dwordx2 s[12:13], s[4:5], 0x50
	s_load_dword s8, s[4:5], 0x48
	v_lshl_or_b32 v5, v0, 2, 64
	s_waitcnt lgkmcnt(0)
	s_mul_i32 s5, s7, s13
	s_mul_hi_u32 s9, s7, s12
	s_mul_i32 s4, s7, s12
	s_add_i32 s5, s9, s5
	s_lshl_b64 s[4:5], s[4:5], 2
	s_add_u32 s7, s10, s4
	s_addc_u32 s9, s11, s5
	s_lshl_b64 s[4:5], s[16:17], 2
	s_add_u32 s7, s7, s4
	s_addc_u32 s9, s9, s5
	s_lshl_b32 s4, s6, 2
	s_add_i32 s1, s1, -1
	s_sub_i32 s3, s3, s4
	s_cmp_ge_u32 s6, s1
	s_mul_hi_i32 s5, s8, s4
	s_mul_i32 s4, s8, s4
	s_cselect_b32 s1, s3, 4
	s_lshl_b64 s[4:5], s[4:5], 2
	s_add_u32 s3, s7, s4
	s_addc_u32 s9, s9, s5
	s_cmp_gt_i32 s2, 0
	v_cmp_gt_i32_e32 vcc, s1, v0
	s_cselect_b64 s[4:5], -1, 0
	s_and_b64 s[4:5], vcc, s[4:5]
	s_and_saveexec_b64 s[6:7], s[4:5]
	s_cbranch_execz .LBB3_18
; %bb.16:
	v_mad_i64_i32 v[2:3], s[10:11], s8, v0, 0
	v_lshlrev_b64 v[2:3], 2, v[2:3]
	v_mov_b32_e32 v1, s9
	v_add_co_u32_e32 v2, vcc, s3, v2
	v_addc_co_u32_e32 v3, vcc, v1, v3, vcc
	v_lshl_or_b32 v1, v0, 2, 64
	s_mov_b32 s1, s24
.LBB3_17:                               ; =>This Inner Loop Header: Depth=1
	global_load_dword v4, v[2:3], off
	s_add_i32 s1, s1, -1
	v_add_co_u32_e32 v2, vcc, 4, v2
	v_addc_co_u32_e32 v3, vcc, 0, v3, vcc
	s_cmp_lg_u32 s1, 0
	s_waitcnt vmcnt(0)
	v_mul_f32_e32 v4, s25, v4
	ds_write_b32 v1, v4
	v_add_u32_e32 v1, 16, v1
	s_cbranch_scc1 .LBB3_17
.LBB3_18:
	s_or_b64 exec, exec, s[6:7]
	s_cmpk_eq_i32 s0, 0x6f
	s_mov_b64 s[0:1], -1
	s_waitcnt lgkmcnt(0)
	; wave barrier
	s_waitcnt lgkmcnt(0)
	s_cbranch_scc1 .LBB3_35
; %bb.19:
	s_add_i32 s0, s24, -1
	s_cmp_gt_i32 s2, 3
	s_cbranch_scc0 .LBB3_21
; %bb.20:
	s_lshl_b32 s1, s24, 2
	s_add_i32 s6, s1, -8
	v_or_b32_e32 v2, s6, v0
	s_add_i32 s6, s1, -12
	v_lshlrev_b32_e32 v4, 2, v2
	v_or_b32_e32 v2, s6, v0
	s_add_i32 s1, s1, -16
	s_mul_i32 s7, s0, 20
	v_lshlrev_b32_e32 v1, 2, v0
	v_lshlrev_b32_e32 v10, 2, v2
	v_or_b32_e32 v2, s1, v0
	s_sub_i32 s10, s7, 20
	s_add_i32 s1, s1, s0
	v_lshl_or_b32 v1, s0, 4, v1
	v_lshlrev_b32_e32 v11, 2, v2
	v_mov_b32_e32 v2, s7
	v_mov_b32_e32 v3, s10
	s_sub_i32 s10, s7, 40
	s_lshl_b32 s1, s1, 2
	s_add_i32 s6, s24, s6
	v_mov_b32_e32 v6, s10
	v_mov_b32_e32 v7, s1
	ds_read_b32 v8, v1 offset:64
	ds_read_b32 v9, v4 offset:64
	;; [unrolled: 1-line block ×4, first 2 shown]
	ds_read_b32 v14, v2
	ds_read2_b32 v[2:3], v3 offset1:1
	ds_read_b32 v15, v6
	ds_read_b32 v16, v7
	s_lshl_b32 s6, s6, 2
	s_add_i32 s6, s6, -8
	s_waitcnt lgkmcnt(3)
	v_mul_f32_e32 v7, v8, v14
	ds_write_b32 v1, v7 offset:64
	s_waitcnt lgkmcnt(3)
	v_fma_f32 v1, -v7, v3, v9
	v_mov_b32_e32 v3, s6
	v_mul_f32_e32 v6, v1, v2
	ds_read2_b32 v[2:3], v3 offset1:1
	s_add_i32 s1, s1, -8
	v_mov_b32_e32 v1, s1
	s_sub_i32 s1, s7, 60
	v_mov_b32_e32 v14, s1
	ds_read2_b32 v[8:9], v1 offset1:1
	ds_read_b32 v1, v14
	s_waitcnt lgkmcnt(2)
	v_pk_mul_f32 v[2:3], v[6:7], v[2:3]
	v_sub_f32_e32 v3, v12, v3
	v_sub_f32_e32 v2, v3, v2
	v_mul_f32_e32 v2, v2, v15
	v_mov_b32_e32 v3, v6
	v_fma_f32 v7, -v7, v16, v13
	ds_write_b32 v10, v2 offset:64
	s_waitcnt lgkmcnt(2)
	v_pk_mul_f32 v[2:3], v[2:3], v[8:9]
	v_sub_f32_e32 v3, v7, v3
	v_sub_f32_e32 v2, v3, v2
	s_waitcnt lgkmcnt(1)
	v_mul_f32_e32 v1, v2, v1
	s_add_i32 s6, s24, -5
	ds_write_b32 v4, v6 offset:64
	ds_write_b32 v11, v1 offset:64
	s_cmp_lt_i32 s6, 0
	s_cbranch_scc0 .LBB3_22
	s_branch .LBB3_34
.LBB3_21:
	s_mov_b32 s6, s0
	s_cmp_lt_i32 s6, 0
	s_cbranch_scc1 .LBB3_34
.LBB3_22:
	s_bitcmp1_b32 s6, 0
	s_cselect_b64 s[10:11], -1, 0
	s_and_b64 vcc, exec, s[10:11]
	s_mov_b32 s1, s6
	s_cbranch_vccnz .LBB3_27
; %bb.23:
	v_lshlrev_b32_e32 v3, 2, v0
	v_lshl_or_b32 v1, s6, 4, v3
	ds_read_b32 v2, v1 offset:64
	s_cmp_le_i32 s0, s6
	s_cbranch_scc1 .LBB3_26
; %bb.24:
	s_lshl_b32 s1, s6, 4
	s_lshl_b32 s7, s24, 2
	s_add_i32 s1, s1, s7
	v_lshl_or_b32 v3, s24, 4, v3
	s_add_i32 s1, s1, -4
	v_add_u32_e32 v3, 48, v3
	s_mov_b32 s7, s0
.LBB3_25:                               ; =>This Inner Loop Header: Depth=1
	v_mov_b32_e32 v6, s1
	ds_read_b32 v4, v3
	ds_read_b32 v6, v6
	s_add_i32 s7, s7, -1
	s_add_i32 s1, s1, -4
	v_add_u32_e32 v3, -16, v3
	s_cmp_gt_i32 s7, s6
	s_waitcnt lgkmcnt(0)
	v_fma_f32 v2, -v4, v6, v2
	s_cbranch_scc1 .LBB3_25
.LBB3_26:
	s_mul_i32 s1, s6, 20
	v_mov_b32_e32 v3, s1
	ds_read_b32 v3, v3
	v_add_u32_e32 v1, 64, v1
	s_add_i32 s1, s6, -1
	s_waitcnt lgkmcnt(0)
	v_mul_f32_e32 v2, v2, v3
	ds_write_b32 v1, v2
.LBB3_27:
	s_cmp_eq_u32 s6, 0
	s_cbranch_scc1 .LBB3_34
; %bb.28:
	s_lshl_b32 s6, s1, 4
	s_lshl_b32 s7, s24, 2
	v_lshlrev_b32_e32 v1, 2, v0
	s_add_i32 s7, s6, s7
	v_lshl_or_b32 v2, s24, 4, v1
	s_add_i32 s6, s7, -4
	v_add_u32_e32 v3, 48, v2
	s_sub_i32 s7, s7, 20
	s_branch .LBB3_30
.LBB3_29:                               ;   in Loop: Header=BB3_30 Depth=1
	s_sub_i32 s10, s10, 20
	v_add_u32_e32 v4, 64, v6
	v_mov_b32_e32 v6, s10
	ds_read_b32 v6, v6
	s_add_i32 s10, s1, -2
	s_sub_i32 s6, s6, 32
	s_sub_i32 s7, s7, 32
	s_cmp_lt_i32 s1, 2
	s_waitcnt lgkmcnt(0)
	v_mul_f32_e32 v2, v2, v6
	s_mov_b32 s1, s10
	ds_write_b32 v4, v2
	s_cbranch_scc1 .LBB3_34
.LBB3_30:                               ; =>This Loop Header: Depth=1
                                        ;     Child Loop BB3_31 Depth 2
                                        ;     Child Loop BB3_33 Depth 2
	v_lshl_or_b32 v2, s1, 4, v1
	ds_read_b32 v4, v2 offset:64
	s_cmp_le_i32 s0, s1
	v_mov_b32_e32 v6, v3
	s_mov_b32 s10, s6
	s_mov_b32 s11, s0
	s_cbranch_scc1 .LBB3_32
.LBB3_31:                               ;   Parent Loop BB3_30 Depth=1
                                        ; =>  This Inner Loop Header: Depth=2
	v_mov_b32_e32 v8, s10
	ds_read_b32 v7, v6
	ds_read_b32 v8, v8
	s_add_i32 s11, s11, -1
	s_add_i32 s10, s10, -4
	v_add_u32_e32 v6, -16, v6
	s_cmp_gt_i32 s11, s1
	s_waitcnt lgkmcnt(0)
	v_fma_f32 v4, -v7, v8, v4
	s_cbranch_scc1 .LBB3_31
.LBB3_32:                               ;   in Loop: Header=BB3_30 Depth=1
	s_mul_i32 s10, s1, 20
	v_add_u32_e32 v7, 64, v2
	v_mov_b32_e32 v2, s10
	s_lshl_b32 s11, s1, 4
	ds_read_b32 v8, v2
	s_add_i32 s11, s11, -16
	v_lshl_or_b32 v6, v0, 2, s11
	ds_read_b32 v2, v6 offset:64
	s_cmp_le_i32 s24, s1
	s_waitcnt lgkmcnt(1)
	v_mul_f32_e32 v4, v4, v8
	ds_write_b32 v7, v4
	v_mov_b32_e32 v4, v3
	s_mov_b32 s11, s7
	s_mov_b32 s12, s24
	s_cbranch_scc1 .LBB3_29
.LBB3_33:                               ;   Parent Loop BB3_30 Depth=1
                                        ; =>  This Inner Loop Header: Depth=2
	v_mov_b32_e32 v8, s11
	ds_read_b32 v7, v4
	ds_read_b32 v8, v8
	s_add_i32 s12, s12, -1
	s_add_i32 s11, s11, -4
	v_add_u32_e32 v4, -16, v4
	s_cmp_gt_i32 s12, s1
	s_waitcnt lgkmcnt(0)
	v_fma_f32 v2, -v7, v8, v2
	s_cbranch_scc1 .LBB3_33
	s_branch .LBB3_29
.LBB3_34:
	s_mov_b64 s[0:1], 0
.LBB3_35:
	s_and_b64 vcc, exec, s[0:1]
	s_cbranch_vccz .LBB3_44
; %bb.36:
	s_cmp_gt_i32 s2, 3
	s_cbranch_scc0 .LBB3_38
; %bb.37:
	v_lshlrev_b32_e32 v1, 2, v0
	ds_read2_b32 v[2:3], v1 offset0:16 offset1:20
	ds_read2_b32 v[10:11], v1 offset0:24 offset1:28
	v_mov_b32_e32 v4, 0
	ds_read_b128 v[6:9], v4
	ds_read2_b32 v[12:13], v4 offset0:5 offset1:6
	ds_read_b32 v16, v4 offset:28
	ds_read_b64 v[14:15], v4 offset:40
	ds_read_b32 v4, v4 offset:60
	s_mov_b32 s0, 4
	s_waitcnt lgkmcnt(4)
	v_mul_f32_e32 v2, v2, v6
	v_fma_f32 v3, -v2, v7, v3
	s_waitcnt lgkmcnt(3)
	v_mul_f32_e32 v3, v3, v12
	v_fma_f32 v6, -v2, v8, v10
	ds_write2_b32 v1, v2, v3 offset0:16 offset1:20
	v_fma_f32 v6, -v3, v13, v6
	v_fma_f32 v2, -v2, v9, v11
	s_waitcnt lgkmcnt(2)
	v_mul_f32_e32 v6, v6, v14
	v_fma_f32 v2, -v3, v16, v2
	v_fma_f32 v2, -v6, v15, v2
	s_waitcnt lgkmcnt(1)
	v_mul_f32_e32 v2, v2, v4
	ds_write2_b32 v1, v6, v2 offset0:24 offset1:28
	s_cmp_ge_i32 s0, s24
	s_cbranch_scc0 .LBB3_39
	s_branch .LBB3_44
.LBB3_38:
	s_mov_b32 s0, 0
	s_cmp_ge_i32 s0, s24
	s_cbranch_scc1 .LBB3_44
.LBB3_39:
	s_lshl_b32 s1, s0, 2
	v_lshl_or_b32 v1, v0, 2, 64
	v_lshlrev_b32_e32 v3, 2, v0
	s_branch .LBB3_41
.LBB3_40:                               ;   in Loop: Header=BB3_41 Depth=1
	s_mul_i32 s2, s0, 20
	v_mov_b32_e32 v6, s2
	ds_read_b32 v6, v6
	s_add_i32 s0, s0, 1
	s_add_i32 s1, s1, 4
	v_add_u32_e32 v4, 64, v4
	s_cmp_ge_i32 s0, s24
	s_waitcnt lgkmcnt(0)
	v_mul_f32_e32 v2, v2, v6
	ds_write_b32 v4, v2
	s_cbranch_scc1 .LBB3_44
.LBB3_41:                               ; =>This Loop Header: Depth=1
                                        ;     Child Loop BB3_43 Depth 2
	v_lshl_or_b32 v4, s0, 4, v3
	ds_read_b32 v2, v4 offset:64
	s_cmp_eq_u32 s0, 0
	s_cbranch_scc1 .LBB3_40
; %bb.42:                               ;   in Loop: Header=BB3_41 Depth=1
	s_mov_b32 s2, 0
	v_mov_b32_e32 v6, v1
	s_mov_b32 s6, s1
.LBB3_43:                               ;   Parent Loop BB3_41 Depth=1
                                        ; =>  This Inner Loop Header: Depth=2
	v_mov_b32_e32 v8, s6
	ds_read_b32 v7, v6
	ds_read_b32 v8, v8
	s_add_i32 s2, s2, 1
	s_add_i32 s6, s6, 16
	v_add_u32_e32 v6, 16, v6
	s_cmp_lt_u32 s2, s0
	s_waitcnt lgkmcnt(0)
	v_fma_f32 v2, -v7, v8, v2
	s_cbranch_scc1 .LBB3_43
	s_branch .LBB3_40
.LBB3_44:
	s_waitcnt lgkmcnt(0)
	; wave barrier
	s_waitcnt lgkmcnt(0)
	s_and_saveexec_b64 s[0:1], s[4:5]
	s_cbranch_execz .LBB3_47
; %bb.45:
	v_mad_i64_i32 v[0:1], s[0:1], s8, v0, 0
	v_lshlrev_b64 v[0:1], 2, v[0:1]
	v_mov_b32_e32 v2, s9
	v_add_co_u32_e32 v0, vcc, s3, v0
	v_addc_co_u32_e32 v1, vcc, v2, v1, vcc
.LBB3_46:                               ; =>This Inner Loop Header: Depth=1
	ds_read_b32 v2, v5
	s_add_i32 s24, s24, -1
	v_add_u32_e32 v5, 16, v5
	s_cmp_lg_u32 s24, 0
	s_waitcnt lgkmcnt(0)
	global_store_dword v[0:1], v2, off
	v_add_co_u32_e32 v0, vcc, 4, v0
	v_addc_co_u32_e32 v1, vcc, 0, v1, vcc
	s_cbranch_scc1 .LBB3_46
.LBB3_47:
	s_endpgm
	.section	.rodata,"a",@progbits
	.p2align	6, 0x0
	.amdhsa_kernel _ZL38rocblas_trsm_small_left_device_sharedBILi4ELi4ELb1EffPKfPfEv13rocblas_fill_18rocblas_operation_17rocblas_diagonal_iiT3_T4_lilT5_lili
		.amdhsa_group_segment_fixed_size 128
		.amdhsa_private_segment_fixed_size 0
		.amdhsa_kernarg_size 352
		.amdhsa_user_sgpr_count 6
		.amdhsa_user_sgpr_private_segment_buffer 1
		.amdhsa_user_sgpr_dispatch_ptr 0
		.amdhsa_user_sgpr_queue_ptr 0
		.amdhsa_user_sgpr_kernarg_segment_ptr 1
		.amdhsa_user_sgpr_dispatch_id 0
		.amdhsa_user_sgpr_flat_scratch_init 0
		.amdhsa_user_sgpr_kernarg_preload_length 0
		.amdhsa_user_sgpr_kernarg_preload_offset 0
		.amdhsa_user_sgpr_private_segment_size 0
		.amdhsa_uses_dynamic_stack 0
		.amdhsa_system_sgpr_private_segment_wavefront_offset 0
		.amdhsa_system_sgpr_workgroup_id_x 1
		.amdhsa_system_sgpr_workgroup_id_y 0
		.amdhsa_system_sgpr_workgroup_id_z 1
		.amdhsa_system_sgpr_workgroup_info 0
		.amdhsa_system_vgpr_workitem_id 0
		.amdhsa_next_free_vgpr 35
		.amdhsa_next_free_sgpr 43
		.amdhsa_accum_offset 36
		.amdhsa_reserve_vcc 1
		.amdhsa_reserve_flat_scratch 0
		.amdhsa_float_round_mode_32 0
		.amdhsa_float_round_mode_16_64 0
		.amdhsa_float_denorm_mode_32 3
		.amdhsa_float_denorm_mode_16_64 3
		.amdhsa_dx10_clamp 1
		.amdhsa_ieee_mode 1
		.amdhsa_fp16_overflow 0
		.amdhsa_tg_split 0
		.amdhsa_exception_fp_ieee_invalid_op 0
		.amdhsa_exception_fp_denorm_src 0
		.amdhsa_exception_fp_ieee_div_zero 0
		.amdhsa_exception_fp_ieee_overflow 0
		.amdhsa_exception_fp_ieee_underflow 0
		.amdhsa_exception_fp_ieee_inexact 0
		.amdhsa_exception_int_div_zero 0
	.end_amdhsa_kernel
	.section	.text._ZL38rocblas_trsm_small_left_device_sharedBILi4ELi4ELb1EffPKfPfEv13rocblas_fill_18rocblas_operation_17rocblas_diagonal_iiT3_T4_lilT5_lili,"axG",@progbits,_ZL38rocblas_trsm_small_left_device_sharedBILi4ELi4ELb1EffPKfPfEv13rocblas_fill_18rocblas_operation_17rocblas_diagonal_iiT3_T4_lilT5_lili,comdat
.Lfunc_end3:
	.size	_ZL38rocblas_trsm_small_left_device_sharedBILi4ELi4ELb1EffPKfPfEv13rocblas_fill_18rocblas_operation_17rocblas_diagonal_iiT3_T4_lilT5_lili, .Lfunc_end3-_ZL38rocblas_trsm_small_left_device_sharedBILi4ELi4ELb1EffPKfPfEv13rocblas_fill_18rocblas_operation_17rocblas_diagonal_iiT3_T4_lilT5_lili
                                        ; -- End function
	.section	.AMDGPU.csdata,"",@progbits
; Kernel info:
; codeLenInByte = 2648
; NumSgprs: 47
; NumVgprs: 35
; NumAgprs: 0
; TotalNumVgprs: 35
; ScratchSize: 0
; MemoryBound: 0
; FloatMode: 240
; IeeeMode: 1
; LDSByteSize: 128 bytes/workgroup (compile time only)
; SGPRBlocks: 5
; VGPRBlocks: 4
; NumSGPRsForWavesPerEU: 47
; NumVGPRsForWavesPerEU: 35
; AccumOffset: 36
; Occupancy: 8
; WaveLimiterHint : 0
; COMPUTE_PGM_RSRC2:SCRATCH_EN: 0
; COMPUTE_PGM_RSRC2:USER_SGPR: 6
; COMPUTE_PGM_RSRC2:TRAP_HANDLER: 0
; COMPUTE_PGM_RSRC2:TGID_X_EN: 1
; COMPUTE_PGM_RSRC2:TGID_Y_EN: 0
; COMPUTE_PGM_RSRC2:TGID_Z_EN: 1
; COMPUTE_PGM_RSRC2:TIDIG_COMP_CNT: 0
; COMPUTE_PGM_RSRC3_GFX90A:ACCUM_OFFSET: 8
; COMPUTE_PGM_RSRC3_GFX90A:TG_SPLIT: 0
	.section	.text._ZL30rocblas_trsm_small_left_deviceILi4ELi4ELb1EffPKfPfEv13rocblas_fill_18rocblas_operation_17rocblas_diagonal_iiT3_T4_lilT5_lili,"axG",@progbits,_ZL30rocblas_trsm_small_left_deviceILi4ELi4ELb1EffPKfPfEv13rocblas_fill_18rocblas_operation_17rocblas_diagonal_iiT3_T4_lilT5_lili,comdat
	.globl	_ZL30rocblas_trsm_small_left_deviceILi4ELi4ELb1EffPKfPfEv13rocblas_fill_18rocblas_operation_17rocblas_diagonal_iiT3_T4_lilT5_lili ; -- Begin function _ZL30rocblas_trsm_small_left_deviceILi4ELi4ELb1EffPKfPfEv13rocblas_fill_18rocblas_operation_17rocblas_diagonal_iiT3_T4_lilT5_lili
	.p2align	8
	.type	_ZL30rocblas_trsm_small_left_deviceILi4ELi4ELb1EffPKfPfEv13rocblas_fill_18rocblas_operation_17rocblas_diagonal_iiT3_T4_lilT5_lili,@function
_ZL30rocblas_trsm_small_left_deviceILi4ELi4ELb1EffPKfPfEv13rocblas_fill_18rocblas_operation_17rocblas_diagonal_iiT3_T4_lilT5_lili: ; @_ZL30rocblas_trsm_small_left_deviceILi4ELi4ELb1EffPKfPfEv13rocblas_fill_18rocblas_operation_17rocblas_diagonal_iiT3_T4_lilT5_lili
; %bb.0:
	s_load_dwordx4 s[0:3], s[4:5], 0x4
	s_load_dword s26, s[4:5], 0x14
	s_load_dwordx4 s[8:11], s[4:5], 0x30
	s_load_dwordx2 s[18:19], s[4:5], 0x40
	s_mov_b32 s27, 0
	s_waitcnt lgkmcnt(0)
	s_min_i32 s16, s2, 4
	v_cmp_gt_i32_e32 vcc, s16, v0
	s_and_saveexec_b64 s[20:21], vcc
	s_cbranch_execz .LBB4_15
; %bb.1:
	s_load_dword s22, s[4:5], 0x28
	s_load_dwordx4 s[12:15], s[4:5], 0x18
	s_cmp_gt_u32 s16, 1
	s_cselect_b64 s[24:25], -1, 0
	s_mov_b32 s17, 1
	s_waitcnt lgkmcnt(0)
	s_cmp_eq_u32 s22, 1
	s_cselect_b64 s[28:29], -1, 0
	s_and_b64 s[28:29], s[24:25], s[28:29]
	s_mov_b64 s[24:25], -1
	s_and_b64 vcc, exec, s[28:29]
	s_cbranch_vccz .LBB4_9
; %bb.2:
	s_add_i32 s24, s16, -2
	s_lshr_b32 s25, s24, 1
	s_add_i32 s25, s25, 1
	s_mov_b32 s23, 0
	s_cmp_lt_u32 s24, 14
	s_mov_b32 s24, s23
	s_cbranch_scc1 .LBB4_5
; %bb.3:
	s_mul_i32 s17, s9, s7
	s_mul_hi_u32 s23, s8, s7
	s_add_i32 s29, s23, s17
	s_mul_i32 s28, s8, s7
	s_and_b32 s27, s25, -8
	s_lshl_b64 s[28:29], s[28:29], 2
	s_lshl_b64 s[30:31], s[14:15], 2
	s_add_u32 s17, s28, s30
	s_addc_u32 s23, s29, s31
	s_add_u32 s17, s12, s17
	v_lshlrev_b32_e32 v1, 2, v0
	s_addc_u32 s23, s13, s23
	v_mov_b32_e32 v2, s23
	v_add_co_u32_e32 v1, vcc, s17, v1
	v_addc_co_u32_e32 v3, vcc, 0, v2, vcc
	v_add_co_u32_e32 v2, vcc, 56, v1
	v_addc_co_u32_e32 v3, vcc, 0, v3, vcc
	s_mov_b32 s17, 1
	s_mov_b32 s24, 0
	;; [unrolled: 1-line block ×3, first 2 shown]
.LBB4_4:                                ; =>This Inner Loop Header: Depth=1
	global_load_dwordx4 v[4:7], v[2:3], off offset:-56
	global_load_dwordx4 v[8:11], v[2:3], off offset:-40
	;; [unrolled: 1-line block ×4, first 2 shown]
	s_lshl_b32 s28, s23, 2
	s_lshl_b32 s29, s17, 2
	s_add_i32 s24, s24, 16
	s_add_i32 s17, s17, 16
	s_add_i32 s23, s23, 16
	s_add_i32 s27, s27, -8
	v_add_co_u32_e32 v2, vcc, 64, v2
	v_or_b32_e32 v1, s29, v0
	v_or_b32_e32 v20, s28, v0
	s_add_i32 s30, s28, 8
	s_add_i32 s31, s29, 8
	;; [unrolled: 1-line block ×14, first 2 shown]
	v_addc_co_u32_e32 v3, vcc, 0, v3, vcc
	v_lshlrev_b32_e32 v20, 2, v20
	v_or_b32_e32 v21, s31, v0
	v_or_b32_e32 v22, s30, v0
	;; [unrolled: 1-line block ×14, first 2 shown]
	s_cmp_lg_u32 s27, 0
	v_lshlrev_b32_e32 v1, 2, v1
	v_lshlrev_b32_e32 v22, 2, v22
	;; [unrolled: 1-line block ×15, first 2 shown]
	s_waitcnt vmcnt(3)
	ds_write_b32 v20, v4
	ds_write_b32 v1, v5
	ds_write_b32 v22, v6
	ds_write_b32 v21, v7
	s_waitcnt vmcnt(2)
	ds_write_b32 v24, v8
	ds_write_b32 v23, v9
	ds_write_b32 v26, v10
	ds_write_b32 v25, v11
	;; [unrolled: 5-line block ×4, first 2 shown]
	s_cbranch_scc1 .LBB4_4
.LBB4_5:
	s_and_b32 s27, s25, 7
	s_cmp_eq_u32 s27, 0
	s_mov_b32 s25, 0
	s_cbranch_scc1 .LBB4_8
; %bb.6:
	s_mul_i32 s28, s9, s7
	s_mul_hi_u32 s29, s8, s7
	s_add_i32 s29, s29, s28
	s_mul_i32 s28, s8, s7
	s_lshl_b64 s[28:29], s[28:29], 2
	s_lshl_b64 s[30:31], s[14:15], 2
	s_add_u32 s28, s28, s30
	s_addc_u32 s29, s29, s31
	s_lshl_b64 s[24:25], s[24:25], 2
	s_add_u32 s24, s12, s24
	s_addc_u32 s25, s13, s25
	s_add_u32 s24, s24, s28
	v_lshlrev_b32_e32 v1, 2, v0
	s_addc_u32 s25, s25, s29
	v_mov_b32_e32 v3, s25
	v_add_co_u32_e32 v2, vcc, s24, v1
	v_addc_co_u32_e32 v3, vcc, 0, v3, vcc
	s_lshl_b32 s24, s27, 3
.LBB4_7:                                ; =>This Inner Loop Header: Depth=1
	global_load_dwordx2 v[4:5], v[2:3], off
	v_lshl_or_b32 v6, s23, 4, v1
	v_lshl_or_b32 v7, s17, 4, v1
	s_add_i32 s17, s17, 2
	s_add_i32 s23, s23, 2
	v_add_co_u32_e32 v2, vcc, 8, v2
	s_add_i32 s24, s24, -8
	v_addc_co_u32_e32 v3, vcc, 0, v3, vcc
	s_cmp_lg_u32 s24, 0
	s_waitcnt vmcnt(0)
	ds_write_b32 v6, v4
	ds_write_b32 v7, v5
	s_cbranch_scc1 .LBB4_7
.LBB4_8:
	s_and_b32 s27, s16, -2
	s_cmp_lg_u32 s16, s27
	s_cselect_b64 s[24:25], -1, 0
.LBB4_9:
	s_and_b64 vcc, exec, s[24:25]
	s_cbranch_vccz .LBB4_12
; %bb.10:
	s_ashr_i32 s23, s22, 31
	s_mul_i32 s9, s9, s7
	s_mul_hi_u32 s17, s8, s7
	s_add_i32 s9, s17, s9
	s_mul_hi_u32 s17, s22, s27
	s_mul_i32 s24, s23, s27
	s_mul_i32 s8, s8, s7
	s_add_i32 s25, s17, s24
	s_mul_i32 s24, s22, s27
	s_lshl_b64 s[8:9], s[8:9], 2
	s_lshl_b64 s[24:25], s[24:25], 2
	s_add_u32 s17, s8, s24
	s_addc_u32 s24, s9, s25
	s_lshl_b64 s[8:9], s[14:15], 2
	s_add_u32 s8, s17, s8
	s_addc_u32 s9, s24, s9
	s_add_u32 s8, s12, s8
	v_lshlrev_b32_e32 v1, 2, v0
	s_addc_u32 s9, s13, s9
	v_mov_b32_e32 v3, s9
	v_add_co_u32_e32 v2, vcc, s8, v1
	s_lshl_b64 s[8:9], s[22:23], 2
	v_addc_co_u32_e32 v3, vcc, 0, v3, vcc
	v_lshl_or_b32 v1, s27, 4, v1
	s_sub_i32 s12, s16, s27
	v_mov_b32_e32 v4, s9
.LBB4_11:                               ; =>This Inner Loop Header: Depth=1
	global_load_dword v5, v[2:3], off
	v_add_co_u32_e32 v2, vcc, s8, v2
	s_add_i32 s12, s12, -1
	v_addc_co_u32_e32 v3, vcc, v3, v4, vcc
	s_cmp_eq_u32 s12, 0
	s_waitcnt vmcnt(0)
	ds_write_b32 v1, v5
	v_add_u32_e32 v1, 16, v1
	s_cbranch_scc0 .LBB4_11
.LBB4_12:
	v_mul_u32_u24_e32 v1, 5, v0
	s_cmpk_lg_i32 s1, 0x84
	v_lshlrev_b32_e32 v1, 2, v1
	v_mov_b32_e32 v2, 1.0
	s_cbranch_scc0 .LBB4_14
; %bb.13:
	ds_read_b32 v2, v1
	s_waitcnt lgkmcnt(0)
	v_div_scale_f32 v3, s[8:9], v2, v2, 1.0
	v_rcp_f32_e32 v4, v3
	v_div_scale_f32 v5, vcc, 1.0, v2, 1.0
	v_fma_f32 v6, -v3, v4, 1.0
	v_fmac_f32_e32 v4, v6, v4
	v_mul_f32_e32 v6, v5, v4
	v_fma_f32 v7, -v3, v6, v5
	v_fmac_f32_e32 v6, v7, v4
	v_fma_f32 v3, -v3, v6, v5
	v_div_fmas_f32 v3, v3, v4, v6
	v_div_fixup_f32 v2, v3, v2, 1.0
.LBB4_14:
	ds_write_b32 v1, v2
.LBB4_15:
	s_or_b64 exec, exec, s[20:21]
	s_load_dword s1, s[4:5], 0x60
	s_waitcnt lgkmcnt(0)
	; wave barrier
	s_waitcnt lgkmcnt(0)
	s_add_i32 s8, s1, -1
	s_lshl_b32 s1, s6, 2
	s_sub_i32 s3, s3, s1
	s_cmp_ge_u32 s6, s8
	s_cselect_b32 s3, s3, 4
	v_cmp_gt_i32_e32 vcc, s3, v0
	s_and_saveexec_b64 s[8:9], vcc
	s_cbranch_execz .LBB4_46
; %bb.16:
	s_load_dwordx2 s[8:9], s[4:5], 0x50
	s_load_dword s3, s[4:5], 0x48
	v_add_u32_e32 v0, s1, v0
	s_waitcnt lgkmcnt(0)
	s_mul_i32 s5, s7, s9
	s_mul_hi_u32 s6, s7, s8
	s_mul_i32 s4, s7, s8
	s_add_i32 s5, s6, s5
	s_lshl_b64 s[6:7], s[4:5], 2
	s_add_u32 s4, s10, s6
	s_addc_u32 s5, s11, s7
	s_lshl_b64 s[8:9], s[18:19], 2
	s_add_u32 s12, s4, s8
	s_addc_u32 s13, s5, s9
	v_mad_i64_i32 v[0:1], s[4:5], s3, v0, 0
	v_lshlrev_b64 v[4:5], 2, v[0:1]
	v_mov_b32_e32 v0, s13
	v_add_co_u32_e32 v2, vcc, s12, v4
	v_addc_co_u32_e32 v3, vcc, v0, v5, vcc
	s_cmpk_eq_i32 s0, 0x6f
	s_mov_b64 s[0:1], -1
	s_cbranch_scc1 .LBB4_37
; %bb.17:
	s_add_i32 s0, s16, -1
	s_cmp_gt_i32 s2, 3
	s_cbranch_scc0 .LBB4_19
; %bb.18:
	s_ashr_i32 s17, s16, 31
	s_lshl_b64 s[4:5], s[16:17], 2
	v_mov_b32_e32 v1, s5
	v_add_co_u32_e32 v0, vcc, s4, v2
	v_addc_co_u32_e32 v1, vcc, v3, v1, vcc
	s_mov_b32 s17, 0
	global_load_dword v9, v[0:1], off offset:-4
	s_lshl_b64 s[4:5], s[16:17], 2
	v_mov_b32_e32 v7, s5
	v_add_co_u32_e32 v6, vcc, s4, v2
	v_addc_co_u32_e32 v7, vcc, v3, v7, vcc
	global_load_dwordx3 v[6:8], v[6:7], off offset:-16
	s_lshl_b32 s3, s16, 2
	s_mul_i32 s1, s0, 20
	s_add_i32 s4, s3, s16
	s_add_i32 s3, s3, s0
	v_mov_b32_e32 v10, s1
	s_sub_i32 s5, s1, 20
	s_sub_i32 s12, s1, 40
	;; [unrolled: 1-line block ×3, first 2 shown]
	s_lshl_b32 s4, s4, 2
	s_lshl_b32 s3, s3, 2
	v_mov_b32_e32 v16, s1
	s_sub_i32 s1, s4, 56
	s_sub_i32 s4, s3, 64
	s_addk_i32 s3, 0xffb8
	v_mov_b32_e32 v11, s5
	v_mov_b32_e32 v12, s12
	;; [unrolled: 1-line block ×5, first 2 shown]
	ds_read_b32 v17, v10
	ds_read2_b32 v[10:11], v11 offset1:1
	ds_read_b32 v18, v12
	ds_read_b32 v19, v13
	ds_read2_b32 v[12:13], v14 offset1:1
	ds_read2_b32 v[14:15], v15 offset1:1
	ds_read_b32 v16, v16
	s_add_i32 s3, s16, -5
	s_waitcnt vmcnt(1)
	v_mul_f32_e32 v9, s26, v9
	s_waitcnt lgkmcnt(6)
	v_mul_f32_e32 v9, v9, v17
	s_waitcnt lgkmcnt(5)
	;; [unrolled: 2-line block ×3, first 2 shown]
	v_mul_f32_e32 v17, v9, v19
	s_waitcnt vmcnt(0)
	v_fma_f32 v8, v8, s26, -v11
	v_mul_f32_e32 v8, v8, v10
	s_waitcnt lgkmcnt(2)
	v_pk_mul_f32 v[10:11], v[8:9], v[12:13]
	v_fma_f32 v7, v7, s26, -v11
	v_sub_f32_e32 v7, v7, v10
	v_mov_b32_e32 v13, v8
	v_mul_f32_e32 v12, v7, v18
	v_fma_f32 v6, v6, s26, -v17
	s_waitcnt lgkmcnt(1)
	v_pk_mul_f32 v[10:11], v[12:13], v[14:15]
	v_sub_f32_e32 v6, v6, v11
	v_sub_f32_e32 v6, v6, v10
	v_mov_b32_e32 v7, v12
	s_waitcnt lgkmcnt(0)
	v_mul_f32_e32 v6, v6, v16
	global_store_dwordx4 v[0:1], v[6:9], off offset:-16
	s_cmp_lt_i32 s3, 0
	s_cbranch_scc0 .LBB4_20
	s_branch .LBB4_36
.LBB4_19:
	s_mov_b32 s3, s0
	s_cmp_lt_i32 s3, 0
	s_cbranch_scc1 .LBB4_36
.LBB4_20:
	s_add_i32 s1, s3, 1
	s_and_b32 s12, s1, 3
	s_cmp_eq_u32 s12, 0
	s_mov_b32 s4, s3
	s_cbranch_scc1 .LBB4_25
; %bb.21:
	s_lshl_b32 s1, s3, 4
	s_lshl_b32 s4, s16, 2
	s_add_i32 s1, s1, s4
	s_add_i32 s13, s1, -4
	s_ashr_i32 s1, s0, 31
	s_lshl_b64 s[4:5], s[0:1], 2
	s_add_u32 s1, s10, s4
	s_addc_u32 s4, s11, s5
	s_add_u32 s1, s1, s8
	s_addc_u32 s4, s4, s9
	s_add_u32 s1, s1, s6
	s_addc_u32 s4, s4, s7
	v_mov_b32_e32 v0, s4
	v_add_co_u32_e32 v6, vcc, s1, v4
	s_mov_b32 s5, 0
	v_addc_co_u32_e32 v7, vcc, v0, v5, vcc
	s_mov_b32 s4, s3
	s_mov_b32 s1, s5
	s_branch .LBB4_23
.LBB4_22:                               ;   in Loop: Header=BB4_23 Depth=1
	s_mul_i32 s14, s4, 20
	v_mov_b32_e32 v1, s14
	ds_read_b32 v1, v1
	s_ashr_i32 s15, s4, 31
	s_mov_b32 s14, s4
	s_lshl_b64 s[14:15], s[14:15], 2
	v_mov_b32_e32 v8, s15
	s_waitcnt lgkmcnt(0)
	v_mul_f32_e32 v9, v0, v1
	v_add_co_u32_e32 v0, vcc, s14, v2
	s_add_i32 s4, s4, -1
	s_add_i32 s1, s1, 1
	s_add_i32 s13, s13, -16
	v_addc_co_u32_e32 v1, vcc, v3, v8, vcc
	s_cmp_lg_u32 s1, s12
	global_store_dword v[0:1], v9, off
	s_cbranch_scc0 .LBB4_25
.LBB4_23:                               ; =>This Loop Header: Depth=1
                                        ;     Child Loop BB4_24 Depth 2
	s_lshl_b64 s[14:15], s[4:5], 2
	v_mov_b32_e32 v1, s15
	v_add_co_u32_e32 v0, vcc, s14, v2
	v_addc_co_u32_e32 v1, vcc, v3, v1, vcc
	global_load_dword v0, v[0:1], off
	v_pk_mov_b32 v[8:9], v[6:7], v[6:7] op_sel:[0,1]
	s_mov_b32 s14, s13
	s_cmp_le_i32 s0, s4
	s_mov_b32 s15, s0
	s_waitcnt vmcnt(0)
	v_mul_f32_e32 v0, s26, v0
	s_cbranch_scc1 .LBB4_22
.LBB4_24:                               ;   Parent Loop BB4_23 Depth=1
                                        ; =>  This Inner Loop Header: Depth=2
	global_load_dword v1, v[8:9], off
	v_mov_b32_e32 v10, s14
	ds_read_b32 v10, v10
	s_add_i32 s15, s15, -1
	s_add_i32 s14, s14, -4
	v_add_co_u32_e32 v8, vcc, -4, v8
	v_addc_co_u32_e32 v9, vcc, -1, v9, vcc
	s_cmp_gt_i32 s15, s4
	s_waitcnt vmcnt(0) lgkmcnt(0)
	v_fma_f32 v0, -v1, v10, v0
	s_cbranch_scc1 .LBB4_24
	s_branch .LBB4_22
.LBB4_25:
	s_cmp_lt_u32 s3, 3
	s_cbranch_scc1 .LBB4_36
; %bb.26:
	s_lshl_b32 s1, s4, 4
	s_lshl_b32 s3, s16, 2
	s_add_i32 s13, s1, s3
	s_add_i32 s12, s13, -4
	s_add_u32 s1, s8, s6
	s_addc_u32 s3, s9, s7
	v_add_co_u32_e32 v1, vcc, s1, v4
	s_ashr_i32 s1, s0, 31
	s_lshl_b64 s[6:7], s[0:1], 2
	s_add_u32 s1, s10, s6
	v_mov_b32_e32 v0, s3
	s_addc_u32 s3, s11, s7
	v_addc_co_u32_e32 v0, vcc, v0, v5, vcc
	v_mov_b32_e32 v5, s3
	s_ashr_i32 s3, s2, 31
	v_add_co_u32_e32 v4, vcc, s1, v1
	s_sub_i32 s1, s13, 20
	v_cmp_lt_i64_e64 s[6:7], s[2:3], 4
	s_and_b64 s[6:7], s[6:7], exec
	s_cselect_b32 s7, s3, 0
	s_cselect_b32 s6, s2, 4
	s_lshl_b64 s[6:7], s[6:7], 2
	s_add_u32 s3, s10, s6
	v_addc_co_u32_e32 v5, vcc, v5, v0, vcc
	s_addc_u32 s6, s11, s7
	v_mov_b32_e32 v6, s6
	v_add_co_u32_e32 v1, vcc, s3, v1
	v_addc_co_u32_e32 v0, vcc, v6, v0, vcc
	v_add_co_u32_e32 v6, vcc, -4, v1
	s_mov_b32 s5, 0
	v_addc_co_u32_e32 v7, vcc, -1, v0, vcc
	s_sub_i32 s3, s13, 36
	s_sub_i32 s8, s13, 52
	s_branch .LBB4_28
.LBB4_27:                               ;   in Loop: Header=BB4_28 Depth=1
	s_sub_i32 s6, s7, 20
	v_mov_b32_e32 v1, s6
	ds_read_b32 v1, v1
	s_add_i32 s6, s4, -4
	s_sub_i32 s12, s12, 64
	s_sub_i32 s1, s1, 64
	;; [unrolled: 1-line block ×4, first 2 shown]
	s_waitcnt lgkmcnt(0)
	v_mul_f32_e32 v0, v0, v1
	s_cmp_lt_i32 s4, 4
	s_mov_b32 s4, s6
	global_store_dword v[8:9], v0, off offset:-12
	s_cbranch_scc1 .LBB4_36
.LBB4_28:                               ; =>This Loop Header: Depth=1
                                        ;     Child Loop BB4_29 Depth 2
                                        ;     Child Loop BB4_31 Depth 2
	;; [unrolled: 1-line block ×4, first 2 shown]
	s_lshl_b64 s[6:7], s[4:5], 2
	v_mov_b32_e32 v1, s7
	v_add_co_u32_e32 v0, vcc, s6, v2
	v_addc_co_u32_e32 v1, vcc, v3, v1, vcc
	global_load_dword v0, v[0:1], off
	v_pk_mov_b32 v[8:9], v[4:5], v[4:5] op_sel:[0,1]
	s_mov_b32 s6, s12
	s_cmp_le_i32 s0, s4
	s_mov_b32 s7, s0
	s_waitcnt vmcnt(0)
	v_mul_f32_e32 v0, s26, v0
	s_cbranch_scc1 .LBB4_30
.LBB4_29:                               ;   Parent Loop BB4_28 Depth=1
                                        ; =>  This Inner Loop Header: Depth=2
	global_load_dword v1, v[8:9], off
	v_mov_b32_e32 v10, s6
	ds_read_b32 v10, v10
	s_add_i32 s7, s7, -1
	s_add_i32 s6, s6, -4
	v_add_co_u32_e32 v8, vcc, -4, v8
	v_addc_co_u32_e32 v9, vcc, -1, v9, vcc
	s_cmp_gt_i32 s7, s4
	s_waitcnt vmcnt(0) lgkmcnt(0)
	v_fma_f32 v0, -v1, v10, v0
	s_cbranch_scc1 .LBB4_29
.LBB4_30:                               ;   in Loop: Header=BB4_28 Depth=1
	s_add_i32 s6, s4, -1
	s_mov_b32 s7, s5
	s_lshl_b64 s[6:7], s[6:7], 2
	v_mov_b32_e32 v1, s7
	v_add_co_u32_e32 v8, vcc, s6, v2
	v_addc_co_u32_e32 v9, vcc, v3, v1, vcc
	global_load_dword v1, v[8:9], off
	s_mul_i32 s9, s4, 20
	v_mov_b32_e32 v8, s9
	ds_read_b32 v12, v8
	s_ashr_i32 s11, s4, 31
	s_mov_b32 s10, s4
	s_lshl_b64 s[10:11], s[10:11], 2
	v_mov_b32_e32 v9, s11
	v_add_co_u32_e32 v8, vcc, s10, v2
	v_addc_co_u32_e32 v9, vcc, v3, v9, vcc
	s_waitcnt lgkmcnt(0)
	v_mul_f32_e32 v0, v0, v12
	v_pk_mov_b32 v[10:11], v[6:7], v[6:7] op_sel:[0,1]
	s_mov_b32 s6, s1
	s_cmp_le_i32 s16, s4
	global_store_dword v[8:9], v0, off
	s_mov_b32 s7, s16
	s_waitcnt vmcnt(1)
	v_mul_f32_e32 v0, s26, v1
	s_cbranch_scc1 .LBB4_32
.LBB4_31:                               ;   Parent Loop BB4_28 Depth=1
                                        ; =>  This Inner Loop Header: Depth=2
	global_load_dword v1, v[10:11], off
	v_mov_b32_e32 v12, s6
	ds_read_b32 v12, v12
	s_add_i32 s7, s7, -1
	s_add_i32 s6, s6, -4
	v_add_co_u32_e32 v10, vcc, -4, v10
	v_addc_co_u32_e32 v11, vcc, -1, v11, vcc
	s_cmp_gt_i32 s7, s4
	s_waitcnt vmcnt(0) lgkmcnt(0)
	v_fma_f32 v0, -v1, v12, v0
	s_cbranch_scc1 .LBB4_31
.LBB4_32:                               ;   in Loop: Header=BB4_28 Depth=1
	s_add_i32 s6, s4, -2
	s_mov_b32 s7, s5
	s_lshl_b64 s[10:11], s[6:7], 2
	v_mov_b32_e32 v1, s11
	v_add_co_u32_e32 v10, vcc, s10, v2
	v_addc_co_u32_e32 v11, vcc, v3, v1, vcc
	global_load_dword v1, v[10:11], off
	s_sub_i32 s9, s9, 20
	v_mov_b32_e32 v10, s9
	ds_read_b32 v12, v10
	v_pk_mov_b32 v[10:11], v[4:5], v[4:5] op_sel:[0,1]
	s_mov_b32 s7, s3
	s_cmp_le_i32 s0, s6
	s_mov_b32 s10, s0
	s_waitcnt lgkmcnt(0)
	v_mul_f32_e32 v0, v0, v12
	global_store_dword v[8:9], v0, off offset:-4
	s_waitcnt vmcnt(1)
	v_mul_f32_e32 v0, s26, v1
	s_cbranch_scc1 .LBB4_34
.LBB4_33:                               ;   Parent Loop BB4_28 Depth=1
                                        ; =>  This Inner Loop Header: Depth=2
	global_load_dword v1, v[10:11], off
	v_mov_b32_e32 v12, s7
	ds_read_b32 v12, v12
	s_add_i32 s10, s10, -1
	s_add_i32 s7, s7, -4
	v_add_co_u32_e32 v10, vcc, -4, v10
	v_addc_co_u32_e32 v11, vcc, -1, v11, vcc
	s_cmp_gt_i32 s10, s6
	s_waitcnt vmcnt(0) lgkmcnt(0)
	v_fma_f32 v0, -v1, v12, v0
	s_cbranch_scc1 .LBB4_33
.LBB4_34:                               ;   in Loop: Header=BB4_28 Depth=1
	s_add_i32 s6, s4, -3
	s_mov_b32 s7, s5
	s_lshl_b64 s[10:11], s[6:7], 2
	v_mov_b32_e32 v1, s11
	v_add_co_u32_e32 v10, vcc, s10, v2
	v_addc_co_u32_e32 v11, vcc, v3, v1, vcc
	global_load_dword v1, v[10:11], off
	s_sub_i32 s7, s9, 20
	v_mov_b32_e32 v10, s7
	ds_read_b32 v12, v10
	v_pk_mov_b32 v[10:11], v[4:5], v[4:5] op_sel:[0,1]
	s_mov_b32 s9, s8
	s_cmp_le_i32 s0, s6
	s_mov_b32 s10, s0
	s_waitcnt lgkmcnt(0)
	v_mul_f32_e32 v0, v0, v12
	global_store_dword v[8:9], v0, off offset:-8
	s_waitcnt vmcnt(1)
	v_mul_f32_e32 v0, s26, v1
	s_cbranch_scc1 .LBB4_27
.LBB4_35:                               ;   Parent Loop BB4_28 Depth=1
                                        ; =>  This Inner Loop Header: Depth=2
	global_load_dword v1, v[10:11], off
	v_mov_b32_e32 v12, s9
	ds_read_b32 v12, v12
	s_add_i32 s10, s10, -1
	s_add_i32 s9, s9, -4
	v_add_co_u32_e32 v10, vcc, -4, v10
	v_addc_co_u32_e32 v11, vcc, -1, v11, vcc
	s_cmp_gt_i32 s10, s6
	s_waitcnt vmcnt(0) lgkmcnt(0)
	v_fma_f32 v0, -v1, v12, v0
	s_cbranch_scc1 .LBB4_35
	s_branch .LBB4_27
.LBB4_36:
	s_mov_b64 s[0:1], 0
.LBB4_37:
	s_and_b64 vcc, exec, s[0:1]
	s_cbranch_vccz .LBB4_46
; %bb.38:
	s_cmp_gt_i32 s2, 3
	s_cbranch_scc0 .LBB4_40
; %bb.39:
	global_load_dwordx4 v[4:7], v[2:3], off
	v_mov_b32_e32 v12, 0
	ds_read_b128 v[8:11], v12
	ds_read_b32 v14, v12 offset:28
	ds_read_b64 v[0:1], v12 offset:40
	ds_read_b32 v15, v12 offset:60
	ds_read2_b32 v[12:13], v12 offset0:5 offset1:6
	s_mov_b32 s0, 4
	s_waitcnt vmcnt(0)
	v_mul_f32_e32 v4, s26, v4
	s_waitcnt lgkmcnt(4)
	v_mul_f32_e32 v4, v4, v8
	v_mul_f32_e32 v8, v4, v9
	v_mul_f32_e32 v9, v4, v10
	v_fma_f32 v5, v5, s26, -v8
	v_mul_f32_e32 v10, v4, v11
	v_fma_f32 v6, v6, s26, -v9
	s_waitcnt lgkmcnt(0)
	v_mul_f32_e32 v5, v5, v12
	v_fma_f32 v7, v7, s26, -v10
	v_fma_f32 v6, -v5, v13, v6
	v_fma_f32 v7, -v5, v14, v7
	v_mul_f32_e32 v6, v6, v0
	v_fma_f32 v0, -v6, v1, v7
	v_mul_f32_e32 v7, v0, v15
	global_store_dwordx4 v[2:3], v[4:7], off
	s_cmp_ge_i32 s0, s16
	s_cbranch_scc0 .LBB4_41
	s_branch .LBB4_46
.LBB4_40:
	s_mov_b32 s0, 0
	s_cmp_ge_i32 s0, s16
	s_cbranch_scc1 .LBB4_46
.LBB4_41:
	s_lshl_b32 s2, s0, 2
	s_mov_b32 s1, 0
	s_branch .LBB4_43
.LBB4_42:                               ;   in Loop: Header=BB4_43 Depth=1
	s_mul_i32 s3, s0, 20
	v_mov_b32_e32 v1, s3
	ds_read_b32 v1, v1
	s_add_i32 s0, s0, 1
	s_add_i32 s2, s2, 4
	s_cmp_ge_i32 s0, s16
	s_waitcnt lgkmcnt(0)
	v_mul_f32_e32 v0, v0, v1
	global_store_dword v[4:5], v0, off
	s_cbranch_scc1 .LBB4_46
.LBB4_43:                               ; =>This Loop Header: Depth=1
                                        ;     Child Loop BB4_45 Depth 2
	s_lshl_b64 s[4:5], s[0:1], 2
	v_mov_b32_e32 v0, s5
	v_add_co_u32_e32 v4, vcc, s4, v2
	v_addc_co_u32_e32 v5, vcc, v3, v0, vcc
	global_load_dword v0, v[4:5], off
	s_cmp_eq_u32 s0, 0
	s_waitcnt vmcnt(0)
	v_mul_f32_e32 v0, s26, v0
	s_cbranch_scc1 .LBB4_42
; %bb.44:                               ;   in Loop: Header=BB4_43 Depth=1
	s_mov_b32 s3, 0
	v_pk_mov_b32 v[6:7], v[2:3], v[2:3] op_sel:[0,1]
	s_mov_b32 s4, s2
.LBB4_45:                               ;   Parent Loop BB4_43 Depth=1
                                        ; =>  This Inner Loop Header: Depth=2
	global_load_dword v1, v[6:7], off
	v_mov_b32_e32 v8, s4
	ds_read_b32 v8, v8
	s_add_i32 s3, s3, 1
	s_add_i32 s4, s4, 16
	v_add_co_u32_e32 v6, vcc, 4, v6
	v_addc_co_u32_e32 v7, vcc, 0, v7, vcc
	s_cmp_lt_u32 s3, s0
	s_waitcnt vmcnt(0) lgkmcnt(0)
	v_fma_f32 v0, -v1, v8, v0
	s_cbranch_scc1 .LBB4_45
	s_branch .LBB4_42
.LBB4_46:
	s_endpgm
	.section	.rodata,"a",@progbits
	.p2align	6, 0x0
	.amdhsa_kernel _ZL30rocblas_trsm_small_left_deviceILi4ELi4ELb1EffPKfPfEv13rocblas_fill_18rocblas_operation_17rocblas_diagonal_iiT3_T4_lilT5_lili
		.amdhsa_group_segment_fixed_size 64
		.amdhsa_private_segment_fixed_size 0
		.amdhsa_kernarg_size 352
		.amdhsa_user_sgpr_count 6
		.amdhsa_user_sgpr_private_segment_buffer 1
		.amdhsa_user_sgpr_dispatch_ptr 0
		.amdhsa_user_sgpr_queue_ptr 0
		.amdhsa_user_sgpr_kernarg_segment_ptr 1
		.amdhsa_user_sgpr_dispatch_id 0
		.amdhsa_user_sgpr_flat_scratch_init 0
		.amdhsa_user_sgpr_kernarg_preload_length 0
		.amdhsa_user_sgpr_kernarg_preload_offset 0
		.amdhsa_user_sgpr_private_segment_size 0
		.amdhsa_uses_dynamic_stack 0
		.amdhsa_system_sgpr_private_segment_wavefront_offset 0
		.amdhsa_system_sgpr_workgroup_id_x 1
		.amdhsa_system_sgpr_workgroup_id_y 0
		.amdhsa_system_sgpr_workgroup_id_z 1
		.amdhsa_system_sgpr_workgroup_info 0
		.amdhsa_system_vgpr_workitem_id 0
		.amdhsa_next_free_vgpr 35
		.amdhsa_next_free_sgpr 43
		.amdhsa_accum_offset 36
		.amdhsa_reserve_vcc 1
		.amdhsa_reserve_flat_scratch 0
		.amdhsa_float_round_mode_32 0
		.amdhsa_float_round_mode_16_64 0
		.amdhsa_float_denorm_mode_32 3
		.amdhsa_float_denorm_mode_16_64 3
		.amdhsa_dx10_clamp 1
		.amdhsa_ieee_mode 1
		.amdhsa_fp16_overflow 0
		.amdhsa_tg_split 0
		.amdhsa_exception_fp_ieee_invalid_op 0
		.amdhsa_exception_fp_denorm_src 0
		.amdhsa_exception_fp_ieee_div_zero 0
		.amdhsa_exception_fp_ieee_overflow 0
		.amdhsa_exception_fp_ieee_underflow 0
		.amdhsa_exception_fp_ieee_inexact 0
		.amdhsa_exception_int_div_zero 0
	.end_amdhsa_kernel
	.section	.text._ZL30rocblas_trsm_small_left_deviceILi4ELi4ELb1EffPKfPfEv13rocblas_fill_18rocblas_operation_17rocblas_diagonal_iiT3_T4_lilT5_lili,"axG",@progbits,_ZL30rocblas_trsm_small_left_deviceILi4ELi4ELb1EffPKfPfEv13rocblas_fill_18rocblas_operation_17rocblas_diagonal_iiT3_T4_lilT5_lili,comdat
.Lfunc_end4:
	.size	_ZL30rocblas_trsm_small_left_deviceILi4ELi4ELb1EffPKfPfEv13rocblas_fill_18rocblas_operation_17rocblas_diagonal_iiT3_T4_lilT5_lili, .Lfunc_end4-_ZL30rocblas_trsm_small_left_deviceILi4ELi4ELb1EffPKfPfEv13rocblas_fill_18rocblas_operation_17rocblas_diagonal_iiT3_T4_lilT5_lili
                                        ; -- End function
	.section	.AMDGPU.csdata,"",@progbits
; Kernel info:
; codeLenInByte = 3052
; NumSgprs: 47
; NumVgprs: 35
; NumAgprs: 0
; TotalNumVgprs: 35
; ScratchSize: 0
; MemoryBound: 0
; FloatMode: 240
; IeeeMode: 1
; LDSByteSize: 64 bytes/workgroup (compile time only)
; SGPRBlocks: 5
; VGPRBlocks: 4
; NumSGPRsForWavesPerEU: 47
; NumVGPRsForWavesPerEU: 35
; AccumOffset: 36
; Occupancy: 8
; WaveLimiterHint : 0
; COMPUTE_PGM_RSRC2:SCRATCH_EN: 0
; COMPUTE_PGM_RSRC2:USER_SGPR: 6
; COMPUTE_PGM_RSRC2:TRAP_HANDLER: 0
; COMPUTE_PGM_RSRC2:TGID_X_EN: 1
; COMPUTE_PGM_RSRC2:TGID_Y_EN: 0
; COMPUTE_PGM_RSRC2:TGID_Z_EN: 1
; COMPUTE_PGM_RSRC2:TIDIG_COMP_CNT: 0
; COMPUTE_PGM_RSRC3_GFX90A:ACCUM_OFFSET: 8
; COMPUTE_PGM_RSRC3_GFX90A:TG_SPLIT: 0
	.section	.text._ZL31rocblas_trsm_small_right_deviceIffPKfPfLi4EEv13rocblas_fill_18rocblas_operation_17rocblas_diagonal_iiT0_T1_lilT2_lili,"axG",@progbits,_ZL31rocblas_trsm_small_right_deviceIffPKfPfLi4EEv13rocblas_fill_18rocblas_operation_17rocblas_diagonal_iiT0_T1_lilT2_lili,comdat
	.globl	_ZL31rocblas_trsm_small_right_deviceIffPKfPfLi4EEv13rocblas_fill_18rocblas_operation_17rocblas_diagonal_iiT0_T1_lilT2_lili ; -- Begin function _ZL31rocblas_trsm_small_right_deviceIffPKfPfLi4EEv13rocblas_fill_18rocblas_operation_17rocblas_diagonal_iiT0_T1_lilT2_lili
	.p2align	8
	.type	_ZL31rocblas_trsm_small_right_deviceIffPKfPfLi4EEv13rocblas_fill_18rocblas_operation_17rocblas_diagonal_iiT0_T1_lilT2_lili,@function
_ZL31rocblas_trsm_small_right_deviceIffPKfPfLi4EEv13rocblas_fill_18rocblas_operation_17rocblas_diagonal_iiT0_T1_lilT2_lili: ; @_ZL31rocblas_trsm_small_right_deviceIffPKfPfLi4EEv13rocblas_fill_18rocblas_operation_17rocblas_diagonal_iiT0_T1_lilT2_lili
; %bb.0:
	s_load_dwordx4 s[12:15], s[4:5], 0x0
	s_load_dwordx2 s[20:21], s[4:5], 0x10
	s_load_dwordx4 s[8:11], s[4:5], 0x30
	s_load_dwordx2 s[2:3], s[4:5], 0x40
	s_mov_b32 s0, s7
	s_mov_b32 s28, 0
	s_waitcnt lgkmcnt(0)
	s_min_i32 s1, s20, 4
	v_cmp_gt_i32_e32 vcc, s1, v0
	s_and_saveexec_b64 s[22:23], vcc
	s_cbranch_execz .LBB5_14
; %bb.1:
	s_load_dword s24, s[4:5], 0x28
	s_load_dwordx4 s[16:19], s[4:5], 0x18
	s_cmp_gt_u32 s1, 1
	s_cselect_b64 s[26:27], -1, 0
	s_mov_b32 s7, 1
	s_waitcnt lgkmcnt(0)
	s_cmp_eq_u32 s24, 1
	s_cselect_b64 s[30:31], -1, 0
	s_and_b64 s[30:31], s[26:27], s[30:31]
	s_mov_b64 s[26:27], -1
	s_and_b64 vcc, exec, s[30:31]
	s_cbranch_vccz .LBB5_9
; %bb.2:
	s_add_i32 s26, s1, -2
	s_lshr_b32 s27, s26, 1
	s_add_i32 s27, s27, 1
	s_mov_b32 s25, 0
	s_cmp_lt_u32 s26, 14
	s_mov_b32 s26, s25
	s_cbranch_scc1 .LBB5_5
; %bb.3:
	s_mul_i32 s7, s9, s0
	s_mul_hi_u32 s25, s8, s0
	s_add_i32 s31, s25, s7
	s_mul_i32 s30, s8, s0
	s_and_b32 s28, s27, -8
	s_lshl_b64 s[30:31], s[30:31], 2
	s_lshl_b64 s[34:35], s[18:19], 2
	s_add_u32 s7, s30, s34
	s_addc_u32 s25, s31, s35
	s_add_u32 s7, s16, s7
	v_lshlrev_b32_e32 v1, 2, v0
	s_addc_u32 s25, s17, s25
	v_mov_b32_e32 v2, s25
	v_add_co_u32_e32 v1, vcc, s7, v1
	v_addc_co_u32_e32 v3, vcc, 0, v2, vcc
	v_add_co_u32_e32 v2, vcc, 56, v1
	v_addc_co_u32_e32 v3, vcc, 0, v3, vcc
	s_mov_b32 s7, 1
	s_mov_b32 s26, 0
	;; [unrolled: 1-line block ×3, first 2 shown]
.LBB5_4:                                ; =>This Inner Loop Header: Depth=1
	global_load_dwordx4 v[4:7], v[2:3], off offset:-56
	global_load_dwordx4 v[8:11], v[2:3], off offset:-40
	;; [unrolled: 1-line block ×4, first 2 shown]
	s_lshl_b32 s29, s25, 2
	s_lshl_b32 s30, s7, 2
	s_add_i32 s26, s26, 16
	s_add_i32 s7, s7, 16
	;; [unrolled: 1-line block ×3, first 2 shown]
	s_add_i32 s28, s28, -8
	v_add_co_u32_e32 v2, vcc, 64, v2
	v_or_b32_e32 v1, s30, v0
	v_or_b32_e32 v20, s29, v0
	s_add_i32 s31, s29, 8
	s_add_i32 s33, s30, 8
	;; [unrolled: 1-line block ×14, first 2 shown]
	v_addc_co_u32_e32 v3, vcc, 0, v3, vcc
	v_lshlrev_b32_e32 v20, 2, v20
	v_or_b32_e32 v21, s33, v0
	v_or_b32_e32 v22, s31, v0
	;; [unrolled: 1-line block ×14, first 2 shown]
	s_cmp_lg_u32 s28, 0
	v_lshlrev_b32_e32 v1, 2, v1
	v_lshlrev_b32_e32 v22, 2, v22
	;; [unrolled: 1-line block ×15, first 2 shown]
	s_waitcnt vmcnt(3)
	ds_write_b32 v20, v4
	ds_write_b32 v1, v5
	ds_write_b32 v22, v6
	ds_write_b32 v21, v7
	s_waitcnt vmcnt(2)
	ds_write_b32 v24, v8
	ds_write_b32 v23, v9
	ds_write_b32 v26, v10
	ds_write_b32 v25, v11
	;; [unrolled: 5-line block ×4, first 2 shown]
	s_cbranch_scc1 .LBB5_4
.LBB5_5:
	s_and_b32 s28, s27, 7
	s_cmp_eq_u32 s28, 0
	s_mov_b32 s27, 0
	s_cbranch_scc1 .LBB5_8
; %bb.6:
	s_mul_i32 s29, s9, s0
	s_mul_hi_u32 s30, s8, s0
	s_add_i32 s31, s30, s29
	s_mul_i32 s30, s8, s0
	s_lshl_b64 s[30:31], s[30:31], 2
	s_lshl_b64 s[34:35], s[18:19], 2
	s_add_u32 s29, s30, s34
	s_addc_u32 s30, s31, s35
	s_lshl_b64 s[26:27], s[26:27], 2
	s_add_u32 s26, s16, s26
	s_addc_u32 s27, s17, s27
	s_add_u32 s26, s26, s29
	v_lshlrev_b32_e32 v1, 2, v0
	s_addc_u32 s27, s27, s30
	v_mov_b32_e32 v3, s27
	v_add_co_u32_e32 v2, vcc, s26, v1
	v_addc_co_u32_e32 v3, vcc, 0, v3, vcc
	s_lshl_b32 s26, s28, 3
.LBB5_7:                                ; =>This Inner Loop Header: Depth=1
	global_load_dwordx2 v[4:5], v[2:3], off
	v_lshl_or_b32 v6, s25, 4, v1
	v_lshl_or_b32 v7, s7, 4, v1
	s_add_i32 s7, s7, 2
	s_add_i32 s25, s25, 2
	v_add_co_u32_e32 v2, vcc, 8, v2
	s_add_i32 s26, s26, -8
	v_addc_co_u32_e32 v3, vcc, 0, v3, vcc
	s_cmp_lg_u32 s26, 0
	s_waitcnt vmcnt(0)
	ds_write_b32 v6, v4
	ds_write_b32 v7, v5
	s_cbranch_scc1 .LBB5_7
.LBB5_8:
	s_and_b32 s28, s1, -2
	s_cmp_lg_u32 s1, s28
	s_cselect_b64 s[26:27], -1, 0
.LBB5_9:
	s_and_b64 vcc, exec, s[26:27]
	s_cbranch_vccz .LBB5_12
; %bb.10:
	s_ashr_i32 s25, s24, 31
	s_mul_i32 s7, s9, s0
	s_mul_hi_u32 s9, s8, s0
	s_add_i32 s9, s9, s7
	s_mul_hi_u32 s7, s24, s28
	s_mul_i32 s26, s25, s28
	s_mul_i32 s8, s8, s0
	s_add_i32 s27, s7, s26
	s_mul_i32 s26, s24, s28
	s_lshl_b64 s[8:9], s[8:9], 2
	s_lshl_b64 s[26:27], s[26:27], 2
	s_add_u32 s7, s8, s26
	s_addc_u32 s26, s9, s27
	s_lshl_b64 s[8:9], s[18:19], 2
	s_add_u32 s7, s7, s8
	s_addc_u32 s8, s26, s9
	s_add_u32 s7, s16, s7
	v_lshlrev_b32_e32 v1, 2, v0
	s_addc_u32 s8, s17, s8
	v_mov_b32_e32 v3, s8
	v_add_co_u32_e32 v2, vcc, s7, v1
	s_lshl_b64 s[8:9], s[24:25], 2
	v_addc_co_u32_e32 v3, vcc, 0, v3, vcc
	v_lshl_or_b32 v1, s28, 4, v1
	s_sub_i32 s7, s1, s28
	v_mov_b32_e32 v4, s9
.LBB5_11:                               ; =>This Inner Loop Header: Depth=1
	global_load_dword v5, v[2:3], off
	v_add_co_u32_e32 v2, vcc, s8, v2
	s_add_i32 s7, s7, -1
	v_addc_co_u32_e32 v3, vcc, v3, v4, vcc
	s_cmp_eq_u32 s7, 0
	s_waitcnt vmcnt(0)
	ds_write_b32 v1, v5
	v_add_u32_e32 v1, 16, v1
	s_cbranch_scc0 .LBB5_11
.LBB5_12:
	s_cmpk_eq_i32 s14, 0x84
	s_cbranch_scc0 .LBB5_14
; %bb.13:
	v_mul_u32_u24_e32 v1, 5, v0
	v_lshlrev_b32_e32 v1, 2, v1
	v_mov_b32_e32 v2, 1.0
	ds_write_b32 v1, v2
.LBB5_14:
	s_or_b64 exec, exec, s[22:23]
	s_load_dword s7, s[4:5], 0x60
	s_load_dword s8, s[4:5], 0x48
	s_load_dwordx2 s[16:17], s[4:5], 0x50
	s_lshl_b32 s4, s6, 2
	s_sub_i32 s4, s15, s4
	s_waitcnt lgkmcnt(0)
	s_add_i32 s7, s7, -1
	s_cmp_ge_u32 s6, s7
	s_cselect_b32 s9, s4, 4
	s_ashr_i32 s7, s6, 31
	s_lshl_b64 s[4:5], s[6:7], 4
	s_cmp_gt_i32 s20, 0
	v_cmp_gt_i32_e32 vcc, s9, v0
	s_cselect_b64 s[6:7], -1, 0
	s_mov_b32 s23, 0
	s_and_b64 s[6:7], vcc, s[6:7]
	s_and_saveexec_b64 s[14:15], s[6:7]
	s_cbranch_execz .LBB5_26
; %bb.15:
	s_cmp_lt_u32 s20, 2
	s_cselect_b64 s[24:25], -1, 0
	s_cmp_lg_u32 s8, 1
	s_cselect_b64 s[26:27], -1, 0
	s_or_b64 s[24:25], s[24:25], s[26:27]
	s_mov_b32 s9, 1
	s_mov_b64 s[18:19], -1
	s_and_b64 vcc, exec, s[24:25]
	s_cbranch_vccnz .LBB5_23
; %bb.16:
	s_add_i32 s22, s20, -2
	s_lshr_b32 s23, s22, 1
	s_add_i32 s23, s23, 1
	s_mov_b32 s24, 0
	s_mov_b32 s18, s21
	;; [unrolled: 1-line block ×3, first 2 shown]
	s_cmp_lt_u32 s22, 14
	s_mov_b32 s22, s24
	s_cbranch_scc1 .LBB5_19
; %bb.17:
	s_mul_i32 s9, s17, s0
	s_mul_hi_u32 s22, s16, s0
	s_add_i32 s27, s22, s9
	s_mul_i32 s26, s16, s0
	s_and_b32 s25, s23, -8
	s_lshl_b64 s[26:27], s[26:27], 2
	s_add_u32 s9, s26, s4
	s_addc_u32 s22, s27, s5
	s_lshl_b64 s[26:27], s[2:3], 2
	s_add_u32 s9, s9, s26
	s_addc_u32 s22, s22, s27
	s_add_u32 s9, s10, s9
	v_lshlrev_b32_e32 v1, 2, v0
	s_addc_u32 s22, s11, s22
	v_mov_b32_e32 v2, s22
	v_add_co_u32_e32 v1, vcc, s9, v1
	v_addc_co_u32_e32 v3, vcc, 0, v2, vcc
	v_add_co_u32_e32 v2, vcc, 56, v1
	v_addc_co_u32_e32 v3, vcc, 0, v3, vcc
	s_mov_b32 s9, 1
	s_mov_b32 s22, 0
.LBB5_18:                               ; =>This Inner Loop Header: Depth=1
	global_load_dwordx4 v[4:7], v[2:3], off offset:-56
	global_load_dwordx4 v[8:11], v[2:3], off offset:-40
	;; [unrolled: 1-line block ×4, first 2 shown]
	s_lshl_b32 s26, s24, 2
	s_lshl_b32 s27, s9, 2
	s_add_i32 s22, s22, 16
	s_add_i32 s9, s9, 16
	;; [unrolled: 1-line block ×3, first 2 shown]
	s_add_i32 s25, s25, -8
	v_add_co_u32_e32 v2, vcc, 64, v2
	v_or_b32_e32 v1, s27, v0
	v_or_b32_e32 v20, s26, v0
	s_add_i32 s28, s26, 8
	s_add_i32 s29, s27, 8
	;; [unrolled: 1-line block ×14, first 2 shown]
	v_addc_co_u32_e32 v3, vcc, 0, v3, vcc
	v_lshlrev_b32_e32 v20, 2, v20
	v_or_b32_e32 v21, s29, v0
	v_or_b32_e32 v22, s28, v0
	;; [unrolled: 1-line block ×14, first 2 shown]
	s_cmp_lg_u32 s25, 0
	v_lshlrev_b32_e32 v1, 2, v1
	v_lshlrev_b32_e32 v22, 2, v22
	;; [unrolled: 1-line block ×15, first 2 shown]
	s_waitcnt vmcnt(3)
	v_pk_mul_f32 v[4:5], v[4:5], s[18:19]
	v_pk_mul_f32 v[6:7], v[6:7], s[18:19]
	s_waitcnt vmcnt(2)
	v_pk_mul_f32 v[8:9], v[8:9], s[18:19]
	v_pk_mul_f32 v[10:11], v[10:11], s[18:19]
	s_waitcnt vmcnt(1)
	v_pk_mul_f32 v[12:13], v[12:13], s[18:19]
	v_pk_mul_f32 v[14:15], v[14:15], s[18:19]
	s_waitcnt vmcnt(0)
	v_pk_mul_f32 v[16:17], v[16:17], s[18:19]
	v_pk_mul_f32 v[18:19], v[18:19], s[18:19]
	ds_write_b32 v20, v4 offset:64
	ds_write_b32 v1, v5 offset:64
	;; [unrolled: 1-line block ×16, first 2 shown]
	s_cbranch_scc1 .LBB5_18
.LBB5_19:
	s_and_b32 s25, s23, 7
	s_cmp_eq_u32 s25, 0
	s_mov_b32 s23, 0
	s_cbranch_scc1 .LBB5_22
; %bb.20:
	s_mul_i32 s26, s17, s0
	s_mul_hi_u32 s27, s16, s0
	s_add_i32 s27, s27, s26
	s_mul_i32 s26, s16, s0
	s_lshl_b64 s[26:27], s[26:27], 2
	s_add_u32 s28, s26, s4
	s_addc_u32 s29, s27, s5
	s_lshl_b64 s[26:27], s[2:3], 2
	s_add_u32 s26, s28, s26
	s_addc_u32 s27, s29, s27
	;; [unrolled: 3-line block ×3, first 2 shown]
	s_add_u32 s22, s22, s26
	v_lshlrev_b32_e32 v1, 2, v0
	s_addc_u32 s23, s23, s27
	v_mov_b32_e32 v3, s23
	v_add_co_u32_e32 v2, vcc, s22, v1
	v_addc_co_u32_e32 v3, vcc, 0, v3, vcc
.LBB5_21:                               ; =>This Inner Loop Header: Depth=1
	global_load_dwordx2 v[4:5], v[2:3], off
	v_lshl_or_b32 v6, s24, 4, v1
	v_lshl_or_b32 v7, s9, 4, v1
	s_add_i32 s9, s9, 2
	s_add_i32 s24, s24, 2
	v_add_co_u32_e32 v2, vcc, 8, v2
	s_add_i32 s25, s25, -1
	v_addc_co_u32_e32 v3, vcc, 0, v3, vcc
	s_cmp_lg_u32 s25, 0
	s_waitcnt vmcnt(0)
	v_pk_mul_f32 v[4:5], v[4:5], s[18:19]
	ds_write_b32 v6, v4 offset:64
	ds_write_b32 v7, v5 offset:64
	s_cbranch_scc1 .LBB5_21
.LBB5_22:
	s_and_b32 s23, s20, 0x7ffffffe
	s_cmp_lg_u32 s23, s20
	s_cselect_b64 s[18:19], -1, 0
.LBB5_23:
	s_and_b64 vcc, exec, s[18:19]
	s_cbranch_vccz .LBB5_26
; %bb.24:
	s_mul_i32 s18, s17, s0
	s_mul_hi_u32 s19, s16, s0
	s_add_i32 s19, s19, s18
	s_mul_i32 s18, s16, s0
	s_mul_hi_i32 s25, s8, s23
	s_mul_i32 s24, s8, s23
	s_ashr_i32 s9, s8, 31
	s_sub_i32 s22, s20, s23
	s_lshl_b64 s[18:19], s[18:19], 2
	s_lshl_b64 s[24:25], s[24:25], 2
	s_add_u32 s18, s18, s24
	v_lshlrev_b32_e32 v2, 2, v0
	s_addc_u32 s19, s19, s25
	v_lshl_or_b32 v1, s23, 4, v2
	s_add_u32 s23, s18, s4
	s_addc_u32 s24, s19, s5
	s_lshl_b64 s[18:19], s[2:3], 2
	s_add_u32 s18, s23, s18
	s_addc_u32 s19, s24, s19
	s_add_u32 s18, s10, s18
	s_addc_u32 s19, s11, s19
	v_mov_b32_e32 v3, s19
	v_add_co_u32_e32 v2, vcc, s18, v2
	s_lshl_b64 s[18:19], s[8:9], 2
	v_add_u32_e32 v1, 64, v1
	v_addc_co_u32_e32 v3, vcc, 0, v3, vcc
	v_mov_b32_e32 v4, s19
.LBB5_25:                               ; =>This Inner Loop Header: Depth=1
	global_load_dword v5, v[2:3], off
	s_add_i32 s22, s22, -1
	v_add_co_u32_e32 v2, vcc, s18, v2
	v_addc_co_u32_e32 v3, vcc, v3, v4, vcc
	s_cmp_lg_u32 s22, 0
	s_waitcnt vmcnt(0)
	v_mul_f32_e32 v5, s21, v5
	ds_write_b32 v1, v5
	v_add_u32_e32 v1, 16, v1
	s_cbranch_scc1 .LBB5_25
.LBB5_26:
	s_or_b64 exec, exec, s[14:15]
	s_cmpk_eq_i32 s13, 0x6f
	s_cselect_b64 s[18:19], -1, 0
	s_cmpk_eq_i32 s12, 0x79
	s_cselect_b64 s[22:23], -1, 0
	s_cmpk_lg_i32 s12, 0x79
	s_cselect_b64 s[14:15], -1, 0
	s_and_b64 s[22:23], s[22:23], s[18:19]
	s_andn2_b64 vcc, exec, s[22:23]
	s_mov_b64 s[22:23], -1
	s_waitcnt lgkmcnt(0)
	; wave barrier
	s_waitcnt lgkmcnt(0)
	s_cbranch_vccz .LBB5_72
; %bb.27:
	s_cmpk_lg_i32 s12, 0x7a
	s_cselect_b64 s[12:13], -1, 0
	s_xor_b64 s[18:19], s[18:19], -1
	s_add_i32 s9, s1, -1
	s_or_b64 s[18:19], s[12:13], s[18:19]
	s_cmp_gt_i32 s20, 3
	s_cselect_b64 s[12:13], -1, 0
	s_and_b64 vcc, exec, s[18:19]
	s_cbranch_vccz .LBB5_55
; %bb.28:
	s_andn2_b64 vcc, exec, s[14:15]
	s_mov_b64 s[14:15], -1
	s_cbranch_vccnz .LBB5_38
; %bb.29:
	s_mov_b32 s14, 0
	s_and_b64 vcc, exec, s[12:13]
	s_cbranch_vccz .LBB5_31
; %bb.30:
	v_lshlrev_b32_e32 v10, 2, v0
	v_mov_b32_e32 v1, 0
	ds_read2_b32 v[6:7], v10 offset0:16 offset1:20
	ds_read_b128 v[2:5], v1
	ds_read2_b32 v[8:9], v1 offset0:5 offset1:6
	s_waitcnt lgkmcnt(1)
	v_div_scale_f32 v11, s[14:15], v2, v2, v6
	v_rcp_f32_e32 v12, v11
	v_div_scale_f32 v13, vcc, v6, v2, v6
	v_fma_f32 v14, -v11, v12, 1.0
	v_fmac_f32_e32 v12, v14, v12
	v_mul_f32_e32 v14, v13, v12
	v_fma_f32 v15, -v11, v14, v13
	v_fmac_f32_e32 v14, v15, v12
	v_fma_f32 v11, -v11, v14, v13
	v_div_fmas_f32 v11, v11, v12, v14
	v_div_fixup_f32 v11, v11, v2, v6
	v_fma_f32 v12, -v11, v3, v7
	s_waitcnt lgkmcnt(0)
	v_div_scale_f32 v13, s[14:15], v8, v8, v12
	v_rcp_f32_e32 v14, v13
	ds_read_b64 v[2:3], v1 offset:40
	ds_read_b32 v15, v1 offset:60
	ds_read2_b32 v[6:7], v10 offset0:24 offset1:28
	ds_read_b32 v1, v1 offset:28
	v_fma_f32 v16, -v13, v14, 1.0
	v_fmac_f32_e32 v14, v16, v14
	v_div_scale_f32 v16, vcc, v12, v8, v12
	v_mul_f32_e32 v17, v16, v14
	v_fma_f32 v18, -v13, v17, v16
	v_fmac_f32_e32 v17, v18, v14
	v_fma_f32 v13, -v13, v17, v16
	v_div_fmas_f32 v13, v13, v14, v17
	v_div_fixup_f32 v8, v13, v8, v12
	s_waitcnt lgkmcnt(1)
	v_fma_f32 v4, -v11, v4, v6
	v_fma_f32 v4, -v8, v9, v4
	v_div_scale_f32 v6, s[14:15], v2, v2, v4
	v_rcp_f32_e32 v9, v6
	ds_write2_b32 v10, v11, v8 offset0:16 offset1:20
	v_fma_f32 v12, -v6, v9, 1.0
	v_fmac_f32_e32 v9, v12, v9
	v_div_scale_f32 v12, vcc, v4, v2, v4
	v_mul_f32_e32 v13, v12, v9
	v_fma_f32 v14, -v6, v13, v12
	v_fmac_f32_e32 v13, v14, v9
	v_fma_f32 v6, -v6, v13, v12
	v_div_fmas_f32 v6, v6, v9, v13
	v_div_fixup_f32 v2, v6, v2, v4
	v_fma_f32 v4, -v11, v5, v7
	s_waitcnt lgkmcnt(1)
	v_fma_f32 v1, -v8, v1, v4
	v_fma_f32 v1, -v2, v3, v1
	v_div_scale_f32 v3, s[14:15], v15, v15, v1
	v_rcp_f32_e32 v4, v3
	s_mov_b32 s14, 4
	v_fma_f32 v5, -v3, v4, 1.0
	v_fmac_f32_e32 v4, v5, v4
	v_div_scale_f32 v5, vcc, v1, v15, v1
	v_mul_f32_e32 v6, v5, v4
	v_fma_f32 v7, -v3, v6, v5
	v_fmac_f32_e32 v6, v7, v4
	v_fma_f32 v3, -v3, v6, v5
	v_div_fmas_f32 v3, v3, v4, v6
	v_div_fixup_f32 v1, v3, v15, v1
	ds_write2_b32 v10, v2, v1 offset0:24 offset1:28
.LBB5_31:
	s_cmp_ge_i32 s14, s1
	s_cbranch_scc1 .LBB5_37
; %bb.32:
	v_lshl_or_b32 v1, v0, 2, 64
	s_lshl_b32 s15, s14, 2
	v_lshlrev_b32_e32 v2, 2, v0
	s_branch .LBB5_34
.LBB5_33:                               ;   in Loop: Header=BB5_34 Depth=1
	s_mul_i32 s18, s14, 20
	v_mov_b32_e32 v5, s18
	ds_read_b32 v5, v5
	s_add_i32 s14, s14, 1
	s_add_i32 s15, s15, 4
	v_add_u32_e32 v4, 64, v4
	s_cmp_ge_i32 s14, s1
	s_waitcnt lgkmcnt(0)
	v_div_scale_f32 v6, s[18:19], v5, v5, v3
	v_rcp_f32_e32 v7, v6
	v_div_scale_f32 v8, vcc, v3, v5, v3
	v_fma_f32 v9, -v6, v7, 1.0
	v_fmac_f32_e32 v7, v9, v7
	v_mul_f32_e32 v9, v8, v7
	v_fma_f32 v10, -v6, v9, v8
	v_fmac_f32_e32 v9, v10, v7
	v_fma_f32 v6, -v6, v9, v8
	v_div_fmas_f32 v6, v6, v7, v9
	v_div_fixup_f32 v3, v6, v5, v3
	ds_write_b32 v4, v3
	s_cbranch_scc1 .LBB5_37
.LBB5_34:                               ; =>This Loop Header: Depth=1
                                        ;     Child Loop BB5_36 Depth 2
	v_lshl_or_b32 v4, s14, 4, v2
	ds_read_b32 v3, v4 offset:64
	s_cmp_eq_u32 s14, 0
	s_cbranch_scc1 .LBB5_33
; %bb.35:                               ;   in Loop: Header=BB5_34 Depth=1
	s_mov_b32 s18, 0
	s_mov_b32 s19, s15
	v_mov_b32_e32 v5, v1
.LBB5_36:                               ;   Parent Loop BB5_34 Depth=1
                                        ; =>  This Inner Loop Header: Depth=2
	v_mov_b32_e32 v7, s19
	ds_read_b32 v6, v5
	ds_read_b32 v7, v7
	s_add_i32 s18, s18, 1
	s_add_i32 s19, s19, 16
	v_add_u32_e32 v5, 16, v5
	s_cmp_ge_u32 s18, s14
	s_waitcnt lgkmcnt(0)
	v_fma_f32 v3, -v6, v7, v3
	s_cbranch_scc0 .LBB5_36
	s_branch .LBB5_33
.LBB5_37:
	s_mov_b64 s[14:15], 0
.LBB5_38:
	s_and_b64 vcc, exec, s[14:15]
	s_cbranch_vccz .LBB5_54
; %bb.39:
	s_and_b64 vcc, exec, s[12:13]
	s_mov_b32 s15, s9
	s_cbranch_vccz .LBB5_41
; %bb.40:
	s_add_i32 s14, s1, -2
	s_lshl_b32 s19, s14, 2
	s_lshl_b32 s15, s1, 2
	s_lshl_b32 s18, s9, 2
	v_or_b32_e32 v2, s19, v0
	s_add_i32 s21, s15, -12
	v_lshlrev_b32_e32 v8, 2, v2
	v_or_b32_e32 v2, s21, v0
	s_add_i32 s14, s18, s14
	v_or_b32_e32 v1, s18, v0
	v_lshlrev_b32_e32 v9, 2, v2
	s_add_i32 s22, s1, -4
	v_lshlrev_b32_e32 v2, 2, v0
	s_lshl_b32 s14, s14, 2
	v_lshlrev_b32_e32 v1, 2, v1
	v_lshl_or_b32 v10, s22, 4, v2
	v_mov_b32_e32 v2, s14
	ds_read_b32 v4, v1 offset:64
	ds_read_b32 v5, v8 offset:64
	;; [unrolled: 1-line block ×4, first 2 shown]
	ds_read2_b32 v[2:3], v2 offset1:1
	s_mul_i32 s23, s9, 20
	s_sub_i32 s14, s23, 20
	v_mov_b32_e32 v6, s14
	ds_read_b32 v6, v6
	s_waitcnt lgkmcnt(1)
	v_div_scale_f32 v7, s[14:15], v3, v3, v4
	v_rcp_f32_e32 v13, v7
	s_add_i32 s18, s18, s22
	s_add_i32 s19, s19, s22
	;; [unrolled: 1-line block ×3, first 2 shown]
	v_fma_f32 v14, -v7, v13, 1.0
	v_fmac_f32_e32 v13, v14, v13
	v_div_scale_f32 v14, vcc, v4, v3, v4
	v_mul_f32_e32 v15, v14, v13
	v_fma_f32 v16, -v7, v15, v14
	v_fmac_f32_e32 v15, v16, v13
	v_fma_f32 v7, -v7, v15, v14
	v_div_fmas_f32 v7, v7, v13, v15
	v_div_fixup_f32 v13, v7, v3, v4
	v_fma_f32 v2, -v13, v2, v5
	s_waitcnt lgkmcnt(0)
	v_div_scale_f32 v3, s[14:15], v6, v6, v2
	v_rcp_f32_e32 v4, v3
	s_lshl_b32 s14, s18, 2
	v_fma_f32 v5, -v3, v4, 1.0
	v_fmac_f32_e32 v4, v5, v4
	v_div_scale_f32 v5, vcc, v2, v6, v2
	v_mul_f32_e32 v7, v5, v4
	v_fma_f32 v14, -v3, v7, v5
	v_fmac_f32_e32 v7, v14, v4
	v_fma_f32 v3, -v3, v7, v5
	v_div_fmas_f32 v3, v3, v4, v7
	v_div_fixup_f32 v14, v3, v6, v2
	v_mov_b32_e32 v2, s14
	s_lshl_b32 s14, s19, 2
	v_mov_b32_e32 v4, s14
	s_lshl_b32 s14, s21, 2
	v_mov_b32_e32 v6, s14
	s_sub_i32 s14, s23, 60
	ds_read2_b32 v[2:3], v2 offset1:1
	ds_read2_b32 v[4:5], v4 offset1:1
	v_mov_b32_e32 v15, s14
	ds_read2_b32 v[6:7], v6 offset1:1
	ds_read_b32 v15, v15
	s_waitcnt lgkmcnt(3)
	v_fma_f32 v3, -v13, v3, v11
	s_waitcnt lgkmcnt(2)
	v_fma_f32 v3, -v14, v5, v3
	s_waitcnt lgkmcnt(1)
	v_div_scale_f32 v5, s[14:15], v7, v7, v3
	v_rcp_f32_e32 v11, v5
	v_fma_f32 v2, -v13, v2, v12
	v_fma_f32 v2, -v14, v4, v2
	v_fma_f32 v16, -v5, v11, 1.0
	v_fmac_f32_e32 v11, v16, v11
	v_div_scale_f32 v16, vcc, v3, v7, v3
	v_mul_f32_e32 v17, v16, v11
	v_fma_f32 v18, -v5, v17, v16
	v_fmac_f32_e32 v17, v18, v11
	v_fma_f32 v5, -v5, v17, v16
	v_div_fmas_f32 v5, v5, v11, v17
	v_div_fixup_f32 v3, v5, v7, v3
	v_fma_f32 v2, -v3, v6, v2
	s_waitcnt lgkmcnt(0)
	v_div_scale_f32 v4, s[14:15], v15, v15, v2
	v_rcp_f32_e32 v5, v4
	ds_write_b32 v1, v13 offset:64
	ds_write_b32 v8, v14 offset:64
	ds_write_b32 v9, v3 offset:64
	s_add_i32 s15, s1, -5
	v_fma_f32 v1, -v4, v5, 1.0
	v_fmac_f32_e32 v5, v1, v5
	v_div_scale_f32 v1, vcc, v2, v15, v2
	v_mul_f32_e32 v3, v1, v5
	v_fma_f32 v6, -v4, v3, v1
	v_fmac_f32_e32 v3, v6, v5
	v_fma_f32 v1, -v4, v3, v1
	v_div_fmas_f32 v1, v1, v5, v3
	v_div_fixup_f32 v1, v1, v15, v2
	ds_write_b32 v10, v1 offset:64
.LBB5_41:
	s_cmp_lt_i32 s15, 0
	s_cbranch_scc1 .LBB5_54
; %bb.42:
	s_bitcmp1_b32 s15, 0
	s_cselect_b64 s[18:19], -1, 0
	s_and_b64 vcc, exec, s[18:19]
	s_mov_b32 s14, s15
	s_cbranch_vccnz .LBB5_47
; %bb.43:
	s_lshl_b32 s14, s15, 2
	v_or_b32_e32 v1, s14, v0
	v_lshlrev_b32_e32 v2, 2, v1
	ds_read_b32 v1, v2 offset:64
	s_cmp_le_i32 s9, s15
	s_cbranch_scc1 .LBB5_46
; %bb.44:
	s_lshl_b32 s18, s1, 4
	s_add_i32 s14, s18, s14
	v_lshl_or_b32 v3, v0, 2, s18
	s_add_i32 s14, s14, -16
	v_add_u32_e32 v3, 48, v3
	s_mov_b32 s18, s9
.LBB5_45:                               ; =>This Inner Loop Header: Depth=1
	v_mov_b32_e32 v5, s14
	ds_read_b32 v4, v3
	ds_read_b32 v5, v5
	s_add_i32 s18, s18, -1
	s_add_i32 s14, s14, -16
	v_add_u32_e32 v3, -16, v3
	s_cmp_gt_i32 s18, s15
	s_waitcnt lgkmcnt(0)
	v_fma_f32 v1, -v4, v5, v1
	s_cbranch_scc1 .LBB5_45
.LBB5_46:
	s_mul_i32 s14, s15, 20
	v_mov_b32_e32 v3, s14
	ds_read_b32 v3, v3
	v_add_u32_e32 v2, 64, v2
	s_add_i32 s14, s15, -1
	s_waitcnt lgkmcnt(0)
	v_div_scale_f32 v4, s[18:19], v3, v3, v1
	v_rcp_f32_e32 v5, v4
	v_div_scale_f32 v6, vcc, v1, v3, v1
	v_fma_f32 v7, -v4, v5, 1.0
	v_fmac_f32_e32 v5, v7, v5
	v_mul_f32_e32 v7, v6, v5
	v_fma_f32 v8, -v4, v7, v6
	v_fmac_f32_e32 v7, v8, v5
	v_fma_f32 v4, -v4, v7, v6
	v_div_fmas_f32 v4, v4, v5, v7
	v_div_fixup_f32 v1, v4, v3, v1
	ds_write_b32 v2, v1
.LBB5_47:
	s_cmp_eq_u32 s15, 0
	s_cbranch_scc1 .LBB5_54
; %bb.48:
	s_lshl_b32 s15, s1, 4
	s_lshl_b32 s18, s14, 2
	v_lshl_or_b32 v1, v0, 2, s15
	s_add_i32 s18, s15, s18
	v_add_u32_e32 v1, 48, v1
	s_add_i32 s15, s18, -16
	s_sub_i32 s18, s18, 20
	v_lshlrev_b32_e32 v2, 2, v0
	s_branch .LBB5_50
.LBB5_49:                               ;   in Loop: Header=BB5_50 Depth=1
	s_sub_i32 s19, s19, 20
	v_add_u32_e32 v4, 64, v5
	v_mov_b32_e32 v5, s19
	ds_read_b32 v5, v5
	s_add_i32 s19, s14, -2
	s_add_i32 s15, s15, -8
	;; [unrolled: 1-line block ×3, first 2 shown]
	s_cmp_lt_i32 s14, 2
	s_waitcnt lgkmcnt(0)
	v_div_scale_f32 v6, s[22:23], v5, v5, v3
	v_rcp_f32_e32 v7, v6
	v_div_scale_f32 v8, vcc, v3, v5, v3
	s_mov_b32 s14, s19
	v_fma_f32 v9, -v6, v7, 1.0
	v_fmac_f32_e32 v7, v9, v7
	v_mul_f32_e32 v9, v8, v7
	v_fma_f32 v10, -v6, v9, v8
	v_fmac_f32_e32 v9, v10, v7
	v_fma_f32 v6, -v6, v9, v8
	v_div_fmas_f32 v6, v6, v7, v9
	v_div_fixup_f32 v3, v6, v5, v3
	ds_write_b32 v4, v3
	s_cbranch_scc1 .LBB5_54
.LBB5_50:                               ; =>This Loop Header: Depth=1
                                        ;     Child Loop BB5_51 Depth 2
                                        ;     Child Loop BB5_53 Depth 2
	v_lshl_or_b32 v3, s14, 4, v2
	ds_read_b32 v4, v3 offset:64
	s_cmp_le_i32 s9, s14
	s_mov_b32 s19, s15
	v_mov_b32_e32 v5, v1
	s_mov_b32 s21, s9
	s_cbranch_scc1 .LBB5_52
.LBB5_51:                               ;   Parent Loop BB5_50 Depth=1
                                        ; =>  This Inner Loop Header: Depth=2
	v_mov_b32_e32 v7, s19
	ds_read_b32 v6, v5
	ds_read_b32 v7, v7
	s_add_i32 s21, s21, -1
	s_add_i32 s19, s19, -16
	v_add_u32_e32 v5, -16, v5
	s_cmp_le_i32 s21, s14
	s_waitcnt lgkmcnt(0)
	v_fma_f32 v4, -v6, v7, v4
	s_cbranch_scc0 .LBB5_51
.LBB5_52:                               ;   in Loop: Header=BB5_50 Depth=1
	s_mul_i32 s19, s14, 20
	v_add_u32_e32 v6, 64, v3
	v_mov_b32_e32 v3, s19
	ds_read_b32 v7, v3
	s_lshl_b32 s21, s14, 4
	s_add_i32 s21, s21, -16
	v_lshl_or_b32 v5, v0, 2, s21
	ds_read_b32 v3, v5 offset:64
	s_waitcnt lgkmcnt(1)
	v_div_scale_f32 v8, s[22:23], v7, v7, v4
	v_rcp_f32_e32 v9, v8
	v_div_scale_f32 v10, vcc, v4, v7, v4
	s_cmp_le_i32 s1, s14
	v_fma_f32 v11, -v8, v9, 1.0
	v_fmac_f32_e32 v9, v11, v9
	v_mul_f32_e32 v11, v10, v9
	v_fma_f32 v12, -v8, v11, v10
	v_fmac_f32_e32 v11, v12, v9
	v_fma_f32 v8, -v8, v11, v10
	v_div_fmas_f32 v8, v8, v9, v11
	v_div_fixup_f32 v4, v8, v7, v4
	ds_write_b32 v6, v4
	v_mov_b32_e32 v4, v1
	s_mov_b32 s21, s18
	s_mov_b32 s22, s1
	s_cbranch_scc1 .LBB5_49
.LBB5_53:                               ;   Parent Loop BB5_50 Depth=1
                                        ; =>  This Inner Loop Header: Depth=2
	v_mov_b32_e32 v7, s21
	ds_read_b32 v6, v4
	ds_read_b32 v7, v7
	s_add_i32 s22, s22, -1
	s_add_i32 s21, s21, -16
	v_add_u32_e32 v4, -16, v4
	s_cmp_gt_i32 s22, s14
	s_waitcnt lgkmcnt(0)
	v_fma_f32 v3, -v6, v7, v3
	s_cbranch_scc1 .LBB5_53
	s_branch .LBB5_49
.LBB5_54:
	s_mov_b64 s[22:23], 0
.LBB5_55:
	s_andn2_b64 vcc, exec, s[22:23]
	s_cbranch_vccnz .LBB5_71
; %bb.56:
	s_and_b64 vcc, exec, s[12:13]
	s_mov_b32 s13, s9
	s_cbranch_vccz .LBB5_58
; %bb.57:
	s_lshl_b32 s12, s1, 2
	s_add_i32 s13, s12, -12
	v_lshlrev_b32_e32 v1, 2, v0
	v_or_b32_e32 v2, s13, v0
	s_add_i32 s15, s12, -16
	v_lshl_or_b32 v8, s9, 4, v1
	s_add_i32 s14, s1, -2
	v_lshlrev_b32_e32 v9, 2, v2
	v_or_b32_e32 v2, s15, v0
	s_mul_i32 s18, s9, 20
	v_lshl_or_b32 v1, s14, 4, v1
	v_lshlrev_b32_e32 v10, 2, v2
	v_mov_b32_e32 v2, s18
	ds_read_b32 v4, v8 offset:64
	ds_read_b32 v5, v1 offset:64
	;; [unrolled: 1-line block ×4, first 2 shown]
	ds_read_b32 v7, v2
	s_sub_i32 s12, s18, 20
	s_add_i32 s13, s13, s9
	v_mov_b32_e32 v3, s12
	s_lshl_b32 s12, s13, 2
	v_mov_b32_e32 v12, s12
	s_waitcnt lgkmcnt(0)
	v_div_scale_f32 v13, s[12:13], v7, v7, v4
	v_rcp_f32_e32 v14, v13
	ds_read2_b32 v[2:3], v3 offset1:1
	ds_read_b32 v12, v12
	s_add_i32 s15, s15, s14
	v_fma_f32 v15, -v13, v14, 1.0
	v_fmac_f32_e32 v14, v15, v14
	v_div_scale_f32 v15, vcc, v4, v7, v4
	v_mul_f32_e32 v16, v15, v14
	v_fma_f32 v17, -v13, v16, v15
	v_fmac_f32_e32 v16, v17, v14
	v_fma_f32 v13, -v13, v16, v15
	v_div_fmas_f32 v13, v13, v14, v16
	v_div_fixup_f32 v13, v13, v7, v4
	s_waitcnt lgkmcnt(1)
	v_fma_f32 v3, -v13, v3, v5
	v_div_scale_f32 v4, s[12:13], v2, v2, v3
	v_rcp_f32_e32 v5, v4
	s_sub_i32 s12, s18, 40
	s_waitcnt lgkmcnt(0)
	v_fma_f32 v12, -v13, v12, v6
	v_fma_f32 v7, -v4, v5, 1.0
	v_fmac_f32_e32 v5, v7, v5
	v_div_scale_f32 v7, vcc, v3, v2, v3
	v_mul_f32_e32 v14, v7, v5
	v_fma_f32 v15, -v4, v14, v7
	v_fmac_f32_e32 v14, v15, v5
	v_fma_f32 v4, -v4, v14, v7
	v_div_fmas_f32 v4, v4, v5, v14
	v_div_fixup_f32 v14, v4, v2, v3
	v_mov_b32_e32 v2, s12
	ds_read2_b32 v[2:3], v2 offset1:1
	s_lshl_b32 s12, s15, 2
	v_mov_b32_e32 v4, s12
	s_sub_i32 s12, s18, 60
	v_mov_b32_e32 v6, s12
	s_waitcnt lgkmcnt(0)
	v_fma_f32 v3, -v14, v3, v12
	v_div_scale_f32 v12, s[12:13], v2, v2, v3
	v_rcp_f32_e32 v15, v12
	ds_read2_b32 v[4:5], v4 offset1:1
	ds_read2_b32 v[6:7], v6 offset1:1
	v_fma_f32 v16, -v12, v15, 1.0
	v_fmac_f32_e32 v15, v16, v15
	v_div_scale_f32 v16, vcc, v3, v2, v3
	v_mul_f32_e32 v17, v16, v15
	v_fma_f32 v18, -v12, v17, v16
	v_fmac_f32_e32 v17, v18, v15
	v_fma_f32 v12, -v12, v17, v16
	v_div_fmas_f32 v12, v12, v15, v17
	v_div_fixup_f32 v2, v12, v2, v3
	s_waitcnt lgkmcnt(1)
	v_fma_f32 v3, -v13, v5, v11
	v_fma_f32 v3, -v14, v4, v3
	s_waitcnt lgkmcnt(0)
	v_fma_f32 v3, -v2, v7, v3
	v_div_scale_f32 v4, s[12:13], v6, v6, v3
	v_rcp_f32_e32 v5, v4
	ds_write_b32 v8, v13 offset:64
	ds_write_b32 v1, v14 offset:64
	;; [unrolled: 1-line block ×3, first 2 shown]
	s_add_i32 s13, s1, -5
	v_fma_f32 v1, -v4, v5, 1.0
	v_fmac_f32_e32 v5, v1, v5
	v_div_scale_f32 v1, vcc, v3, v6, v3
	v_mul_f32_e32 v2, v1, v5
	v_fma_f32 v7, -v4, v2, v1
	v_fmac_f32_e32 v2, v7, v5
	v_fma_f32 v1, -v4, v2, v1
	v_div_fmas_f32 v1, v1, v5, v2
	v_div_fixup_f32 v1, v1, v6, v3
	ds_write_b32 v10, v1 offset:64
.LBB5_58:
	s_cmp_lt_i32 s13, 0
	s_cbranch_scc1 .LBB5_71
; %bb.59:
	s_bitcmp1_b32 s13, 0
	s_cselect_b64 s[14:15], -1, 0
	s_and_b64 vcc, exec, s[14:15]
	s_mov_b32 s12, s13
	s_cbranch_vccnz .LBB5_64
; %bb.60:
	v_lshlrev_b32_e32 v3, 2, v0
	v_lshl_or_b32 v2, s13, 4, v3
	ds_read_b32 v1, v2 offset:64
	s_cmp_le_i32 s9, s13
	s_cbranch_scc1 .LBB5_63
; %bb.61:
	s_lshl_b32 s12, s13, 4
	s_lshl_b32 s14, s1, 2
	s_add_i32 s12, s12, s14
	v_lshl_or_b32 v3, s1, 4, v3
	s_add_i32 s12, s12, -4
	v_add_u32_e32 v3, 48, v3
	s_mov_b32 s14, s9
.LBB5_62:                               ; =>This Inner Loop Header: Depth=1
	v_mov_b32_e32 v5, s12
	ds_read_b32 v4, v3
	ds_read_b32 v5, v5
	s_add_i32 s14, s14, -1
	s_add_i32 s12, s12, -4
	v_add_u32_e32 v3, -16, v3
	s_cmp_gt_i32 s14, s13
	s_waitcnt lgkmcnt(0)
	v_fma_f32 v1, -v4, v5, v1
	s_cbranch_scc1 .LBB5_62
.LBB5_63:
	s_mul_i32 s12, s13, 20
	v_mov_b32_e32 v3, s12
	ds_read_b32 v3, v3
	v_add_u32_e32 v2, 64, v2
	s_add_i32 s12, s13, -1
	s_waitcnt lgkmcnt(0)
	v_div_scale_f32 v4, s[14:15], v3, v3, v1
	v_rcp_f32_e32 v5, v4
	v_div_scale_f32 v6, vcc, v1, v3, v1
	v_fma_f32 v7, -v4, v5, 1.0
	v_fmac_f32_e32 v5, v7, v5
	v_mul_f32_e32 v7, v6, v5
	v_fma_f32 v8, -v4, v7, v6
	v_fmac_f32_e32 v7, v8, v5
	v_fma_f32 v4, -v4, v7, v6
	v_div_fmas_f32 v4, v4, v5, v7
	v_div_fixup_f32 v1, v4, v3, v1
	ds_write_b32 v2, v1
.LBB5_64:
	s_cmp_eq_u32 s13, 0
	s_cbranch_scc1 .LBB5_71
; %bb.65:
	v_lshlrev_b32_e32 v1, 2, v0
	s_lshl_b32 s13, s12, 4
	s_lshl_b32 s14, s1, 2
	v_lshl_or_b32 v2, s1, 4, v1
	s_add_i32 s14, s13, s14
	v_add_u32_e32 v2, 48, v2
	s_add_i32 s13, s14, -4
	s_sub_i32 s14, s14, 20
	s_branch .LBB5_67
.LBB5_66:                               ;   in Loop: Header=BB5_67 Depth=1
	s_sub_i32 s15, s15, 20
	v_add_u32_e32 v4, 64, v5
	v_mov_b32_e32 v5, s15
	ds_read_b32 v5, v5
	s_add_i32 s15, s12, -2
	s_sub_i32 s13, s13, 32
	s_sub_i32 s14, s14, 32
	s_cmp_lt_i32 s12, 2
	s_waitcnt lgkmcnt(0)
	v_div_scale_f32 v6, s[18:19], v5, v5, v3
	v_rcp_f32_e32 v7, v6
	v_div_scale_f32 v8, vcc, v3, v5, v3
	s_mov_b32 s12, s15
	v_fma_f32 v9, -v6, v7, 1.0
	v_fmac_f32_e32 v7, v9, v7
	v_mul_f32_e32 v9, v8, v7
	v_fma_f32 v10, -v6, v9, v8
	v_fmac_f32_e32 v9, v10, v7
	v_fma_f32 v6, -v6, v9, v8
	v_div_fmas_f32 v6, v6, v7, v9
	v_div_fixup_f32 v3, v6, v5, v3
	ds_write_b32 v4, v3
	s_cbranch_scc1 .LBB5_71
.LBB5_67:                               ; =>This Loop Header: Depth=1
                                        ;     Child Loop BB5_68 Depth 2
                                        ;     Child Loop BB5_70 Depth 2
	v_lshl_or_b32 v3, s12, 4, v1
	ds_read_b32 v4, v3 offset:64
	s_cmp_le_i32 s9, s12
	s_mov_b32 s15, s13
	v_mov_b32_e32 v5, v2
	s_mov_b32 s18, s9
	s_cbranch_scc1 .LBB5_69
.LBB5_68:                               ;   Parent Loop BB5_67 Depth=1
                                        ; =>  This Inner Loop Header: Depth=2
	v_mov_b32_e32 v7, s15
	ds_read_b32 v6, v5
	ds_read_b32 v7, v7
	s_add_i32 s18, s18, -1
	s_add_i32 s15, s15, -4
	v_add_u32_e32 v5, -16, v5
	s_cmp_le_i32 s18, s12
	s_waitcnt lgkmcnt(0)
	v_fma_f32 v4, -v6, v7, v4
	s_cbranch_scc0 .LBB5_68
.LBB5_69:                               ;   in Loop: Header=BB5_67 Depth=1
	s_mul_i32 s15, s12, 20
	v_add_u32_e32 v6, 64, v3
	v_mov_b32_e32 v3, s15
	ds_read_b32 v7, v3
	s_lshl_b32 s18, s12, 4
	s_add_i32 s18, s18, -16
	v_lshl_or_b32 v5, v0, 2, s18
	ds_read_b32 v3, v5 offset:64
	s_waitcnt lgkmcnt(1)
	v_div_scale_f32 v8, s[18:19], v7, v7, v4
	v_rcp_f32_e32 v9, v8
	v_div_scale_f32 v10, vcc, v4, v7, v4
	s_cmp_le_i32 s1, s12
	v_fma_f32 v11, -v8, v9, 1.0
	v_fmac_f32_e32 v9, v11, v9
	v_mul_f32_e32 v11, v10, v9
	v_fma_f32 v12, -v8, v11, v10
	v_fmac_f32_e32 v11, v12, v9
	v_fma_f32 v8, -v8, v11, v10
	v_div_fmas_f32 v8, v8, v9, v11
	v_div_fixup_f32 v4, v8, v7, v4
	ds_write_b32 v6, v4
	v_mov_b32_e32 v4, v2
	s_mov_b32 s18, s14
	s_mov_b32 s19, s1
	s_cbranch_scc1 .LBB5_66
.LBB5_70:                               ;   Parent Loop BB5_67 Depth=1
                                        ; =>  This Inner Loop Header: Depth=2
	v_mov_b32_e32 v7, s18
	ds_read_b32 v6, v4
	ds_read_b32 v7, v7
	s_add_i32 s19, s19, -1
	s_add_i32 s18, s18, -4
	v_add_u32_e32 v4, -16, v4
	s_cmp_gt_i32 s19, s12
	s_waitcnt lgkmcnt(0)
	v_fma_f32 v3, -v6, v7, v3
	s_cbranch_scc1 .LBB5_70
	s_branch .LBB5_66
.LBB5_71:
	s_mov_b64 s[22:23], 0
.LBB5_72:
	s_andn2_b64 vcc, exec, s[22:23]
	s_cbranch_vccnz .LBB5_81
; %bb.73:
	s_cmp_gt_i32 s20, 3
	s_mov_b32 s9, 0
	s_cbranch_scc0 .LBB5_75
; %bb.74:
	v_lshlrev_b32_e32 v7, 2, v0
	v_mov_b32_e32 v1, 0
	ds_read2_b32 v[2:3], v7 offset0:16 offset1:20
	ds_read_b32 v10, v1
	ds_read_b64 v[8:9], v1 offset:16
	ds_read_b96 v[4:6], v1 offset:32
	s_mov_b32 s9, 4
	s_waitcnt lgkmcnt(2)
	v_div_scale_f32 v11, s[12:13], v10, v10, v2
	v_rcp_f32_e32 v12, v11
	v_div_scale_f32 v13, vcc, v2, v10, v2
	v_fma_f32 v14, -v11, v12, 1.0
	v_fmac_f32_e32 v12, v14, v12
	v_mul_f32_e32 v14, v13, v12
	v_fma_f32 v15, -v11, v14, v13
	v_fmac_f32_e32 v14, v15, v12
	v_fma_f32 v11, -v11, v14, v13
	v_div_fmas_f32 v11, v11, v12, v14
	v_div_fixup_f32 v12, v11, v10, v2
	s_waitcnt lgkmcnt(1)
	v_fma_f32 v2, -v12, v8, v3
	v_div_scale_f32 v3, s[12:13], v9, v9, v2
	v_rcp_f32_e32 v8, v3
	ds_read2_b32 v[10:11], v7 offset0:24 offset1:28
	v_fma_f32 v13, -v3, v8, 1.0
	v_fmac_f32_e32 v8, v13, v8
	v_div_scale_f32 v13, vcc, v2, v9, v2
	v_mul_f32_e32 v14, v13, v8
	v_fma_f32 v15, -v3, v14, v13
	v_fmac_f32_e32 v14, v15, v8
	v_fma_f32 v3, -v3, v14, v13
	v_div_fmas_f32 v3, v3, v8, v14
	v_div_fixup_f32 v8, v3, v9, v2
	s_waitcnt lgkmcnt(0)
	v_fma_f32 v2, -v12, v4, v10
	v_fma_f32 v9, -v8, v5, v2
	v_div_scale_f32 v10, s[12:13], v6, v6, v9
	v_rcp_f32_e32 v13, v10
	ds_read_b128 v[2:5], v1 offset:48
	ds_write2_b32 v7, v12, v8 offset0:16 offset1:20
	v_fma_f32 v1, -v10, v13, 1.0
	v_fmac_f32_e32 v13, v1, v13
	v_div_scale_f32 v1, vcc, v9, v6, v9
	v_mul_f32_e32 v14, v1, v13
	v_fma_f32 v15, -v10, v14, v1
	v_fmac_f32_e32 v14, v15, v13
	v_fma_f32 v1, -v10, v14, v1
	v_div_fmas_f32 v1, v1, v13, v14
	s_waitcnt lgkmcnt(1)
	v_fma_f32 v2, -v12, v2, v11
	v_div_fixup_f32 v1, v1, v6, v9
	v_fma_f32 v2, -v8, v3, v2
	v_fma_f32 v2, -v1, v4, v2
	v_div_scale_f32 v3, s[12:13], v5, v5, v2
	v_rcp_f32_e32 v4, v3
	v_fma_f32 v6, -v3, v4, 1.0
	v_fmac_f32_e32 v4, v6, v4
	v_div_scale_f32 v6, vcc, v2, v5, v2
	v_mul_f32_e32 v8, v6, v4
	v_fma_f32 v9, -v3, v8, v6
	v_fmac_f32_e32 v8, v9, v4
	v_fma_f32 v3, -v3, v8, v6
	v_div_fmas_f32 v3, v3, v4, v8
	v_div_fixup_f32 v2, v3, v5, v2
	ds_write2_b32 v7, v1, v2 offset0:24 offset1:28
.LBB5_75:
	s_cmp_ge_i32 s9, s1
	s_cbranch_scc1 .LBB5_81
; %bb.76:
	v_lshl_or_b32 v1, v0, 2, 64
	s_lshl_b32 s12, s9, 4
	v_lshlrev_b32_e32 v2, 2, v0
	s_branch .LBB5_78
.LBB5_77:                               ;   in Loop: Header=BB5_78 Depth=1
	s_mul_i32 s13, s9, 20
	v_mov_b32_e32 v5, s13
	ds_read_b32 v5, v5
	s_add_i32 s9, s9, 1
	s_add_i32 s12, s12, 16
	v_add_u32_e32 v4, 64, v4
	s_cmp_ge_i32 s9, s1
	s_waitcnt lgkmcnt(0)
	v_div_scale_f32 v6, s[14:15], v5, v5, v3
	v_rcp_f32_e32 v7, v6
	v_div_scale_f32 v8, vcc, v3, v5, v3
	v_fma_f32 v9, -v6, v7, 1.0
	v_fmac_f32_e32 v7, v9, v7
	v_mul_f32_e32 v9, v8, v7
	v_fma_f32 v10, -v6, v9, v8
	v_fmac_f32_e32 v9, v10, v7
	v_fma_f32 v6, -v6, v9, v8
	v_div_fmas_f32 v6, v6, v7, v9
	v_div_fixup_f32 v3, v6, v5, v3
	ds_write_b32 v4, v3
	s_cbranch_scc1 .LBB5_81
.LBB5_78:                               ; =>This Loop Header: Depth=1
                                        ;     Child Loop BB5_80 Depth 2
	v_lshl_or_b32 v4, s9, 4, v2
	ds_read_b32 v3, v4 offset:64
	s_cmp_eq_u32 s9, 0
	s_cbranch_scc1 .LBB5_77
; %bb.79:                               ;   in Loop: Header=BB5_78 Depth=1
	s_mov_b32 s13, 0
	s_mov_b32 s14, s12
	v_mov_b32_e32 v5, v1
.LBB5_80:                               ;   Parent Loop BB5_78 Depth=1
                                        ; =>  This Inner Loop Header: Depth=2
	v_mov_b32_e32 v7, s14
	ds_read_b32 v6, v5
	ds_read_b32 v7, v7
	s_add_i32 s13, s13, 1
	s_add_i32 s14, s14, 4
	v_add_u32_e32 v5, 16, v5
	s_cmp_ge_u32 s13, s9
	s_waitcnt lgkmcnt(0)
	v_fma_f32 v3, -v6, v7, v3
	s_cbranch_scc0 .LBB5_80
	s_branch .LBB5_77
.LBB5_81:
	s_and_saveexec_b64 s[12:13], s[6:7]
	s_cbranch_execz .LBB5_93
; %bb.82:
	s_cmp_lt_u32 s20, 2
	s_cselect_b64 s[6:7], -1, 0
	s_cmp_lg_u32 s8, 1
	s_cselect_b64 s[12:13], -1, 0
	s_or_b64 s[6:7], s[6:7], s[12:13]
	s_mov_b32 s1, 1
	s_and_b64 vcc, exec, s[6:7]
	s_cbranch_vccnz .LBB5_90
; %bb.83:
	s_add_i32 s6, s20, -2
	s_lshr_b32 s7, s6, 1
	s_add_i32 s7, s7, 1
	s_mov_b32 s9, 0
	s_cmp_lt_u32 s6, 14
	s_mov_b32 s6, s9
	s_cbranch_scc1 .LBB5_86
; %bb.84:
	s_mul_i32 s1, s17, s0
	s_mul_hi_u32 s6, s16, s0
	s_add_i32 s15, s6, s1
	s_mul_i32 s14, s16, s0
	s_and_b32 s12, s7, -8
	s_lshl_b64 s[14:15], s[14:15], 2
	s_add_u32 s1, s14, s4
	s_addc_u32 s6, s15, s5
	s_lshl_b64 s[14:15], s[2:3], 2
	s_add_u32 s1, s1, s14
	s_addc_u32 s6, s6, s15
	s_add_u32 s1, s10, s1
	v_lshlrev_b32_e32 v1, 2, v0
	s_addc_u32 s6, s11, s6
	v_mov_b32_e32 v2, s6
	v_add_co_u32_e32 v1, vcc, s1, v1
	v_addc_co_u32_e32 v3, vcc, 0, v2, vcc
	v_add_co_u32_e32 v2, vcc, 56, v1
	v_addc_co_u32_e32 v3, vcc, 0, v3, vcc
	s_mov_b32 s1, 1
	s_mov_b32 s6, 0
.LBB5_85:                               ; =>This Inner Loop Header: Depth=1
	s_lshl_b32 s13, s9, 2
	s_lshl_b32 s14, s1, 2
	v_or_b32_e32 v4, s13, v0
	s_add_i32 s15, s13, 8
	s_add_i32 s18, s14, 8
	;; [unrolled: 1-line block ×8, first 2 shown]
	v_or_b32_e32 v1, s14, v0
	s_add_i32 s21, s14, 16
	s_add_i32 s23, s14, 24
	;; [unrolled: 1-line block ×6, first 2 shown]
	v_or_b32_e32 v5, s18, v0
	v_or_b32_e32 v6, s15, v0
	;; [unrolled: 1-line block ×8, first 2 shown]
	v_lshlrev_b32_e32 v4, 2, v4
	v_or_b32_e32 v7, s21, v0
	v_or_b32_e32 v9, s23, v0
	;; [unrolled: 1-line block ×6, first 2 shown]
	v_lshlrev_b32_e32 v6, 2, v6
	v_lshlrev_b32_e32 v19, 2, v5
	;; [unrolled: 1-line block ×15, first 2 shown]
	ds_read_b32 v4, v4 offset:64
	ds_read_b32 v5, v1 offset:64
	;; [unrolled: 1-line block ×16, first 2 shown]
	s_add_i32 s6, s6, 16
	s_add_i32 s1, s1, 16
	s_add_i32 s9, s9, 16
	s_add_i32 s12, s12, -8
	s_waitcnt lgkmcnt(12)
	global_store_dwordx4 v[2:3], v[4:7], off offset:-56
	s_waitcnt lgkmcnt(8)
	global_store_dwordx4 v[2:3], v[8:11], off offset:-40
	;; [unrolled: 2-line block ×4, first 2 shown]
	v_add_co_u32_e32 v2, vcc, 64, v2
	s_cmp_lg_u32 s12, 0
	v_addc_co_u32_e32 v3, vcc, 0, v3, vcc
	s_cbranch_scc1 .LBB5_85
.LBB5_86:
	s_and_b32 s12, s7, 7
	s_cmp_eq_u32 s12, 0
	s_mov_b32 s7, 0
	s_cbranch_scc1 .LBB5_89
; %bb.87:
	s_mul_i32 s13, s17, s0
	s_mul_hi_u32 s14, s16, s0
	s_add_i32 s15, s14, s13
	s_mul_i32 s14, s16, s0
	s_lshl_b64 s[14:15], s[14:15], 2
	s_add_u32 s13, s14, s4
	s_addc_u32 s18, s15, s5
	s_lshl_b64 s[14:15], s[2:3], 2
	s_add_u32 s13, s13, s14
	s_addc_u32 s14, s18, s15
	;; [unrolled: 3-line block ×3, first 2 shown]
	s_add_u32 s6, s6, s13
	v_lshlrev_b32_e32 v1, 2, v0
	s_addc_u32 s7, s7, s14
	v_mov_b32_e32 v3, s7
	v_add_co_u32_e32 v2, vcc, s6, v1
	v_addc_co_u32_e32 v3, vcc, 0, v3, vcc
.LBB5_88:                               ; =>This Inner Loop Header: Depth=1
	v_lshl_or_b32 v4, s9, 4, v1
	v_lshl_or_b32 v5, s1, 4, v1
	ds_read_b32 v4, v4 offset:64
	ds_read_b32 v5, v5 offset:64
	s_add_i32 s1, s1, 2
	s_add_i32 s9, s9, 2
	s_add_i32 s12, s12, -1
	s_cmp_lg_u32 s12, 0
	s_waitcnt lgkmcnt(0)
	global_store_dwordx2 v[2:3], v[4:5], off
	v_add_co_u32_e32 v2, vcc, 8, v2
	v_addc_co_u32_e32 v3, vcc, 0, v3, vcc
	s_cbranch_scc1 .LBB5_88
.LBB5_89:
	s_and_b32 s1, s20, 0x7ffffffe
	s_cmp_lg_u32 s1, s20
	s_cselect_b64 s[6:7], -1, 0
	s_and_b64 vcc, exec, s[6:7]
	s_cbranch_vccnz .LBB5_91
	s_branch .LBB5_93
.LBB5_90:
	s_mov_b32 s1, 0
	s_cbranch_execz .LBB5_93
.LBB5_91:
	s_mul_i32 s7, s17, s0
	s_mul_hi_u32 s12, s16, s0
	v_lshlrev_b32_e32 v0, 2, v0
	s_add_i32 s13, s12, s7
	s_mul_i32 s12, s16, s0
	s_mul_hi_i32 s15, s8, s1
	s_mul_i32 s14, s8, s1
	s_ashr_i32 s9, s8, 31
	v_lshl_or_b32 v1, s1, 4, v0
	s_sub_i32 s6, s20, s1
	s_lshl_b64 s[12:13], s[12:13], 2
	s_lshl_b64 s[0:1], s[14:15], 2
	s_add_u32 s0, s12, s0
	s_addc_u32 s1, s13, s1
	s_add_u32 s4, s0, s4
	s_addc_u32 s5, s1, s5
	s_lshl_b64 s[0:1], s[2:3], 2
	s_add_u32 s0, s4, s0
	s_addc_u32 s1, s5, s1
	s_add_u32 s0, s10, s0
	s_addc_u32 s1, s11, s1
	v_add_u32_e32 v2, 64, v1
	v_mov_b32_e32 v1, s1
	v_add_co_u32_e32 v0, vcc, s0, v0
	s_lshl_b64 s[0:1], s[8:9], 2
	v_addc_co_u32_e32 v1, vcc, 0, v1, vcc
	v_mov_b32_e32 v3, s1
.LBB5_92:                               ; =>This Inner Loop Header: Depth=1
	ds_read_b32 v4, v2
	s_add_i32 s6, s6, -1
	v_add_u32_e32 v2, 16, v2
	s_cmp_lg_u32 s6, 0
	s_waitcnt lgkmcnt(0)
	global_store_dword v[0:1], v4, off
	v_add_co_u32_e32 v0, vcc, s0, v0
	v_addc_co_u32_e32 v1, vcc, v1, v3, vcc
	s_cbranch_scc1 .LBB5_92
.LBB5_93:
	s_endpgm
	.section	.rodata,"a",@progbits
	.p2align	6, 0x0
	.amdhsa_kernel _ZL31rocblas_trsm_small_right_deviceIffPKfPfLi4EEv13rocblas_fill_18rocblas_operation_17rocblas_diagonal_iiT0_T1_lilT2_lili
		.amdhsa_group_segment_fixed_size 128
		.amdhsa_private_segment_fixed_size 0
		.amdhsa_kernarg_size 352
		.amdhsa_user_sgpr_count 6
		.amdhsa_user_sgpr_private_segment_buffer 1
		.amdhsa_user_sgpr_dispatch_ptr 0
		.amdhsa_user_sgpr_queue_ptr 0
		.amdhsa_user_sgpr_kernarg_segment_ptr 1
		.amdhsa_user_sgpr_dispatch_id 0
		.amdhsa_user_sgpr_flat_scratch_init 0
		.amdhsa_user_sgpr_kernarg_preload_length 0
		.amdhsa_user_sgpr_kernarg_preload_offset 0
		.amdhsa_user_sgpr_private_segment_size 0
		.amdhsa_uses_dynamic_stack 0
		.amdhsa_system_sgpr_private_segment_wavefront_offset 0
		.amdhsa_system_sgpr_workgroup_id_x 1
		.amdhsa_system_sgpr_workgroup_id_y 0
		.amdhsa_system_sgpr_workgroup_id_z 1
		.amdhsa_system_sgpr_workgroup_info 0
		.amdhsa_system_vgpr_workitem_id 0
		.amdhsa_next_free_vgpr 35
		.amdhsa_next_free_sgpr 44
		.amdhsa_accum_offset 36
		.amdhsa_reserve_vcc 1
		.amdhsa_reserve_flat_scratch 0
		.amdhsa_float_round_mode_32 0
		.amdhsa_float_round_mode_16_64 0
		.amdhsa_float_denorm_mode_32 3
		.amdhsa_float_denorm_mode_16_64 3
		.amdhsa_dx10_clamp 1
		.amdhsa_ieee_mode 1
		.amdhsa_fp16_overflow 0
		.amdhsa_tg_split 0
		.amdhsa_exception_fp_ieee_invalid_op 0
		.amdhsa_exception_fp_denorm_src 0
		.amdhsa_exception_fp_ieee_div_zero 0
		.amdhsa_exception_fp_ieee_overflow 0
		.amdhsa_exception_fp_ieee_underflow 0
		.amdhsa_exception_fp_ieee_inexact 0
		.amdhsa_exception_int_div_zero 0
	.end_amdhsa_kernel
	.section	.text._ZL31rocblas_trsm_small_right_deviceIffPKfPfLi4EEv13rocblas_fill_18rocblas_operation_17rocblas_diagonal_iiT0_T1_lilT2_lili,"axG",@progbits,_ZL31rocblas_trsm_small_right_deviceIffPKfPfLi4EEv13rocblas_fill_18rocblas_operation_17rocblas_diagonal_iiT0_T1_lilT2_lili,comdat
.Lfunc_end5:
	.size	_ZL31rocblas_trsm_small_right_deviceIffPKfPfLi4EEv13rocblas_fill_18rocblas_operation_17rocblas_diagonal_iiT0_T1_lilT2_lili, .Lfunc_end5-_ZL31rocblas_trsm_small_right_deviceIffPKfPfLi4EEv13rocblas_fill_18rocblas_operation_17rocblas_diagonal_iiT0_T1_lilT2_lili
                                        ; -- End function
	.section	.AMDGPU.csdata,"",@progbits
; Kernel info:
; codeLenInByte = 7104
; NumSgprs: 48
; NumVgprs: 35
; NumAgprs: 0
; TotalNumVgprs: 35
; ScratchSize: 0
; MemoryBound: 0
; FloatMode: 240
; IeeeMode: 1
; LDSByteSize: 128 bytes/workgroup (compile time only)
; SGPRBlocks: 5
; VGPRBlocks: 4
; NumSGPRsForWavesPerEU: 48
; NumVGPRsForWavesPerEU: 35
; AccumOffset: 36
; Occupancy: 8
; WaveLimiterHint : 0
; COMPUTE_PGM_RSRC2:SCRATCH_EN: 0
; COMPUTE_PGM_RSRC2:USER_SGPR: 6
; COMPUTE_PGM_RSRC2:TRAP_HANDLER: 0
; COMPUTE_PGM_RSRC2:TGID_X_EN: 1
; COMPUTE_PGM_RSRC2:TGID_Y_EN: 0
; COMPUTE_PGM_RSRC2:TGID_Z_EN: 1
; COMPUTE_PGM_RSRC2:TIDIG_COMP_CNT: 0
; COMPUTE_PGM_RSRC3_GFX90A:ACCUM_OFFSET: 8
; COMPUTE_PGM_RSRC3_GFX90A:TG_SPLIT: 0
	.section	.text._ZL38rocblas_trsm_small_left_device_sharedBILi8ELi8ELb0EffPKfPfEv13rocblas_fill_18rocblas_operation_17rocblas_diagonal_iiT3_T4_lilT5_lili,"axG",@progbits,_ZL38rocblas_trsm_small_left_device_sharedBILi8ELi8ELb0EffPKfPfEv13rocblas_fill_18rocblas_operation_17rocblas_diagonal_iiT3_T4_lilT5_lili,comdat
	.globl	_ZL38rocblas_trsm_small_left_device_sharedBILi8ELi8ELb0EffPKfPfEv13rocblas_fill_18rocblas_operation_17rocblas_diagonal_iiT3_T4_lilT5_lili ; -- Begin function _ZL38rocblas_trsm_small_left_device_sharedBILi8ELi8ELb0EffPKfPfEv13rocblas_fill_18rocblas_operation_17rocblas_diagonal_iiT3_T4_lilT5_lili
	.p2align	8
	.type	_ZL38rocblas_trsm_small_left_device_sharedBILi8ELi8ELb0EffPKfPfEv13rocblas_fill_18rocblas_operation_17rocblas_diagonal_iiT3_T4_lilT5_lili,@function
_ZL38rocblas_trsm_small_left_device_sharedBILi8ELi8ELb0EffPKfPfEv13rocblas_fill_18rocblas_operation_17rocblas_diagonal_iiT3_T4_lilT5_lili: ; @_ZL38rocblas_trsm_small_left_device_sharedBILi8ELi8ELb0EffPKfPfEv13rocblas_fill_18rocblas_operation_17rocblas_diagonal_iiT3_T4_lilT5_lili
; %bb.0:
	s_load_dwordx4 s[0:3], s[4:5], 0x4
	s_load_dword s25, s[4:5], 0x14
	s_load_dwordx4 s[8:11], s[4:5], 0x30
	s_load_dwordx2 s[16:17], s[4:5], 0x40
	s_mov_b32 s26, 0
	s_waitcnt lgkmcnt(0)
	s_min_i32 s24, s2, 8
	v_cmp_gt_i32_e32 vcc, s24, v0
	s_and_saveexec_b64 s[18:19], vcc
	s_cbranch_execz .LBB6_15
; %bb.1:
	s_load_dword s20, s[4:5], 0x28
	s_load_dwordx4 s[12:15], s[4:5], 0x18
	s_cmp_gt_u32 s24, 1
	s_cselect_b64 s[22:23], -1, 0
	s_mov_b32 s21, 1
	s_waitcnt lgkmcnt(0)
	s_cmp_eq_u32 s20, 1
	s_cselect_b64 s[28:29], -1, 0
	s_and_b64 s[28:29], s[22:23], s[28:29]
	s_mov_b64 s[22:23], -1
	s_and_b64 vcc, exec, s[28:29]
	s_cbranch_vccz .LBB6_9
; %bb.2:
	s_add_i32 s22, s24, -2
	s_lshr_b32 s23, s22, 1
	s_add_i32 s23, s23, 1
	s_cmp_lt_u32 s22, 14
	s_mov_b32 s22, s26
	s_cbranch_scc1 .LBB6_5
; %bb.3:
	s_mul_i32 s21, s9, s7
	s_mul_hi_u32 s22, s8, s7
	s_add_i32 s29, s22, s21
	s_mul_i32 s28, s8, s7
	s_and_b32 s27, s23, -8
	s_lshl_b64 s[28:29], s[28:29], 2
	s_lshl_b64 s[30:31], s[14:15], 2
	s_add_u32 s21, s28, s30
	s_addc_u32 s22, s29, s31
	s_add_u32 s21, s12, s21
	v_lshlrev_b32_e32 v1, 2, v0
	s_addc_u32 s22, s13, s22
	v_mov_b32_e32 v2, s22
	v_add_co_u32_e32 v1, vcc, s21, v1
	v_addc_co_u32_e32 v3, vcc, 0, v2, vcc
	v_add_co_u32_e32 v2, vcc, 56, v1
	v_addc_co_u32_e32 v3, vcc, 0, v3, vcc
	s_mov_b32 s21, 1
	s_mov_b32 s22, 0
.LBB6_4:                                ; =>This Inner Loop Header: Depth=1
	global_load_dwordx4 v[4:7], v[2:3], off offset:-56
	global_load_dwordx4 v[8:11], v[2:3], off offset:-40
	;; [unrolled: 1-line block ×4, first 2 shown]
	s_lshl_b32 s28, s26, 3
	s_lshl_b32 s29, s21, 3
	s_add_i32 s22, s22, 16
	s_add_i32 s21, s21, 16
	;; [unrolled: 1-line block ×3, first 2 shown]
	s_add_i32 s27, s27, -8
	v_add_co_u32_e32 v2, vcc, 64, v2
	v_or_b32_e32 v1, s29, v0
	v_or_b32_e32 v20, s28, v0
	s_add_i32 s30, s28, 16
	s_add_i32 s31, s29, 16
	;; [unrolled: 1-line block ×12, first 2 shown]
	s_addk_i32 s28, 0x70
	s_addk_i32 s29, 0x70
	v_addc_co_u32_e32 v3, vcc, 0, v3, vcc
	v_lshlrev_b32_e32 v20, 2, v20
	v_or_b32_e32 v21, s31, v0
	v_or_b32_e32 v22, s30, v0
	v_or_b32_e32 v23, s34, v0
	v_or_b32_e32 v24, s33, v0
	v_or_b32_e32 v25, s36, v0
	v_or_b32_e32 v26, s35, v0
	v_or_b32_e32 v27, s38, v0
	v_or_b32_e32 v28, s37, v0
	v_or_b32_e32 v29, s40, v0
	v_or_b32_e32 v30, s39, v0
	v_or_b32_e32 v31, s42, v0
	v_or_b32_e32 v32, s41, v0
	v_or_b32_e32 v33, s29, v0
	v_or_b32_e32 v34, s28, v0
	s_cmp_lg_u32 s27, 0
	v_lshlrev_b32_e32 v1, 2, v1
	v_lshlrev_b32_e32 v22, 2, v22
	;; [unrolled: 1-line block ×15, first 2 shown]
	s_waitcnt vmcnt(3)
	ds_write_b32 v20, v4
	ds_write_b32 v1, v5
	ds_write_b32 v22, v6
	ds_write_b32 v21, v7
	s_waitcnt vmcnt(2)
	ds_write_b32 v24, v8
	ds_write_b32 v23, v9
	ds_write_b32 v26, v10
	ds_write_b32 v25, v11
	;; [unrolled: 5-line block ×4, first 2 shown]
	s_cbranch_scc1 .LBB6_4
.LBB6_5:
	s_and_b32 s27, s23, 7
	s_cmp_eq_u32 s27, 0
	s_mov_b32 s23, 0
	s_cbranch_scc1 .LBB6_8
; %bb.6:
	s_mul_i32 s28, s9, s7
	s_mul_hi_u32 s29, s8, s7
	s_add_i32 s29, s29, s28
	s_mul_i32 s28, s8, s7
	s_lshl_b64 s[28:29], s[28:29], 2
	s_lshl_b64 s[30:31], s[14:15], 2
	s_add_u32 s28, s28, s30
	s_addc_u32 s29, s29, s31
	s_lshl_b64 s[22:23], s[22:23], 2
	s_add_u32 s22, s12, s22
	s_addc_u32 s23, s13, s23
	s_add_u32 s22, s22, s28
	v_lshlrev_b32_e32 v1, 2, v0
	s_addc_u32 s23, s23, s29
	v_mov_b32_e32 v3, s23
	v_add_co_u32_e32 v2, vcc, s22, v1
	v_addc_co_u32_e32 v3, vcc, 0, v3, vcc
	s_lshl_b32 s22, s27, 3
.LBB6_7:                                ; =>This Inner Loop Header: Depth=1
	global_load_dwordx2 v[4:5], v[2:3], off
	v_lshl_or_b32 v6, s26, 5, v1
	v_lshl_or_b32 v7, s21, 5, v1
	s_add_i32 s21, s21, 2
	s_add_i32 s26, s26, 2
	v_add_co_u32_e32 v2, vcc, 8, v2
	s_add_i32 s22, s22, -8
	v_addc_co_u32_e32 v3, vcc, 0, v3, vcc
	s_cmp_lg_u32 s22, 0
	s_waitcnt vmcnt(0)
	ds_write_b32 v6, v4
	ds_write_b32 v7, v5
	s_cbranch_scc1 .LBB6_7
.LBB6_8:
	s_and_b32 s26, s24, -2
	s_cmp_lg_u32 s24, s26
	s_cselect_b64 s[22:23], -1, 0
.LBB6_9:
	s_and_b64 vcc, exec, s[22:23]
	s_cbranch_vccz .LBB6_12
; %bb.10:
	s_ashr_i32 s21, s20, 31
	s_mul_i32 s9, s9, s7
	s_mul_hi_u32 s22, s8, s7
	s_add_i32 s9, s22, s9
	s_mul_hi_u32 s22, s20, s26
	s_mul_i32 s23, s21, s26
	s_mul_i32 s8, s8, s7
	s_add_i32 s23, s22, s23
	s_mul_i32 s22, s20, s26
	s_lshl_b64 s[8:9], s[8:9], 2
	s_lshl_b64 s[22:23], s[22:23], 2
	s_add_u32 s22, s8, s22
	s_addc_u32 s23, s9, s23
	s_lshl_b64 s[8:9], s[14:15], 2
	s_add_u32 s8, s22, s8
	s_addc_u32 s9, s23, s9
	s_add_u32 s8, s12, s8
	v_lshlrev_b32_e32 v1, 2, v0
	s_addc_u32 s9, s13, s9
	v_mov_b32_e32 v3, s9
	v_add_co_u32_e32 v2, vcc, s8, v1
	s_lshl_b64 s[8:9], s[20:21], 2
	v_addc_co_u32_e32 v3, vcc, 0, v3, vcc
	v_lshl_or_b32 v1, s26, 5, v1
	s_sub_i32 s12, s24, s26
	v_mov_b32_e32 v4, s9
.LBB6_11:                               ; =>This Inner Loop Header: Depth=1
	global_load_dword v5, v[2:3], off
	v_add_co_u32_e32 v2, vcc, s8, v2
	s_add_i32 s12, s12, -1
	v_addc_co_u32_e32 v3, vcc, v3, v4, vcc
	s_cmp_eq_u32 s12, 0
	s_waitcnt vmcnt(0)
	ds_write_b32 v1, v5
	v_add_u32_e32 v1, 32, v1
	s_cbranch_scc0 .LBB6_11
.LBB6_12:
	v_mul_u32_u24_e32 v1, 9, v0
	s_cmpk_lg_i32 s1, 0x84
	v_lshlrev_b32_e32 v1, 2, v1
	v_mov_b32_e32 v2, 1.0
	s_cbranch_scc0 .LBB6_14
; %bb.13:
	ds_read_b32 v2, v1
	s_waitcnt lgkmcnt(0)
	v_div_scale_f32 v3, s[8:9], v2, v2, 1.0
	v_rcp_f32_e32 v4, v3
	v_div_scale_f32 v5, vcc, 1.0, v2, 1.0
	v_fma_f32 v6, -v3, v4, 1.0
	v_fmac_f32_e32 v4, v6, v4
	v_mul_f32_e32 v6, v5, v4
	v_fma_f32 v7, -v3, v6, v5
	v_fmac_f32_e32 v6, v7, v4
	v_fma_f32 v3, -v3, v6, v5
	v_div_fmas_f32 v3, v3, v4, v6
	v_div_fixup_f32 v2, v3, v2, 1.0
.LBB6_14:
	ds_write_b32 v1, v2
.LBB6_15:
	s_or_b64 exec, exec, s[18:19]
	s_load_dword s1, s[4:5], 0x60
	s_load_dwordx2 s[12:13], s[4:5], 0x50
	s_load_dword s8, s[4:5], 0x48
	v_lshlrev_b32_e32 v10, 2, v0
	s_waitcnt lgkmcnt(0)
	s_mul_i32 s5, s7, s13
	s_mul_hi_u32 s9, s7, s12
	s_mul_i32 s4, s7, s12
	s_add_i32 s5, s9, s5
	s_lshl_b64 s[4:5], s[4:5], 2
	s_add_u32 s7, s10, s4
	s_addc_u32 s9, s11, s5
	s_lshl_b64 s[4:5], s[16:17], 2
	s_add_u32 s7, s7, s4
	s_addc_u32 s9, s9, s5
	s_lshl_b32 s4, s6, 3
	s_add_i32 s1, s1, -1
	s_sub_i32 s3, s3, s4
	s_cmp_ge_u32 s6, s1
	s_mul_hi_i32 s5, s8, s4
	s_mul_i32 s4, s8, s4
	s_cselect_b32 s1, s3, 8
	s_lshl_b64 s[4:5], s[4:5], 2
	s_add_u32 s3, s7, s4
	s_addc_u32 s9, s9, s5
	s_cmp_gt_i32 s2, 0
	v_cmp_gt_i32_e32 vcc, s1, v0
	s_cselect_b64 s[4:5], -1, 0
	s_and_b64 s[4:5], vcc, s[4:5]
	s_and_saveexec_b64 s[6:7], s[4:5]
	s_cbranch_execz .LBB6_24
; %bb.16:
	v_mad_i64_i32 v[2:3], s[10:11], s8, v0, 0
	v_lshlrev_b64 v[2:3], 2, v[2:3]
	v_mov_b32_e32 v1, s9
	v_add_co_u32_e32 v2, vcc, s3, v2
	v_addc_co_u32_e32 v3, vcc, v1, v3, vcc
	global_load_dword v1, v[2:3], off
	s_cmp_eq_u32 s2, 1
	s_waitcnt vmcnt(0)
	v_mul_f32_e32 v1, s25, v1
	ds_write_b32 v10, v1 offset:256
	s_cbranch_scc1 .LBB6_24
; %bb.17:
	global_load_dword v4, v[2:3], off offset:4
	v_or_b32_e32 v1, 0x100, v10
	s_cmp_eq_u32 s2, 2
	s_waitcnt vmcnt(0)
	v_mul_f32_e32 v4, s25, v4
	ds_write_b32 v1, v4 offset:32
	s_cbranch_scc1 .LBB6_24
; %bb.18:
	global_load_dword v4, v[2:3], off offset:8
	s_cmp_eq_u32 s2, 3
	s_waitcnt vmcnt(0)
	v_mul_f32_e32 v4, s25, v4
	ds_write_b32 v1, v4 offset:64
	s_cbranch_scc1 .LBB6_24
; %bb.19:
	global_load_dword v4, v[2:3], off offset:12
	s_cmp_eq_u32 s2, 4
	s_waitcnt vmcnt(0)
	v_mul_f32_e32 v4, s25, v4
	ds_write_b32 v1, v4 offset:96
	s_cbranch_scc1 .LBB6_24
; %bb.20:
	global_load_dword v4, v[2:3], off offset:16
	s_cmp_eq_u32 s2, 5
	s_waitcnt vmcnt(0)
	v_mul_f32_e32 v4, s25, v4
	ds_write_b32 v1, v4 offset:128
	s_cbranch_scc1 .LBB6_24
; %bb.21:
	global_load_dword v4, v[2:3], off offset:20
	s_cmp_eq_u32 s2, 6
	s_waitcnt vmcnt(0)
	v_mul_f32_e32 v4, s25, v4
	ds_write_b32 v1, v4 offset:160
	s_cbranch_scc1 .LBB6_24
; %bb.22:
	global_load_dword v4, v[2:3], off offset:24
	s_cmp_eq_u32 s2, 7
	s_waitcnt vmcnt(0)
	v_mul_f32_e32 v4, s25, v4
	ds_write_b32 v1, v4 offset:192
	s_cbranch_scc1 .LBB6_24
; %bb.23:
	global_load_dword v2, v[2:3], off offset:28
	s_waitcnt vmcnt(0)
	v_mul_f32_e32 v2, s25, v2
	ds_write_b32 v1, v2 offset:224
.LBB6_24:
	s_or_b64 exec, exec, s[6:7]
	s_cmpk_eq_i32 s0, 0x6f
	s_mov_b64 s[0:1], -1
	s_waitcnt lgkmcnt(0)
	; wave barrier
	s_waitcnt lgkmcnt(0)
	s_cbranch_scc1 .LBB6_47
; %bb.25:
	s_cmp_gt_i32 s2, 7
	s_cbranch_scc0 .LBB6_27
; %bb.26:
	ds_read2_b32 v[2:3], v10 offset0:64 offset1:72
	ds_read2_b32 v[12:13], v10 offset0:80 offset1:88
	v_mov_b32_e32 v1, 0
	ds_read_b32 v9, v1
	ds_read_b64 v[4:5], v1 offset:32
	ds_read2_b32 v[14:15], v10 offset0:96 offset1:104
	ds_read2_b32 v[16:17], v10 offset0:112 offset1:120
	ds_read_b96 v[6:8], v1 offset:64
	s_mov_b32 s1, 8
	s_waitcnt lgkmcnt(4)
	v_mul_f32_e32 v11, v2, v9
	s_waitcnt lgkmcnt(3)
	v_fma_f32 v2, -v11, v4, v3
	v_mul_f32_e32 v18, v2, v5
	ds_read_b128 v[2:5], v1 offset:96
	s_waitcnt lgkmcnt(1)
	v_fma_f32 v6, -v11, v6, v12
	v_fma_f32 v6, -v18, v7, v6
	v_mul_f32_e32 v19, v6, v8
	ds_read_b128 v[6:9], v1 offset:128
	s_waitcnt lgkmcnt(1)
	v_fma_f32 v2, -v11, v2, v13
	v_fma_f32 v2, -v18, v3, v2
	;; [unrolled: 1-line block ×3, first 2 shown]
	v_mul_f32_e32 v20, v2, v5
	ds_write2_b32 v10, v11, v18 offset0:64 offset1:72
	ds_write2_b32 v10, v19, v20 offset0:80 offset1:88
	s_waitcnt lgkmcnt(2)
	v_fma_f32 v6, -v11, v6, v14
	ds_read_b32 v12, v1 offset:144
	ds_read_b128 v[2:5], v1 offset:160
	v_fma_f32 v6, -v18, v7, v6
	v_fma_f32 v6, -v19, v8, v6
	;; [unrolled: 1-line block ×3, first 2 shown]
	s_waitcnt lgkmcnt(1)
	v_mul_f32_e32 v21, v6, v12
	ds_read_b64 v[12:13], v1 offset:176
	ds_read_b128 v[6:9], v1 offset:192
	s_waitcnt lgkmcnt(2)
	v_fma_f32 v2, -v11, v2, v15
	v_fma_f32 v2, -v18, v3, v2
	;; [unrolled: 1-line block ×4, first 2 shown]
	s_waitcnt lgkmcnt(1)
	v_fma_f32 v2, -v21, v12, v2
	v_mul_f32_e32 v15, v2, v13
	s_waitcnt lgkmcnt(0)
	v_fma_f32 v2, -v11, v6, v16
	ds_read_b96 v[12:14], v1 offset:208
	v_fma_f32 v2, -v18, v7, v2
	v_fma_f32 v2, -v19, v8, v2
	v_fma_f32 v6, -v20, v9, v2
	ds_read_b128 v[2:5], v1 offset:224
	s_waitcnt lgkmcnt(1)
	v_fma_f32 v6, -v21, v12, v6
	v_fma_f32 v6, -v15, v13, v6
	v_mul_f32_e32 v12, v6, v14
	ds_read_b128 v[6:9], v1 offset:240
	s_waitcnt lgkmcnt(1)
	v_fma_f32 v1, -v11, v2, v17
	v_fma_f32 v1, -v18, v3, v1
	;; [unrolled: 1-line block ×4, first 2 shown]
	s_waitcnt lgkmcnt(0)
	v_fma_f32 v1, -v21, v6, v1
	v_fma_f32 v1, -v15, v7, v1
	;; [unrolled: 1-line block ×3, first 2 shown]
	v_mul_f32_e32 v1, v1, v9
	ds_write2_b32 v10, v21, v15 offset0:96 offset1:104
	ds_write2_b32 v10, v12, v1 offset0:112 offset1:120
	s_cmp_lt_i32 s1, s24
	s_cbranch_scc1 .LBB6_28
	s_branch .LBB6_46
.LBB6_27:
	s_mov_b32 s1, 0
	s_cmp_lt_i32 s1, s24
	s_cbranch_scc0 .LBB6_46
.LBB6_28:
	s_or_b32 s0, s1, 3
	s_cmp_ge_u32 s0, s24
	s_cbranch_scc1 .LBB6_34
; %bb.29:
	v_mov_b32_e32 v1, 0x100
	s_lshl_b32 s6, s1, 5
	v_lshl_or_b32 v1, v0, 2, v1
.LBB6_30:                               ; =>This Loop Header: Depth=1
                                        ;     Child Loop BB6_31 Depth 2
	v_lshl_or_b32 v6, s1, 5, v10
	ds_read2_b32 v[2:3], v6 offset0:64 offset1:72
	ds_read2_b32 v[4:5], v6 offset0:80 offset1:88
	s_cmp_eq_u32 s1, 0
	s_mov_b32 s0, s1
	v_mov_b32_e32 v7, v1
	s_mov_b32 s7, s6
	s_cbranch_scc1 .LBB6_32
.LBB6_31:                               ;   Parent Loop BB6_30 Depth=1
                                        ; =>  This Inner Loop Header: Depth=2
	v_mov_b32_e32 v11, s7
	ds_read2_b32 v[8:9], v7 offset1:8
	ds_read2_b32 v[28:29], v7 offset0:16 offset1:24
	ds_read_b128 v[12:15], v11
	ds_read_b128 v[16:19], v11 offset:32
	ds_read_b128 v[20:23], v11 offset:64
	;; [unrolled: 1-line block ×3, first 2 shown]
	s_add_i32 s7, s7, 16
	s_add_i32 s0, s0, -4
	s_waitcnt lgkmcnt(3)
	v_fma_f32 v2, -v8, v12, v2
	s_waitcnt lgkmcnt(2)
	v_fma_f32 v3, -v8, v16, v3
	;; [unrolled: 2-line block ×4, first 2 shown]
	v_fma_f32 v2, -v9, v13, v2
	v_fma_f32 v3, -v9, v17, v3
	;; [unrolled: 1-line block ×8, first 2 shown]
	v_add_u32_e32 v7, 0x80, v7
	s_cmp_lg_u32 s0, 0
	v_fma_f32 v2, -v29, v15, v2
	v_fma_f32 v3, -v29, v19, v3
	;; [unrolled: 1-line block ×4, first 2 shown]
	s_cbranch_scc1 .LBB6_31
.LBB6_32:                               ;   in Loop: Header=BB6_30 Depth=1
	s_mul_i32 s0, s1, 36
	v_mov_b32_e32 v7, s0
	s_lshl_b32 s0, s1, 3
	s_or_b32 s7, s0, 8
	s_add_i32 s10, s7, s1
	s_lshl_b32 s10, s10, 2
	v_or_b32_e32 v9, s7, v0
	s_or_b32 s7, s0, 16
	v_mov_b32_e32 v8, s10
	s_add_i32 s10, s7, s1
	s_lshl_b32 s10, s10, 2
	s_or_b32 s0, s0, 24
	v_mov_b32_e32 v16, s10
	s_add_i32 s10, s0, s1
	s_lshl_b32 s10, s10, 2
	v_lshlrev_b32_e32 v11, 2, v9
	v_mov_b32_e32 v9, s10
	ds_read_b128 v[12:15], v9
	ds_read_b32 v7, v7
	ds_read_b64 v[8:9], v8
	ds_read_b96 v[16:18], v16
	v_add_u32_e32 v6, 0x100, v6
	s_waitcnt lgkmcnt(3)
	v_mov_b32_e32 v20, v13
	s_waitcnt lgkmcnt(2)
	v_mul_f32_e32 v2, v2, v7
	s_waitcnt lgkmcnt(1)
	v_fma_f32 v3, -v2, v8, v3
	v_mul_f32_e32 v3, v3, v9
	ds_write_b32 v6, v2
	s_waitcnt lgkmcnt(1)
	v_pk_mul_f32 v[6:7], v[2:3], v[16:17]
	v_sub_f32_e32 v4, v4, v6
	v_fma_f32 v6, -v2, v12, v5
	v_sub_f32_e32 v2, v4, v7
	v_mov_b32_e32 v21, v14
	v_mul_f32_e32 v5, v2, v18
	v_mov_b32_e32 v4, v3
	ds_write_b32 v11, v3 offset:256
	v_pk_mul_f32 v[2:3], v[4:5], v[20:21]
	v_sub_f32_e32 v2, v6, v2
	v_or_b32_e32 v19, s7, v0
	v_sub_f32_e32 v2, v2, v3
	v_or_b32_e32 v3, s0, v0
	s_add_i32 s0, s1, 4
	s_add_i32 s1, s1, 7
	s_addk_i32 s6, 0x80
	v_lshlrev_b32_e32 v19, 2, v19
	v_mul_f32_e32 v2, v2, v15
	v_lshlrev_b32_e32 v3, 2, v3
	s_cmp_lt_i32 s1, s24
	ds_write_b32 v19, v5 offset:256
	ds_write_b32 v3, v2 offset:256
	s_cbranch_scc0 .LBB6_35
; %bb.33:                               ;   in Loop: Header=BB6_30 Depth=1
	s_mov_b32 s1, s0
	s_branch .LBB6_30
.LBB6_34:
	s_mov_b32 s0, s1
.LBB6_35:
	s_cmp_ge_i32 s0, s24
	s_cbranch_scc1 .LBB6_46
; %bb.36:
	v_mov_b32_e32 v1, 0x100
	s_add_i32 s1, s0, -1
	v_lshl_or_b32 v1, v0, 2, v1
	s_lshl_b32 s6, s0, 5
	s_mov_b32 s7, 0
	s_mov_b32 s10, s0
	s_branch .LBB6_38
.LBB6_37:                               ;   in Loop: Header=BB6_38 Depth=1
	s_mul_i32 s11, s0, 36
	v_mov_b32_e32 v4, s11
	ds_read_b32 v4, v4
	s_add_i32 s0, s0, 1
	s_add_i32 s7, s7, 1
	;; [unrolled: 1-line block ×3, first 2 shown]
	v_add_u16_e64 v5, s10, 1
	v_add_u32_e32 v3, 0x100, v3
	s_waitcnt lgkmcnt(0)
	v_mul_f32_e32 v2, v2, v4
	s_cmp_ge_i32 s0, s24
	v_readfirstlane_b32 s10, v5
	ds_write_b32 v3, v2
	s_cbranch_scc1 .LBB6_46
.LBB6_38:                               ; =>This Loop Header: Depth=1
                                        ;     Child Loop BB6_41 Depth 2
                                        ;     Child Loop BB6_45 Depth 2
	v_lshl_or_b32 v3, s0, 5, v10
	ds_read_b32 v2, v3 offset:256
	s_cmp_eq_u32 s0, 0
	s_cbranch_scc1 .LBB6_37
; %bb.39:                               ;   in Loop: Header=BB6_38 Depth=1
	s_add_i32 s11, s1, s7
	s_cmp_lt_u32 s11, 7
	s_cbranch_scc1 .LBB6_43
; %bb.40:                               ;   in Loop: Header=BB6_38 Depth=1
	s_and_b32 s11, s0, -8
	s_mov_b32 s12, 0
	s_mov_b32 s13, s6
	v_mov_b32_e32 v4, v1
.LBB6_41:                               ;   Parent Loop BB6_38 Depth=1
                                        ; =>  This Inner Loop Header: Depth=2
	v_mov_b32_e32 v5, s13
	ds_read2_b32 v[16:17], v4 offset1:8
	ds_read2_b32 v[18:19], v4 offset0:16 offset1:24
	ds_read2_b32 v[20:21], v4 offset0:32 offset1:40
	;; [unrolled: 1-line block ×3, first 2 shown]
	ds_read_b128 v[6:9], v5
	ds_read_b128 v[12:15], v5 offset:16
	s_add_i32 s12, s12, 8
	s_add_i32 s13, s13, 32
	v_add_u32_e32 v4, 0x100, v4
	s_waitcnt lgkmcnt(1)
	v_fma_f32 v2, -v16, v6, v2
	v_fma_f32 v2, -v17, v7, v2
	;; [unrolled: 1-line block ×4, first 2 shown]
	s_waitcnt lgkmcnt(0)
	v_fma_f32 v2, -v20, v12, v2
	v_fma_f32 v2, -v21, v13, v2
	;; [unrolled: 1-line block ×3, first 2 shown]
	s_cmp_lg_u32 s11, s12
	v_fma_f32 v2, -v23, v15, v2
	s_cbranch_scc1 .LBB6_41
; %bb.42:                               ;   in Loop: Header=BB6_38 Depth=1
	s_and_b32 s12, s0, 7
	s_cmp_eq_u32 s12, 0
	s_cbranch_scc0 .LBB6_44
	s_branch .LBB6_37
.LBB6_43:                               ;   in Loop: Header=BB6_38 Depth=1
	s_mov_b32 s11, 0
	s_and_b32 s12, s0, 7
	s_cmp_eq_u32 s12, 0
	s_cbranch_scc1 .LBB6_37
.LBB6_44:                               ;   in Loop: Header=BB6_38 Depth=1
	s_and_b32 s12, s10, 7
	s_lshl_b32 s13, s11, 2
	v_lshl_add_u32 v4, s11, 5, v1
.LBB6_45:                               ;   Parent Loop BB6_38 Depth=1
                                        ; =>  This Inner Loop Header: Depth=2
	s_add_i32 s11, s6, s13
	v_mov_b32_e32 v6, s11
	ds_read_b32 v5, v4
	ds_read_b32 v6, v6
	s_add_i32 s13, s13, 4
	s_add_i32 s12, s12, -1
	v_add_u32_e32 v4, 32, v4
	s_cmp_lg_u32 s12, 0
	s_waitcnt lgkmcnt(0)
	v_fma_f32 v2, -v5, v6, v2
	s_cbranch_scc1 .LBB6_45
	s_branch .LBB6_37
.LBB6_46:
	s_mov_b64 s[0:1], 0
.LBB6_47:
	s_and_b64 vcc, exec, s[0:1]
	s_cbranch_vccz .LBB6_72
; %bb.48:
	s_add_i32 s0, s24, -1
	s_cmp_gt_i32 s2, 7
	s_cbranch_scc0 .LBB6_50
; %bb.49:
	s_lshl_b32 s6, s24, 3
	s_add_i32 s7, s6, -16
	v_or_b32_e32 v2, s7, v0
	s_sub_i32 s7, s6, 24
	v_or_b32_e32 v3, s7, v0
	s_sub_i32 s10, s6, 32
	v_lshlrev_b32_e32 v11, 2, v3
	v_or_b32_e32 v3, s10, v0
	s_sub_i32 s10, s6, 40
	v_or_b32_e32 v4, s10, v0
	s_sub_i32 s11, s6, 48
	s_lshl_b32 s1, s0, 3
	v_lshlrev_b32_e32 v14, 2, v4
	v_or_b32_e32 v4, s11, v0
	s_sub_i32 s11, s6, 56
	s_add_i32 s12, s24, -2
	v_or_b32_e32 v1, s1, v0
	v_or_b32_e32 v5, s11, v0
	s_sub_i32 s6, s6, 64
	s_add_i32 s13, s12, s1
	v_lshlrev_b32_e32 v1, 2, v1
	v_lshlrev_b32_e32 v2, 2, v2
	;; [unrolled: 1-line block ×3, first 2 shown]
	v_or_b32_e32 v5, s6, v0
	s_mul_i32 s6, s0, 36
	s_lshl_b32 s13, s13, 2
	v_lshlrev_b32_e32 v3, 2, v3
	v_lshlrev_b32_e32 v4, 2, v4
	;; [unrolled: 1-line block ×3, first 2 shown]
	ds_read_b32 v8, v1 offset:256
	ds_read_b32 v9, v2 offset:256
	;; [unrolled: 1-line block ×8, first 2 shown]
	v_mov_b32_e32 v2, s13
	s_sub_i32 s13, s6, 36
	v_mov_b32_e32 v4, s13
	s_add_i32 s13, s24, -4
	s_add_i32 s14, s13, s1
	s_lshl_b32 s12, s12, 3
	s_lshl_b32 s14, s14, 2
	ds_read2_b32 v[2:3], v2 offset1:1
	v_mov_b32_e32 v5, s14
	s_add_i32 s14, s13, s12
	s_lshl_b32 s14, s14, 2
	v_mov_b32_e32 v6, s14
	ds_read_b32 v13, v4
	ds_read2_b32 v[4:5], v5 offset1:1
	ds_read2_b32 v[6:7], v6 offset1:1
	s_waitcnt lgkmcnt(3)
	v_mul_f32_e32 v21, v8, v3
	ds_write_b32 v1, v21 offset:256
	v_fma_f32 v1, -v21, v2, v9
	v_or_b32_e32 v2, s12, v0
	s_waitcnt lgkmcnt(3)
	v_mul_f32_e32 v1, v1, v13
	v_lshlrev_b32_e32 v2, 2, v2
	s_add_i32 s14, s13, s7
	ds_write_b32 v2, v1 offset:256
	s_waitcnt lgkmcnt(3)
	v_fma_f32 v2, -v21, v5, v12
	s_lshl_b32 s14, s14, 2
	s_waitcnt lgkmcnt(2)
	v_fma_f32 v5, -v1, v7, v2
	v_mov_b32_e32 v2, s14
	s_add_i32 s14, s6, 0xffffff94
	v_mov_b32_e32 v7, s14
	s_add_i32 s14, s24, -6
	s_add_i32 s15, s14, s1
	ds_read2_b32 v[2:3], v2 offset1:1
	s_lshl_b32 s15, s15, 2
	v_mov_b32_e32 v8, s15
	s_add_i32 s15, s14, s12
	s_lshl_b32 s15, s15, 2
	v_mov_b32_e32 v12, s15
	ds_read_b32 v7, v7
	ds_read2_b32 v[8:9], v8 offset1:1
	ds_read2_b32 v[12:13], v12 offset1:1
	s_waitcnt lgkmcnt(3)
	v_mul_f32_e32 v22, v5, v3
	v_fma_f32 v3, -v21, v4, v15
	v_fma_f32 v3, -v1, v6, v3
	;; [unrolled: 1-line block ×3, first 2 shown]
	s_lshl_b32 s13, s13, 3
	ds_write_b32 v11, v22 offset:256
	s_waitcnt lgkmcnt(3)
	v_mul_f32_e32 v11, v2, v7
	v_or_b32_e32 v2, s13, v0
	v_lshlrev_b32_e32 v2, 2, v2
	s_add_i32 s15, s14, s7
	ds_write_b32 v2, v11 offset:256
	s_waitcnt lgkmcnt(3)
	v_fma_f32 v2, -v21, v9, v17
	s_lshl_b32 s15, s15, 2
	s_waitcnt lgkmcnt(2)
	v_fma_f32 v9, -v1, v13, v2
	v_mov_b32_e32 v2, s15
	s_add_i32 s15, s14, s13
	s_lshl_b32 s15, s15, 2
	v_mov_b32_e32 v4, s15
	s_add_i32 s15, s14, s10
	s_lshl_b32 s15, s15, 2
	v_mov_b32_e32 v6, s15
	ds_read2_b32 v[2:3], v2 offset1:1
	ds_read2_b32 v[4:5], v4 offset1:1
	;; [unrolled: 1-line block ×3, first 2 shown]
	s_add_i32 s15, s6, 0xffffff4c
	v_mov_b32_e32 v13, s15
	s_waitcnt lgkmcnt(2)
	v_fma_f32 v3, -v22, v3, v9
	s_waitcnt lgkmcnt(1)
	v_fma_f32 v3, -v11, v5, v3
	ds_read_b32 v13, v13
	s_waitcnt lgkmcnt(1)
	v_mul_f32_e32 v17, v3, v7
	v_fma_f32 v3, -v21, v8, v18
	v_fma_f32 v3, -v1, v12, v3
	;; [unrolled: 1-line block ×5, first 2 shown]
	s_lshl_b32 s14, s14, 3
	s_add_i32 s15, s24, -8
	s_waitcnt lgkmcnt(0)
	v_mul_f32_e32 v18, v2, v13
	v_or_b32_e32 v2, s14, v0
	s_add_i32 s1, s15, s1
	v_lshlrev_b32_e32 v2, 2, v2
	s_lshl_b32 s1, s1, 2
	ds_write_b32 v2, v18 offset:256
	v_mov_b32_e32 v2, s1
	s_add_i32 s1, s15, s12
	s_lshl_b32 s1, s1, 2
	ds_write_b32 v14, v17 offset:256
	v_mov_b32_e32 v4, s1
	s_add_i32 s1, s15, s7
	s_lshl_b32 s1, s1, 2
	ds_read2_b32 v[2:3], v2 offset1:1
	ds_read2_b32 v[4:5], v4 offset1:1
	v_mov_b32_e32 v6, s1
	s_add_i32 s1, s15, s13
	s_lshl_b32 s1, s1, 2
	v_mov_b32_e32 v8, s1
	s_add_i32 s1, s15, s10
	s_waitcnt lgkmcnt(1)
	v_fma_f32 v3, -v21, v3, v19
	s_lshl_b32 s1, s1, 2
	s_waitcnt lgkmcnt(0)
	v_fma_f32 v3, -v1, v5, v3
	v_mov_b32_e32 v5, s1
	s_add_i32 s1, s15, s14
	s_lshl_b32 s1, s1, 2
	ds_read2_b32 v[6:7], v6 offset1:1
	ds_read2_b32 v[8:9], v8 offset1:1
	v_mov_b32_e32 v14, s1
	s_add_i32 s1, s6, 0xffffff28
	ds_read2_b32 v[12:13], v5 offset1:1
	ds_read2_b32 v[14:15], v14 offset1:1
	v_mov_b32_e32 v5, s1
	s_add_i32 s1, s15, s11
	v_fma_f32 v2, -v21, v2, v20
	s_lshl_b32 s1, s1, 2
	ds_read_b32 v5, v5
	v_fma_f32 v1, -v1, v4, v2
	v_mov_b32_e32 v2, s1
	s_add_i32 s1, s6, 0xffffff04
	s_waitcnt lgkmcnt(4)
	v_fma_f32 v3, -v22, v7, v3
	ds_read_b32 v2, v2
	v_mov_b32_e32 v4, s1
	s_waitcnt lgkmcnt(4)
	v_fma_f32 v3, -v11, v9, v3
	v_fma_f32 v1, -v22, v6, v1
	ds_read_b32 v4, v4
	s_waitcnt lgkmcnt(4)
	v_fma_f32 v3, -v17, v13, v3
	v_fma_f32 v1, -v11, v8, v1
	s_waitcnt lgkmcnt(3)
	v_fma_f32 v3, -v18, v15, v3
	v_fma_f32 v1, -v17, v12, v1
	s_waitcnt lgkmcnt(2)
	v_mul_f32_e32 v3, v3, v5
	v_fma_f32 v1, -v18, v14, v1
	s_waitcnt lgkmcnt(1)
	v_fma_f32 v1, -v3, v2, v1
	s_waitcnt lgkmcnt(0)
	v_mul_f32_e32 v1, v1, v4
	v_lshl_or_b32 v2, s15, 5, v10
	s_add_i32 s1, s24, -9
	ds_write_b32 v16, v3 offset:256
	ds_write_b32 v2, v1 offset:256
	s_cmp_gt_i32 s1, -1
	s_cbranch_scc1 .LBB6_51
	s_branch .LBB6_72
.LBB6_50:
	s_mov_b32 s1, s0
	s_cmp_gt_i32 s1, -1
	s_cbranch_scc0 .LBB6_72
.LBB6_51:
	s_cmp_lt_u32 s1, 3
	s_cbranch_scc1 .LBB6_58
; %bb.52:
	s_lshl_b32 s7, s24, 5
	s_lshl_b32 s6, s1, 2
	s_add_i32 s6, s7, s6
	v_lshl_or_b32 v1, v0, 2, s7
	s_sub_i32 s6, s6, 44
	v_add_u32_e32 v1, 0xe0, v1
.LBB6_53:                               ; =>This Loop Header: Depth=1
                                        ;     Child Loop BB6_54 Depth 2
	s_lshl_b32 s7, s1, 3
	v_or_b32_e32 v2, s7, v0
	v_lshlrev_b32_e32 v11, 2, v2
	ds_read2_b32 v[4:5], v11 offset0:56 offset1:64
	ds_read2_b32 v[2:3], v11 offset0:40 offset1:48
	s_cmp_le_i32 s0, s1
	v_mov_b32_e32 v12, v1
	s_mov_b32 s10, s6
	s_mov_b32 s11, s0
	s_waitcnt lgkmcnt(1)
	v_mov_b32_e32 v6, v5
	v_mov_b32_e32 v7, v4
	s_waitcnt lgkmcnt(0)
	v_mov_b32_e32 v8, v3
	v_mov_b32_e32 v9, v2
	s_cbranch_scc1 .LBB6_56
.LBB6_54:                               ;   Parent Loop BB6_53 Depth=1
                                        ; =>  This Inner Loop Header: Depth=2
	v_mov_b32_e32 v3, s10
	ds_read_b32 v2, v12
	ds_read2_b32 v[4:5], v3 offset0:2 offset1:3
	ds_read2_b32 v[14:15], v3 offset1:1
	s_add_i32 s11, s11, -1
	s_sub_i32 s10, s10, 32
	v_subrev_u32_e32 v12, 32, v12
	s_waitcnt lgkmcnt(1)
	v_pk_mul_f32 v[4:5], v[2:3], v[4:5] op_sel_hi:[0,1]
	s_waitcnt lgkmcnt(0)
	v_pk_mul_f32 v[2:3], v[2:3], v[14:15] op_sel_hi:[0,1]
	s_cmp_gt_i32 s11, s1
	v_pk_add_f32 v[6:7], v[6:7], v[4:5] op_sel:[0,1] op_sel_hi:[1,0] neg_lo:[0,1] neg_hi:[0,1]
	v_pk_add_f32 v[8:9], v[8:9], v[2:3] op_sel:[0,1] op_sel_hi:[1,0] neg_lo:[0,1] neg_hi:[0,1]
	s_cbranch_scc1 .LBB6_54
; %bb.55:                               ;   in Loop: Header=BB6_53 Depth=1
	v_mov_b32_e32 v2, v9
	v_mov_b32_e32 v3, v8
	;; [unrolled: 1-line block ×4, first 2 shown]
.LBB6_56:                               ;   in Loop: Header=BB6_53 Depth=1
	s_add_i32 s11, s1, -1
	s_add_i32 s12, s11, s7
	s_mul_i32 s10, s1, 36
	s_lshl_b32 s12, s12, 2
	v_mov_b32_e32 v7, s12
	s_sub_i32 s12, s10, 36
	v_add_u32_e32 v6, 0x100, v11
	v_mov_b32_e32 v11, s12
	s_add_i32 s12, s1, -3
	s_add_i32 s13, s12, s7
	ds_read2_b32 v[8:9], v7 offset1:1
	s_lshl_b32 s11, s11, 3
	s_lshl_b32 s13, s13, 2
	v_mov_b32_e32 v12, s13
	s_add_i32 s13, s12, s11
	s_lshl_b32 s13, s13, 2
	v_mov_b32_e32 v7, s13
	ds_read_b32 v11, v11
	ds_read2_b32 v[12:13], v12 offset1:1
	ds_read2_b32 v[14:15], v7 offset1:1
	s_waitcnt lgkmcnt(3)
	v_mul_f32_e32 v7, v5, v9
	v_fma_f32 v4, -v7, v8, v4
	s_add_i32 s7, s7, -16
	ds_write_b32 v6, v7
	s_waitcnt lgkmcnt(3)
	v_mul_f32_e32 v6, v4, v11
	v_or_b32_e32 v4, s11, v0
	s_add_i32 s11, s12, s7
	v_lshlrev_b32_e32 v4, 2, v4
	s_lshl_b32 s11, s11, 2
	ds_write_b32 v4, v6 offset:256
	v_mov_b32_e32 v4, s11
	ds_read2_b32 v[4:5], v4 offset1:1
	s_addk_i32 s10, 0xff94
	v_mov_b32_e32 v8, s10
	ds_read_b32 v8, v8
	s_waitcnt lgkmcnt(5)
	v_fma_f32 v3, -v7, v13, v3
	s_waitcnt lgkmcnt(4)
	v_fma_f32 v3, -v6, v15, v3
	v_fma_f32 v2, -v7, v12, v2
	s_waitcnt lgkmcnt(1)
	v_mul_f32_e32 v3, v3, v5
	v_or_b32_e32 v5, s7, v0
	v_fma_f32 v2, -v6, v14, v2
	v_lshlrev_b32_e32 v5, 2, v5
	v_fma_f32 v2, -v3, v4, v2
	s_add_i32 s7, s1, -4
	s_add_i32 s6, s6, -16
	ds_write_b32 v5, v3 offset:256
	s_waitcnt lgkmcnt(1)
	v_mul_f32_e32 v2, v2, v8
	v_lshl_or_b32 v3, s12, 5, v10
	s_cmp_gt_i32 s1, 6
	ds_write_b32 v3, v2 offset:256
	s_cbranch_scc0 .LBB6_59
; %bb.57:                               ;   in Loop: Header=BB6_53 Depth=1
	s_mov_b32 s1, s7
	s_branch .LBB6_53
.LBB6_58:
	s_mov_b32 s7, s1
.LBB6_59:
	s_cmp_lt_i32 s7, 0
	s_cbranch_scc1 .LBB6_72
; %bb.60:
	s_bitcmp1_b32 s7, 0
	s_cselect_b64 s[10:11], -1, 0
	s_and_b64 vcc, exec, s[10:11]
	s_mov_b32 s1, s7
	s_cbranch_vccnz .LBB6_65
; %bb.61:
	v_lshl_or_b32 v1, s7, 5, v10
	ds_read_b32 v2, v1 offset:256
	s_cmp_le_i32 s0, s7
	s_cbranch_scc1 .LBB6_64
; %bb.62:
	s_lshl_b32 s6, s24, 5
	s_lshl_b32 s1, s7, 2
	s_add_i32 s1, s6, s1
	v_lshl_or_b32 v3, v0, 2, s6
	s_sub_i32 s1, s1, 32
	v_add_u32_e32 v3, 0xe0, v3
	s_mov_b32 s6, s0
.LBB6_63:                               ; =>This Inner Loop Header: Depth=1
	v_mov_b32_e32 v5, s1
	ds_read_b32 v4, v3
	ds_read_b32 v5, v5
	s_add_i32 s6, s6, -1
	s_sub_i32 s1, s1, 32
	v_subrev_u32_e32 v3, 32, v3
	s_cmp_gt_i32 s6, s7
	s_waitcnt lgkmcnt(0)
	v_fma_f32 v2, -v4, v5, v2
	s_cbranch_scc1 .LBB6_63
.LBB6_64:
	s_mul_i32 s1, s7, 36
	v_mov_b32_e32 v3, s1
	ds_read_b32 v3, v3
	v_add_u32_e32 v1, 0x100, v1
	s_add_i32 s1, s7, -1
	s_waitcnt lgkmcnt(0)
	v_mul_f32_e32 v2, v2, v3
	ds_write_b32 v1, v2
.LBB6_65:
	s_cmp_eq_u32 s7, 0
	s_cbranch_scc1 .LBB6_72
; %bb.66:
	s_lshl_b32 s7, s24, 5
	s_lshl_b32 s6, s1, 2
	s_add_i32 s10, s7, s6
	v_lshl_or_b32 v1, v0, 2, s7
	s_sub_i32 s6, s10, 32
	v_add_u32_e32 v1, 0xe0, v1
	s_sub_i32 s7, s10, 36
	s_branch .LBB6_68
.LBB6_67:                               ;   in Loop: Header=BB6_68 Depth=1
	s_sub_i32 s10, s10, 36
	v_mov_b32_e32 v4, s10
	ds_read_b32 v4, v4
	s_add_i32 s10, s1, -2
	s_add_i32 s6, s6, -8
	;; [unrolled: 1-line block ×3, first 2 shown]
	v_add_u32_e32 v3, 0x100, v3
	s_cmp_lt_i32 s1, 2
	s_waitcnt lgkmcnt(0)
	v_mul_f32_e32 v2, v2, v4
	s_mov_b32 s1, s10
	ds_write_b32 v3, v2
	s_cbranch_scc1 .LBB6_72
.LBB6_68:                               ; =>This Loop Header: Depth=1
                                        ;     Child Loop BB6_69 Depth 2
                                        ;     Child Loop BB6_71 Depth 2
	v_lshl_or_b32 v2, s1, 5, v10
	ds_read_b32 v4, v2 offset:256
	s_cmp_le_i32 s0, s1
	v_mov_b32_e32 v3, v1
	s_mov_b32 s10, s6
	s_mov_b32 s11, s0
	s_cbranch_scc1 .LBB6_70
.LBB6_69:                               ;   Parent Loop BB6_68 Depth=1
                                        ; =>  This Inner Loop Header: Depth=2
	v_mov_b32_e32 v6, s10
	ds_read_b32 v5, v3
	ds_read_b32 v6, v6
	s_add_i32 s11, s11, -1
	s_sub_i32 s10, s10, 32
	v_subrev_u32_e32 v3, 32, v3
	s_cmp_gt_i32 s11, s1
	s_waitcnt lgkmcnt(0)
	v_fma_f32 v4, -v5, v6, v4
	s_cbranch_scc1 .LBB6_69
.LBB6_70:                               ;   in Loop: Header=BB6_68 Depth=1
	s_mul_i32 s10, s1, 36
	v_add_u32_e32 v5, 0x100, v2
	v_mov_b32_e32 v2, s10
	s_lshl_b32 s11, s1, 5
	ds_read_b32 v6, v2
	s_sub_i32 s11, s11, 32
	v_lshl_or_b32 v3, v0, 2, s11
	ds_read_b32 v2, v3 offset:256
	s_cmp_le_i32 s24, s1
	s_waitcnt lgkmcnt(1)
	v_mul_f32_e32 v4, v4, v6
	ds_write_b32 v5, v4
	v_mov_b32_e32 v4, v1
	s_mov_b32 s11, s7
	s_mov_b32 s12, s24
	s_cbranch_scc1 .LBB6_67
.LBB6_71:                               ;   Parent Loop BB6_68 Depth=1
                                        ; =>  This Inner Loop Header: Depth=2
	v_mov_b32_e32 v6, s11
	ds_read_b32 v5, v4
	ds_read_b32 v6, v6
	s_add_i32 s12, s12, -1
	s_sub_i32 s11, s11, 32
	v_subrev_u32_e32 v4, 32, v4
	s_cmp_gt_i32 s12, s1
	s_waitcnt lgkmcnt(0)
	v_fma_f32 v2, -v5, v6, v2
	s_cbranch_scc1 .LBB6_71
	s_branch .LBB6_67
.LBB6_72:
	s_waitcnt lgkmcnt(0)
	; wave barrier
	s_waitcnt lgkmcnt(0)
	s_and_saveexec_b64 s[0:1], s[4:5]
	s_cbranch_execz .LBB6_81
; %bb.73:
	ds_read_b32 v3, v10 offset:256
	v_mad_i64_i32 v[0:1], s[0:1], s8, v0, 0
	v_lshlrev_b64 v[0:1], 2, v[0:1]
	v_mov_b32_e32 v2, s9
	v_add_co_u32_e32 v0, vcc, s3, v0
	v_addc_co_u32_e32 v1, vcc, v2, v1, vcc
	s_cmp_eq_u32 s2, 1
	s_waitcnt lgkmcnt(0)
	global_store_dword v[0:1], v3, off
	s_cbranch_scc1 .LBB6_81
; %bb.74:
	v_or_b32_e32 v2, 0x100, v10
	ds_read_b32 v3, v2 offset:32
	s_cmp_eq_u32 s2, 2
	s_waitcnt lgkmcnt(0)
	global_store_dword v[0:1], v3, off offset:4
	s_cbranch_scc1 .LBB6_81
; %bb.75:
	ds_read_b32 v3, v2 offset:64
	s_cmp_eq_u32 s2, 3
	s_waitcnt lgkmcnt(0)
	global_store_dword v[0:1], v3, off offset:8
	s_cbranch_scc1 .LBB6_81
; %bb.76:
	;; [unrolled: 6-line block ×6, first 2 shown]
	ds_read_b32 v2, v2 offset:224
	s_waitcnt lgkmcnt(0)
	global_store_dword v[0:1], v2, off offset:28
.LBB6_81:
	s_endpgm
	.section	.rodata,"a",@progbits
	.p2align	6, 0x0
	.amdhsa_kernel _ZL38rocblas_trsm_small_left_device_sharedBILi8ELi8ELb0EffPKfPfEv13rocblas_fill_18rocblas_operation_17rocblas_diagonal_iiT3_T4_lilT5_lili
		.amdhsa_group_segment_fixed_size 512
		.amdhsa_private_segment_fixed_size 0
		.amdhsa_kernarg_size 352
		.amdhsa_user_sgpr_count 6
		.amdhsa_user_sgpr_private_segment_buffer 1
		.amdhsa_user_sgpr_dispatch_ptr 0
		.amdhsa_user_sgpr_queue_ptr 0
		.amdhsa_user_sgpr_kernarg_segment_ptr 1
		.amdhsa_user_sgpr_dispatch_id 0
		.amdhsa_user_sgpr_flat_scratch_init 0
		.amdhsa_user_sgpr_kernarg_preload_length 0
		.amdhsa_user_sgpr_kernarg_preload_offset 0
		.amdhsa_user_sgpr_private_segment_size 0
		.amdhsa_uses_dynamic_stack 0
		.amdhsa_system_sgpr_private_segment_wavefront_offset 0
		.amdhsa_system_sgpr_workgroup_id_x 1
		.amdhsa_system_sgpr_workgroup_id_y 0
		.amdhsa_system_sgpr_workgroup_id_z 1
		.amdhsa_system_sgpr_workgroup_info 0
		.amdhsa_system_vgpr_workitem_id 0
		.amdhsa_next_free_vgpr 35
		.amdhsa_next_free_sgpr 43
		.amdhsa_accum_offset 36
		.amdhsa_reserve_vcc 1
		.amdhsa_reserve_flat_scratch 0
		.amdhsa_float_round_mode_32 0
		.amdhsa_float_round_mode_16_64 0
		.amdhsa_float_denorm_mode_32 3
		.amdhsa_float_denorm_mode_16_64 3
		.amdhsa_dx10_clamp 1
		.amdhsa_ieee_mode 1
		.amdhsa_fp16_overflow 0
		.amdhsa_tg_split 0
		.amdhsa_exception_fp_ieee_invalid_op 0
		.amdhsa_exception_fp_denorm_src 0
		.amdhsa_exception_fp_ieee_div_zero 0
		.amdhsa_exception_fp_ieee_overflow 0
		.amdhsa_exception_fp_ieee_underflow 0
		.amdhsa_exception_fp_ieee_inexact 0
		.amdhsa_exception_int_div_zero 0
	.end_amdhsa_kernel
	.section	.text._ZL38rocblas_trsm_small_left_device_sharedBILi8ELi8ELb0EffPKfPfEv13rocblas_fill_18rocblas_operation_17rocblas_diagonal_iiT3_T4_lilT5_lili,"axG",@progbits,_ZL38rocblas_trsm_small_left_device_sharedBILi8ELi8ELb0EffPKfPfEv13rocblas_fill_18rocblas_operation_17rocblas_diagonal_iiT3_T4_lilT5_lili,comdat
.Lfunc_end6:
	.size	_ZL38rocblas_trsm_small_left_device_sharedBILi8ELi8ELb0EffPKfPfEv13rocblas_fill_18rocblas_operation_17rocblas_diagonal_iiT3_T4_lilT5_lili, .Lfunc_end6-_ZL38rocblas_trsm_small_left_device_sharedBILi8ELi8ELb0EffPKfPfEv13rocblas_fill_18rocblas_operation_17rocblas_diagonal_iiT3_T4_lilT5_lili
                                        ; -- End function
	.section	.AMDGPU.csdata,"",@progbits
; Kernel info:
; codeLenInByte = 5448
; NumSgprs: 47
; NumVgprs: 35
; NumAgprs: 0
; TotalNumVgprs: 35
; ScratchSize: 0
; MemoryBound: 0
; FloatMode: 240
; IeeeMode: 1
; LDSByteSize: 512 bytes/workgroup (compile time only)
; SGPRBlocks: 5
; VGPRBlocks: 4
; NumSGPRsForWavesPerEU: 47
; NumVGPRsForWavesPerEU: 35
; AccumOffset: 36
; Occupancy: 8
; WaveLimiterHint : 0
; COMPUTE_PGM_RSRC2:SCRATCH_EN: 0
; COMPUTE_PGM_RSRC2:USER_SGPR: 6
; COMPUTE_PGM_RSRC2:TRAP_HANDLER: 0
; COMPUTE_PGM_RSRC2:TGID_X_EN: 1
; COMPUTE_PGM_RSRC2:TGID_Y_EN: 0
; COMPUTE_PGM_RSRC2:TGID_Z_EN: 1
; COMPUTE_PGM_RSRC2:TIDIG_COMP_CNT: 0
; COMPUTE_PGM_RSRC3_GFX90A:ACCUM_OFFSET: 8
; COMPUTE_PGM_RSRC3_GFX90A:TG_SPLIT: 0
	.section	.text._ZL30rocblas_trsm_small_left_deviceILi8ELi8ELb0EffPKfPfEv13rocblas_fill_18rocblas_operation_17rocblas_diagonal_iiT3_T4_lilT5_lili,"axG",@progbits,_ZL30rocblas_trsm_small_left_deviceILi8ELi8ELb0EffPKfPfEv13rocblas_fill_18rocblas_operation_17rocblas_diagonal_iiT3_T4_lilT5_lili,comdat
	.globl	_ZL30rocblas_trsm_small_left_deviceILi8ELi8ELb0EffPKfPfEv13rocblas_fill_18rocblas_operation_17rocblas_diagonal_iiT3_T4_lilT5_lili ; -- Begin function _ZL30rocblas_trsm_small_left_deviceILi8ELi8ELb0EffPKfPfEv13rocblas_fill_18rocblas_operation_17rocblas_diagonal_iiT3_T4_lilT5_lili
	.p2align	8
	.type	_ZL30rocblas_trsm_small_left_deviceILi8ELi8ELb0EffPKfPfEv13rocblas_fill_18rocblas_operation_17rocblas_diagonal_iiT3_T4_lilT5_lili,@function
_ZL30rocblas_trsm_small_left_deviceILi8ELi8ELb0EffPKfPfEv13rocblas_fill_18rocblas_operation_17rocblas_diagonal_iiT3_T4_lilT5_lili: ; @_ZL30rocblas_trsm_small_left_deviceILi8ELi8ELb0EffPKfPfEv13rocblas_fill_18rocblas_operation_17rocblas_diagonal_iiT3_T4_lilT5_lili
; %bb.0:
	s_load_dwordx4 s[8:11], s[4:5], 0x4
	s_load_dword s16, s[4:5], 0x14
	s_load_dwordx4 s[0:3], s[4:5], 0x30
	s_load_dwordx2 s[20:21], s[4:5], 0x40
	s_mov_b32 s19, 0
	s_waitcnt lgkmcnt(0)
	s_min_i32 s18, s10, 8
	v_cmp_gt_i32_e32 vcc, s18, v0
	s_and_saveexec_b64 s[22:23], vcc
	s_cbranch_execz .LBB7_15
; %bb.1:
	s_load_dword s24, s[4:5], 0x28
	s_load_dwordx4 s[12:15], s[4:5], 0x18
	s_cmp_gt_u32 s18, 1
	s_cselect_b64 s[26:27], -1, 0
	s_mov_b32 s17, 1
	s_waitcnt lgkmcnt(0)
	s_cmp_eq_u32 s24, 1
	s_cselect_b64 s[28:29], -1, 0
	s_and_b64 s[28:29], s[26:27], s[28:29]
	s_mov_b64 s[26:27], -1
	s_and_b64 vcc, exec, s[28:29]
	s_cbranch_vccz .LBB7_9
; %bb.2:
	s_add_i32 s26, s18, -2
	s_lshr_b32 s25, s26, 1
	s_add_i32 s25, s25, 1
	s_cmp_lt_u32 s26, 14
	s_mov_b32 s26, s19
	s_cbranch_scc1 .LBB7_5
; %bb.3:
	s_mul_i32 s17, s1, s7
	s_mul_hi_u32 s19, s0, s7
	s_add_i32 s29, s19, s17
	s_mul_i32 s28, s0, s7
	s_and_b32 s27, s25, -8
	s_lshl_b64 s[28:29], s[28:29], 2
	s_lshl_b64 s[30:31], s[14:15], 2
	s_add_u32 s17, s28, s30
	s_addc_u32 s19, s29, s31
	s_add_u32 s17, s12, s17
	v_lshlrev_b32_e32 v1, 2, v0
	s_addc_u32 s19, s13, s19
	v_mov_b32_e32 v2, s19
	v_add_co_u32_e32 v1, vcc, s17, v1
	v_addc_co_u32_e32 v3, vcc, 0, v2, vcc
	v_add_co_u32_e32 v2, vcc, 56, v1
	v_addc_co_u32_e32 v3, vcc, 0, v3, vcc
	s_mov_b32 s17, 1
	s_mov_b32 s26, 0
	;; [unrolled: 1-line block ×3, first 2 shown]
.LBB7_4:                                ; =>This Inner Loop Header: Depth=1
	global_load_dwordx4 v[4:7], v[2:3], off offset:-56
	global_load_dwordx4 v[8:11], v[2:3], off offset:-40
	;; [unrolled: 1-line block ×4, first 2 shown]
	s_lshl_b32 s28, s19, 3
	s_lshl_b32 s29, s17, 3
	s_add_i32 s26, s26, 16
	s_add_i32 s17, s17, 16
	;; [unrolled: 1-line block ×3, first 2 shown]
	s_add_i32 s27, s27, -8
	v_add_co_u32_e32 v2, vcc, 64, v2
	v_or_b32_e32 v1, s29, v0
	v_or_b32_e32 v20, s28, v0
	s_add_i32 s30, s28, 16
	s_add_i32 s31, s29, 16
	;; [unrolled: 1-line block ×12, first 2 shown]
	s_addk_i32 s28, 0x70
	s_addk_i32 s29, 0x70
	v_addc_co_u32_e32 v3, vcc, 0, v3, vcc
	v_lshlrev_b32_e32 v20, 2, v20
	v_or_b32_e32 v21, s31, v0
	v_or_b32_e32 v22, s30, v0
	v_or_b32_e32 v23, s34, v0
	v_or_b32_e32 v24, s33, v0
	v_or_b32_e32 v25, s36, v0
	v_or_b32_e32 v26, s35, v0
	v_or_b32_e32 v27, s38, v0
	v_or_b32_e32 v28, s37, v0
	v_or_b32_e32 v29, s40, v0
	v_or_b32_e32 v30, s39, v0
	v_or_b32_e32 v31, s42, v0
	v_or_b32_e32 v32, s41, v0
	v_or_b32_e32 v33, s29, v0
	v_or_b32_e32 v34, s28, v0
	s_cmp_lg_u32 s27, 0
	v_lshlrev_b32_e32 v1, 2, v1
	v_lshlrev_b32_e32 v22, 2, v22
	v_lshlrev_b32_e32 v21, 2, v21
	v_lshlrev_b32_e32 v24, 2, v24
	v_lshlrev_b32_e32 v23, 2, v23
	v_lshlrev_b32_e32 v26, 2, v26
	v_lshlrev_b32_e32 v25, 2, v25
	v_lshlrev_b32_e32 v28, 2, v28
	v_lshlrev_b32_e32 v27, 2, v27
	v_lshlrev_b32_e32 v30, 2, v30
	v_lshlrev_b32_e32 v29, 2, v29
	v_lshlrev_b32_e32 v32, 2, v32
	v_lshlrev_b32_e32 v31, 2, v31
	v_lshlrev_b32_e32 v34, 2, v34
	v_lshlrev_b32_e32 v33, 2, v33
	s_waitcnt vmcnt(3)
	ds_write_b32 v20, v4
	ds_write_b32 v1, v5
	ds_write_b32 v22, v6
	ds_write_b32 v21, v7
	s_waitcnt vmcnt(2)
	ds_write_b32 v24, v8
	ds_write_b32 v23, v9
	ds_write_b32 v26, v10
	ds_write_b32 v25, v11
	;; [unrolled: 5-line block ×4, first 2 shown]
	s_cbranch_scc1 .LBB7_4
.LBB7_5:
	s_and_b32 s25, s25, 7
	s_cmp_eq_u32 s25, 0
	s_mov_b32 s27, 0
	s_cbranch_scc1 .LBB7_8
; %bb.6:
	s_mul_i32 s28, s1, s7
	s_mul_hi_u32 s29, s0, s7
	s_add_i32 s29, s29, s28
	s_mul_i32 s28, s0, s7
	s_lshl_b64 s[28:29], s[28:29], 2
	s_lshl_b64 s[30:31], s[14:15], 2
	s_add_u32 s28, s28, s30
	s_addc_u32 s29, s29, s31
	s_lshl_b64 s[26:27], s[26:27], 2
	s_add_u32 s26, s12, s26
	s_addc_u32 s27, s13, s27
	s_add_u32 s26, s26, s28
	v_lshlrev_b32_e32 v1, 2, v0
	s_addc_u32 s27, s27, s29
	v_mov_b32_e32 v3, s27
	v_add_co_u32_e32 v2, vcc, s26, v1
	v_addc_co_u32_e32 v3, vcc, 0, v3, vcc
	s_lshl_b32 s25, s25, 3
.LBB7_7:                                ; =>This Inner Loop Header: Depth=1
	global_load_dwordx2 v[4:5], v[2:3], off
	v_lshl_or_b32 v6, s19, 5, v1
	v_lshl_or_b32 v7, s17, 5, v1
	s_add_i32 s17, s17, 2
	s_add_i32 s19, s19, 2
	v_add_co_u32_e32 v2, vcc, 8, v2
	s_add_i32 s25, s25, -8
	v_addc_co_u32_e32 v3, vcc, 0, v3, vcc
	s_cmp_lg_u32 s25, 0
	s_waitcnt vmcnt(0)
	ds_write_b32 v6, v4
	ds_write_b32 v7, v5
	s_cbranch_scc1 .LBB7_7
.LBB7_8:
	s_and_b32 s19, s18, -2
	s_cmp_lg_u32 s18, s19
	s_cselect_b64 s[26:27], -1, 0
.LBB7_9:
	s_and_b64 vcc, exec, s[26:27]
	s_cbranch_vccz .LBB7_12
; %bb.10:
	s_ashr_i32 s25, s24, 31
	s_mul_i32 s1, s1, s7
	s_mul_hi_u32 s17, s0, s7
	s_add_i32 s1, s17, s1
	s_mul_hi_u32 s17, s24, s19
	s_mul_i32 s26, s25, s19
	s_mul_i32 s0, s0, s7
	s_add_i32 s27, s17, s26
	s_mul_i32 s26, s24, s19
	s_lshl_b64 s[0:1], s[0:1], 2
	s_lshl_b64 s[26:27], s[26:27], 2
	s_add_u32 s17, s0, s26
	s_addc_u32 s26, s1, s27
	s_lshl_b64 s[0:1], s[14:15], 2
	s_add_u32 s0, s17, s0
	s_addc_u32 s1, s26, s1
	s_add_u32 s0, s12, s0
	v_lshlrev_b32_e32 v1, 2, v0
	s_addc_u32 s1, s13, s1
	v_mov_b32_e32 v3, s1
	v_add_co_u32_e32 v2, vcc, s0, v1
	s_lshl_b64 s[0:1], s[24:25], 2
	v_addc_co_u32_e32 v3, vcc, 0, v3, vcc
	v_lshl_or_b32 v1, s19, 5, v1
	s_sub_i32 s12, s18, s19
	v_mov_b32_e32 v4, s1
.LBB7_11:                               ; =>This Inner Loop Header: Depth=1
	global_load_dword v5, v[2:3], off
	v_add_co_u32_e32 v2, vcc, s0, v2
	s_add_i32 s12, s12, -1
	v_addc_co_u32_e32 v3, vcc, v3, v4, vcc
	s_cmp_eq_u32 s12, 0
	s_waitcnt vmcnt(0)
	ds_write_b32 v1, v5
	v_add_u32_e32 v1, 32, v1
	s_cbranch_scc0 .LBB7_11
.LBB7_12:
	v_mul_u32_u24_e32 v1, 9, v0
	s_cmpk_lg_i32 s9, 0x84
	v_lshlrev_b32_e32 v1, 2, v1
	v_mov_b32_e32 v2, 1.0
	s_cbranch_scc0 .LBB7_14
; %bb.13:
	ds_read_b32 v2, v1
	s_waitcnt lgkmcnt(0)
	v_div_scale_f32 v3, s[0:1], v2, v2, 1.0
	v_rcp_f32_e32 v4, v3
	v_div_scale_f32 v5, vcc, 1.0, v2, 1.0
	v_fma_f32 v6, -v3, v4, 1.0
	v_fmac_f32_e32 v4, v6, v4
	v_mul_f32_e32 v6, v5, v4
	v_fma_f32 v7, -v3, v6, v5
	v_fmac_f32_e32 v6, v7, v4
	v_fma_f32 v3, -v3, v6, v5
	v_div_fmas_f32 v3, v3, v4, v6
	v_div_fixup_f32 v2, v3, v2, 1.0
.LBB7_14:
	ds_write_b32 v1, v2
.LBB7_15:
	s_or_b64 exec, exec, s[22:23]
	s_load_dword s0, s[4:5], 0x60
	s_lshl_b32 s9, s6, 3
	s_sub_i32 s1, s11, s9
	s_waitcnt lgkmcnt(0)
	; wave barrier
	s_waitcnt lgkmcnt(0)
	s_add_i32 s0, s0, -1
	s_cmp_ge_u32 s6, s0
	s_cselect_b32 s0, s1, 8
	v_cmp_gt_i32_e32 vcc, s0, v0
	s_and_saveexec_b64 s[0:1], vcc
	s_cbranch_execz .LBB7_68
; %bb.16:
	s_load_dwordx2 s[0:1], s[4:5], 0x50
	s_load_dword s6, s[4:5], 0x48
	v_add_u32_e32 v0, s9, v0
	s_waitcnt lgkmcnt(0)
	s_mul_i32 s1, s7, s1
	s_mul_hi_u32 s4, s7, s0
	s_mul_i32 s0, s7, s0
	s_add_i32 s1, s4, s1
	s_lshl_b64 s[0:1], s[0:1], 2
	s_add_u32 s7, s2, s0
	s_addc_u32 s11, s3, s1
	s_lshl_b64 s[4:5], s[20:21], 2
	s_add_u32 s12, s7, s4
	v_mad_i64_i32 v[0:1], s[6:7], s6, v0, 0
	s_addc_u32 s11, s11, s5
	v_lshlrev_b64 v[4:5], 2, v[0:1]
	v_mov_b32_e32 v0, s11
	v_add_co_u32_e32 v2, vcc, s12, v4
	v_addc_co_u32_e32 v3, vcc, v0, v5, vcc
	s_cmpk_eq_i32 s8, 0x6f
	s_mov_b64 s[6:7], -1
	s_cbranch_scc1 .LBB7_39
; %bb.17:
	s_cmp_gt_i32 s10, 7
	s_cbranch_scc0 .LBB7_19
; %bb.18:
	global_load_dwordx4 v[6:9], v[2:3], off
	global_load_dwordx4 v[10:13], v[2:3], off offset:16
	v_mov_b32_e32 v34, 0
	ds_read_b32 v41, v34
	ds_read_b64 v[0:1], v34 offset:32
	ds_read_b96 v[38:40], v34 offset:64
	ds_read_b128 v[14:17], v34 offset:96
	ds_read_b128 v[18:21], v34 offset:128
	ds_read_b32 v45, v34 offset:144
	ds_read_b128 v[22:25], v34 offset:160
	ds_read_b64 v[46:47], v34 offset:176
	ds_read_b128 v[26:29], v34 offset:192
	ds_read_b96 v[42:44], v34 offset:208
	ds_read_b128 v[30:33], v34 offset:224
	ds_read_b128 v[34:37], v34 offset:240
	s_mov_b32 s8, 8
	s_waitcnt vmcnt(1)
	v_mul_f32_e32 v6, s16, v6
	s_waitcnt lgkmcnt(11)
	v_mul_f32_e32 v6, v6, v41
	s_waitcnt lgkmcnt(10)
	;; [unrolled: 2-line block ×3, first 2 shown]
	v_mul_f32_e32 v38, v6, v38
	v_fma_f32 v0, v7, s16, -v0
	s_waitcnt lgkmcnt(8)
	v_mul_f32_e32 v14, v6, v14
	v_fma_f32 v8, v8, s16, -v38
	v_mul_f32_e32 v7, v0, v1
	s_waitcnt lgkmcnt(7)
	v_mul_f32_e32 v18, v6, v18
	v_fma_f32 v9, v9, s16, -v14
	v_fma_f32 v0, -v7, v39, v8
	s_waitcnt lgkmcnt(5)
	v_mul_f32_e32 v22, v6, v22
	s_waitcnt vmcnt(0)
	v_fma_f32 v10, v10, s16, -v18
	v_fma_f32 v1, -v7, v15, v9
	v_mul_f32_e32 v8, v0, v40
	s_waitcnt lgkmcnt(3)
	v_mul_f32_e32 v26, v6, v26
	v_fma_f32 v11, v11, s16, -v22
	v_fma_f32 v9, -v7, v19, v10
	v_fma_f32 v0, -v8, v16, v1
	s_waitcnt lgkmcnt(1)
	v_mul_f32_e32 v30, v6, v30
	v_fma_f32 v12, v12, s16, -v26
	v_fma_f32 v10, -v7, v23, v11
	v_fma_f32 v1, -v8, v20, v9
	v_mul_f32_e32 v9, v0, v17
	v_fma_f32 v13, v13, s16, -v30
	v_fma_f32 v11, -v7, v27, v12
	v_fma_f32 v10, -v8, v24, v10
	;; [unrolled: 1-line block ×5, first 2 shown]
	global_store_dwordx4 v[2:3], v[6:9], off
	v_fma_f32 v1, -v9, v25, v10
	v_mul_f32_e32 v6, v0, v45
	v_fma_f32 v12, -v8, v32, v12
	v_fma_f32 v7, -v9, v29, v11
	;; [unrolled: 1-line block ×5, first 2 shown]
	v_mul_f32_e32 v7, v0, v47
	s_waitcnt lgkmcnt(0)
	v_fma_f32 v8, -v6, v34, v8
	v_fma_f32 v0, -v7, v43, v1
	;; [unrolled: 1-line block ×3, first 2 shown]
	v_mul_f32_e32 v8, v0, v44
	v_fma_f32 v0, -v8, v36, v1
	v_mul_f32_e32 v9, v0, v37
	global_store_dwordx4 v[2:3], v[6:9], off offset:16
	s_cmp_lt_i32 s8, s18
	s_cbranch_scc1 .LBB7_20
	s_branch .LBB7_38
.LBB7_19:
	s_mov_b32 s8, 0
	s_cmp_lt_i32 s8, s18
	s_cbranch_scc0 .LBB7_38
.LBB7_20:
	s_or_b32 s6, s8, 3
	s_cmp_ge_u32 s6, s18
	s_cbranch_scc1 .LBB7_26
; %bb.21:
	s_lshl_b32 s7, s8, 5
	s_add_u32 s6, s2, s4
	s_addc_u32 s9, s3, s5
	s_add_u32 s6, s6, s0
	s_addc_u32 s9, s9, s1
	v_mov_b32_e32 v0, s9
	v_add_co_u32_e32 v1, vcc, s6, v4
	v_addc_co_u32_e32 v6, vcc, v0, v5, vcc
	v_add_co_u32_e32 v0, vcc, 8, v1
	s_mov_b32 s17, s16
	v_addc_co_u32_e32 v1, vcc, 0, v6, vcc
	s_mov_b32 s9, 0
.LBB7_22:                               ; =>This Loop Header: Depth=1
                                        ;     Child Loop BB7_23 Depth 2
	s_lshl_b64 s[12:13], s[8:9], 2
	v_mov_b32_e32 v7, s13
	v_add_co_u32_e32 v6, vcc, s12, v2
	v_addc_co_u32_e32 v7, vcc, v3, v7, vcc
	global_load_dwordx4 v[14:17], v[6:7], off
	v_pk_mov_b32 v[12:13], v[0:1], v[0:1] op_sel:[0,1]
	s_mov_b32 s6, s8
	s_cmp_eq_u32 s8, 0
	s_mov_b32 s11, s7
	s_waitcnt vmcnt(0)
	v_pk_mul_f32 v[10:11], v[14:15], s[16:17]
	v_pk_mul_f32 v[8:9], v[16:17], s[16:17]
	s_cbranch_scc1 .LBB7_24
.LBB7_23:                               ;   Parent Loop BB7_22 Depth=1
                                        ; =>  This Inner Loop Header: Depth=2
	global_load_dwordx4 v[14:17], v[12:13], off offset:-8
	v_mov_b32_e32 v30, s11
	ds_read_b128 v[18:21], v30
	ds_read_b128 v[22:25], v30 offset:32
	ds_read_b128 v[26:29], v30 offset:64
	;; [unrolled: 1-line block ×3, first 2 shown]
	s_add_i32 s11, s11, 16
	s_add_i32 s6, s6, -4
	v_add_co_u32_e32 v12, vcc, 16, v12
	v_addc_co_u32_e32 v13, vcc, 0, v13, vcc
	s_cmp_lg_u32 s6, 0
	s_waitcnt vmcnt(0) lgkmcnt(3)
	v_fma_f32 v10, -v14, v18, v10
	s_waitcnt lgkmcnt(2)
	v_fma_f32 v11, -v14, v22, v11
	s_waitcnt lgkmcnt(1)
	;; [unrolled: 2-line block ×3, first 2 shown]
	v_fma_f32 v9, -v14, v30, v9
	v_fma_f32 v10, -v15, v19, v10
	v_fma_f32 v11, -v15, v23, v11
	v_fma_f32 v8, -v15, v27, v8
	v_fma_f32 v9, -v15, v31, v9
	v_fma_f32 v10, -v16, v20, v10
	v_fma_f32 v11, -v16, v24, v11
	v_fma_f32 v8, -v16, v28, v8
	v_fma_f32 v9, -v16, v32, v9
	v_fma_f32 v10, -v17, v21, v10
	v_fma_f32 v11, -v17, v25, v11
	v_fma_f32 v8, -v17, v29, v8
	v_fma_f32 v9, -v17, v33, v9
	s_cbranch_scc1 .LBB7_23
.LBB7_24:                               ;   in Loop: Header=BB7_22 Depth=1
	s_lshl_b32 s11, s8, 3
	s_add_i32 s11, s8, s11
	s_mul_i32 s6, s8, 36
	s_lshl_b32 s11, s11, 2
	v_mov_b32_e32 v16, s11
	v_mov_b32_e32 v17, s6
	ds_read_b128 v[12:15], v16 offset:96
	ds_read_b32 v19, v17
	ds_read_b64 v[20:21], v16 offset:32
	ds_read_b96 v[16:18], v16 offset:64
	s_add_i32 s6, s8, 4
	s_add_i32 s8, s8, 7
	s_waitcnt lgkmcnt(2)
	v_mul_f32_e32 v10, v10, v19
	s_waitcnt lgkmcnt(1)
	v_fma_f32 v11, -v10, v20, v11
	v_mul_f32_e32 v11, v11, v21
	s_waitcnt lgkmcnt(0)
	v_pk_mul_f32 v[16:17], v[10:11], v[16:17]
	v_sub_f32_e32 v8, v8, v16
	v_sub_f32_e32 v8, v8, v17
	v_mov_b32_e32 v22, v13
	v_mov_b32_e32 v23, v14
	v_fma_f32 v14, -v10, v12, v9
	v_mul_f32_e32 v9, v8, v18
	v_mov_b32_e32 v8, v11
	v_pk_mul_f32 v[12:13], v[8:9], v[22:23]
	v_sub_f32_e32 v8, v14, v12
	v_sub_f32_e32 v8, v8, v13
	s_addk_i32 s7, 0x80
	v_mul_f32_e32 v13, v8, v15
	v_mov_b32_e32 v12, v9
	s_cmp_lt_i32 s8, s18
	global_store_dwordx4 v[6:7], v[10:13], off
	s_cbranch_scc0 .LBB7_27
; %bb.25:                               ;   in Loop: Header=BB7_22 Depth=1
	s_mov_b32 s8, s6
	s_branch .LBB7_22
.LBB7_26:
	s_mov_b32 s6, s8
.LBB7_27:
	s_cmp_ge_i32 s6, s18
	s_cbranch_scc1 .LBB7_38
; %bb.28:
	s_add_i32 s11, s6, -1
	s_lshl_b32 s12, s6, 5
	s_add_u32 s7, s2, s4
	s_addc_u32 s8, s3, s5
	s_add_u32 s7, s7, s0
	s_addc_u32 s8, s8, s1
	v_mov_b32_e32 v0, s8
	v_add_co_u32_e32 v1, vcc, s7, v4
	v_addc_co_u32_e32 v12, vcc, v0, v5, vcc
	v_add_co_u32_e32 v6, vcc, 28, v1
	v_addc_co_u32_e32 v7, vcc, 0, v12, vcc
	s_mov_b32 s9, 0
	s_mov_b32 s14, s6
	;; [unrolled: 1-line block ×3, first 2 shown]
	s_branch .LBB7_30
.LBB7_29:                               ;   in Loop: Header=BB7_30 Depth=1
	s_mul_i32 s7, s6, 36
	v_mov_b32_e32 v10, s7
	ds_read_b32 v10, v10
	s_add_i32 s6, s6, 1
	s_add_i32 s13, s13, 1
	;; [unrolled: 1-line block ×3, first 2 shown]
	v_add_u16_e64 v11, s14, 1
	s_waitcnt lgkmcnt(0)
	v_mul_f32_e32 v0, v0, v10
	s_cmp_ge_i32 s6, s18
	v_readfirstlane_b32 s14, v11
	global_store_dword v[8:9], v0, off
	s_cbranch_scc1 .LBB7_38
.LBB7_30:                               ; =>This Loop Header: Depth=1
                                        ;     Child Loop BB7_33 Depth 2
                                        ;     Child Loop BB7_37 Depth 2
	s_ashr_i32 s7, s6, 31
	s_lshl_b64 s[20:21], s[6:7], 2
	v_mov_b32_e32 v0, s21
	v_add_co_u32_e32 v8, vcc, s20, v2
	v_addc_co_u32_e32 v9, vcc, v3, v0, vcc
	global_load_dword v0, v[8:9], off
	s_cmp_eq_u32 s6, 0
	s_waitcnt vmcnt(0)
	v_mul_f32_e32 v0, s16, v0
	s_cbranch_scc1 .LBB7_29
; %bb.31:                               ;   in Loop: Header=BB7_30 Depth=1
	s_add_i32 s7, s11, s13
	s_cmp_lt_u32 s7, 7
	s_cbranch_scc1 .LBB7_35
; %bb.32:                               ;   in Loop: Header=BB7_30 Depth=1
	s_and_b32 s8, s6, -8
	s_mov_b32 s7, 0
	v_pk_mov_b32 v[10:11], v[6:7], v[6:7] op_sel:[0,1]
	s_mov_b32 s15, s12
.LBB7_33:                               ;   Parent Loop BB7_30 Depth=1
                                        ; =>  This Inner Loop Header: Depth=2
	global_load_dwordx4 v[14:17], v[10:11], off offset:-28
	global_load_dwordx4 v[18:21], v[10:11], off offset:-12
	v_mov_b32_e32 v13, s15
	ds_read_b128 v[22:25], v13
	ds_read_b128 v[26:29], v13 offset:16
	s_add_i32 s7, s7, 8
	s_add_i32 s15, s15, 32
	v_add_co_u32_e32 v10, vcc, 32, v10
	v_addc_co_u32_e32 v11, vcc, 0, v11, vcc
	s_cmp_lg_u32 s8, s7
	s_waitcnt vmcnt(1) lgkmcnt(1)
	v_fma_f32 v0, -v14, v22, v0
	v_fma_f32 v0, -v15, v23, v0
	;; [unrolled: 1-line block ×4, first 2 shown]
	s_waitcnt vmcnt(0) lgkmcnt(0)
	v_fma_f32 v0, -v18, v26, v0
	v_fma_f32 v0, -v19, v27, v0
	;; [unrolled: 1-line block ×4, first 2 shown]
	s_cbranch_scc1 .LBB7_33
; %bb.34:                               ;   in Loop: Header=BB7_30 Depth=1
	s_and_b32 s7, s6, 7
	s_cmp_eq_u32 s7, 0
	s_cbranch_scc0 .LBB7_36
	s_branch .LBB7_29
.LBB7_35:                               ;   in Loop: Header=BB7_30 Depth=1
	s_mov_b32 s8, 0
	s_and_b32 s7, s6, 7
	s_cmp_eq_u32 s7, 0
	s_cbranch_scc1 .LBB7_29
.LBB7_36:                               ;   in Loop: Header=BB7_30 Depth=1
	s_lshl_b64 s[20:21], s[8:9], 2
	v_mov_b32_e32 v11, s21
	v_add_co_u32_e32 v10, vcc, s20, v1
	s_and_b32 s7, s14, 7
	s_lshl_b32 s15, s8, 2
	v_addc_co_u32_e32 v11, vcc, v12, v11, vcc
.LBB7_37:                               ;   Parent Loop BB7_30 Depth=1
                                        ; =>  This Inner Loop Header: Depth=2
	global_load_dword v13, v[10:11], off
	s_add_i32 s8, s12, s15
	v_mov_b32_e32 v14, s8
	ds_read_b32 v14, v14
	s_add_i32 s15, s15, 4
	v_add_co_u32_e32 v10, vcc, 4, v10
	s_add_i32 s7, s7, -1
	v_addc_co_u32_e32 v11, vcc, 0, v11, vcc
	s_cmp_lg_u32 s7, 0
	s_waitcnt vmcnt(0) lgkmcnt(0)
	v_fma_f32 v0, -v13, v14, v0
	s_cbranch_scc1 .LBB7_37
	s_branch .LBB7_29
.LBB7_38:
	s_mov_b64 s[6:7], 0
.LBB7_39:
	s_and_b64 vcc, exec, s[6:7]
	s_cbranch_vccz .LBB7_68
; %bb.40:
	s_add_i32 s6, s18, -1
	s_cmp_gt_i32 s10, 7
	s_cbranch_scc0 .LBB7_42
; %bb.41:
	s_ashr_i32 s19, s18, 31
	s_lshl_b64 s[8:9], s[18:19], 2
	v_mov_b32_e32 v1, s9
	v_add_co_u32_e32 v0, vcc, s8, v2
	v_addc_co_u32_e32 v1, vcc, v3, v1, vcc
	global_load_dword v15, v[0:1], off offset:-4
	s_mov_b32 s19, 0
	s_lshl_b64 s[8:9], s[18:19], 2
	v_mov_b32_e32 v6, s9
	v_add_co_u32_e32 v10, vcc, s8, v2
	v_addc_co_u32_e32 v11, vcc, v3, v6, vcc
	global_load_dwordx3 v[12:14], v[10:11], off offset:-16
	global_load_dwordx4 v[6:9], v[10:11], off offset:-32
	s_mul_i32 s7, s6, 36
	s_add_i32 s8, s18, -2
	s_lshl_b32 s9, s6, 3
	s_add_i32 s11, s18, -4
	s_lshl_b32 s12, s18, 3
	s_add_i32 s13, s18, -6
	s_add_i32 s14, s8, s9
	s_sub_i32 s15, s7, 36
	s_add_i32 s17, s11, s9
	s_lshl_b32 s8, s8, 3
	s_sub_i32 s19, s12, 24
	s_add_i32 s20, s7, 0xffffff94
	s_add_i32 s21, s13, s9
	s_lshl_b32 s22, s11, 3
	s_sub_i32 s23, s12, 40
	s_lshl_b32 s14, s14, 2
	v_mov_b32_e32 v16, s15
	s_lshl_b32 s15, s17, 2
	s_add_i32 s17, s11, s8
	s_add_i32 s11, s11, s19
	v_mov_b32_e32 v22, s20
	s_lshl_b32 s20, s21, 2
	s_add_i32 s21, s13, s8
	s_add_i32 s25, s13, s19
	;; [unrolled: 1-line block ×5, first 2 shown]
	v_mov_b32_e32 v10, s14
	v_mov_b32_e32 v17, s15
	s_lshl_b32 s14, s17, 2
	s_lshl_b32 s11, s11, 2
	v_mov_b32_e32 v23, s20
	s_lshl_b32 s15, s21, 2
	s_lshl_b32 s17, s25, 2
	;; [unrolled: 1-line block ×4, first 2 shown]
	v_mov_b32_e32 v32, s24
	v_mov_b32_e32 v18, s14
	;; [unrolled: 1-line block ×7, first 2 shown]
	ds_read2_b32 v[10:11], v10 offset1:1
	ds_read_b32 v33, v16
	ds_read2_b32 v[16:17], v17 offset1:1
	ds_read2_b32 v[18:19], v18 offset1:1
	;; [unrolled: 1-line block ×3, first 2 shown]
	ds_read_b32 v34, v22
	ds_read2_b32 v[22:23], v23 offset1:1
	ds_read2_b32 v[24:25], v24 offset1:1
	;; [unrolled: 1-line block ×5, first 2 shown]
	ds_read_b32 v32, v32
	s_add_i32 s11, s18, -8
	s_add_i32 s9, s11, s9
	s_lshl_b32 s9, s9, 2
	s_add_i32 s8, s11, s8
	s_lshl_b32 s8, s8, 2
	s_add_i32 s12, s12, s11
	s_waitcnt vmcnt(2)
	v_mul_f32_e32 v15, s16, v15
	s_waitcnt lgkmcnt(11)
	v_mul_f32_e32 v11, v15, v11
	v_mul_f32_e32 v10, v11, v10
	s_waitcnt lgkmcnt(9)
	v_mul_f32_e32 v15, v11, v17
	;; [unrolled: 3-line block ×3, first 2 shown]
	v_mul_f32_e32 v22, v11, v22
	s_waitcnt vmcnt(1)
	v_fma_f32 v10, v14, s16, -v10
	v_fma_f32 v13, v13, s16, -v15
	v_mul_f32_e32 v10, v10, v33
	v_fma_f32 v12, v12, s16, -v16
	s_waitcnt vmcnt(0)
	v_fma_f32 v9, v9, s16, -v17
	v_fma_f32 v14, v8, s16, -v22
	v_fma_f32 v8, -v10, v19, v13
	v_fma_f32 v12, -v10, v18, v12
	s_waitcnt lgkmcnt(4)
	v_fma_f32 v13, -v10, v25, v9
	v_mul_f32_e32 v9, v8, v21
	v_fma_f32 v8, -v9, v20, v12
	s_waitcnt lgkmcnt(3)
	v_fma_f32 v12, -v9, v27, v13
	v_mul_f32_e32 v8, v8, v34
	s_waitcnt lgkmcnt(2)
	v_fma_f32 v12, -v8, v29, v12
	s_waitcnt lgkmcnt(1)
	v_mul_f32_e32 v15, v12, v31
	v_fma_f32 v12, -v10, v24, v14
	v_fma_f32 v12, -v9, v26, v12
	;; [unrolled: 1-line block ×4, first 2 shown]
	s_waitcnt lgkmcnt(0)
	v_mul_f32_e32 v14, v12, v32
	v_mov_b32_e32 v12, s9
	v_mov_b32_e32 v16, s8
	s_add_i32 s8, s11, s19
	ds_read2_b32 v[12:13], v12 offset1:1
	s_lshl_b32 s8, s8, 2
	v_mov_b32_e32 v18, s8
	s_add_i32 s8, s11, s22
	s_lshl_b32 s8, s8, 2
	v_mov_b32_e32 v20, s8
	s_add_i32 s8, s11, s23
	global_store_dwordx4 v[0:1], v[8:11], off offset:-16
	s_waitcnt lgkmcnt(0)
	v_mul_f32_e32 v13, v11, v13
	s_lshl_b32 s8, s8, 2
	ds_read2_b32 v[16:17], v16 offset1:1
	ds_read2_b32 v[18:19], v18 offset1:1
	;; [unrolled: 1-line block ×3, first 2 shown]
	v_fma_f32 v7, v7, s16, -v13
	v_mov_b32_e32 v13, s8
	s_lshl_b32 s8, s13, 3
	s_add_i32 s8, s11, s8
	s_lshl_b32 s8, s8, 2
	s_waitcnt lgkmcnt(2)
	v_fma_f32 v7, -v10, v17, v7
	v_mov_b32_e32 v17, s8
	s_add_i32 s8, s7, 0xffffff28
	ds_read2_b32 v[22:23], v13 offset1:1
	ds_read2_b32 v[24:25], v17 offset1:1
	v_mov_b32_e32 v13, s8
	ds_read_b32 v13, v13
	s_waitcnt lgkmcnt(4)
	v_fma_f32 v7, -v9, v19, v7
	s_waitcnt lgkmcnt(3)
	v_fma_f32 v7, -v8, v21, v7
	;; [unrolled: 2-line block ×4, first 2 shown]
	s_waitcnt lgkmcnt(0)
	v_mul_f32_e32 v13, v7, v13
	v_mul_f32_e32 v7, v11, v12
	s_lshl_b32 s8, s12, 2
	v_fma_f32 v6, v6, s16, -v7
	s_addk_i32 s8, 0xff20
	v_fma_f32 v6, -v10, v16, v6
	v_mov_b32_e32 v7, s8
	s_addk_i32 s7, 0xff04
	v_fma_f32 v6, -v9, v18, v6
	ds_read_b32 v7, v7
	v_mov_b32_e32 v9, s7
	ds_read_b32 v9, v9
	v_fma_f32 v6, -v8, v20, v6
	v_fma_f32 v6, -v15, v22, v6
	v_fma_f32 v6, -v14, v24, v6
	s_waitcnt lgkmcnt(1)
	v_fma_f32 v6, -v13, v7, v6
	s_waitcnt lgkmcnt(0)
	v_mul_f32_e32 v12, v6, v9
	s_add_i32 s8, s18, -9
	global_store_dwordx4 v[0:1], v[12:15], off offset:-32
	s_cmp_gt_i32 s8, -1
	s_cbranch_scc1 .LBB7_43
	s_branch .LBB7_68
.LBB7_42:
	s_mov_b32 s8, s6
	s_cmp_gt_i32 s8, -1
	s_cbranch_scc0 .LBB7_68
.LBB7_43:
	s_cmp_lt_u32 s8, 3
	s_cbranch_scc1 .LBB7_50
; %bb.44:
	s_lshl_b32 s7, s18, 5
	s_lshl_b32 s9, s8, 2
	s_add_i32 s7, s7, s9
	s_sub_i32 s11, s7, 44
	s_ashr_i32 s7, s6, 31
	s_lshl_b64 s[12:13], s[6:7], 2
	s_add_u32 s7, s2, s12
	s_addc_u32 s9, s3, s13
	s_add_u32 s7, s7, s4
	s_addc_u32 s9, s9, s5
	;; [unrolled: 2-line block ×3, first 2 shown]
	v_mov_b32_e32 v1, s9
	v_add_co_u32_e32 v0, vcc, s7, v4
	s_mov_b32 s17, s16
	v_addc_co_u32_e32 v1, vcc, v1, v5, vcc
	s_mov_b32 s9, 0
.LBB7_45:                               ; =>This Loop Header: Depth=1
                                        ;     Child Loop BB7_46 Depth 2
	s_lshl_b64 s[12:13], s[8:9], 2
	v_mov_b32_e32 v7, s13
	v_add_co_u32_e32 v6, vcc, s12, v2
	v_addc_co_u32_e32 v7, vcc, v3, v7, vcc
	global_load_dwordx4 v[6:9], v[6:7], off offset:-12
	v_pk_mov_b32 v[10:11], v[0:1], v[0:1] op_sel:[0,1]
	s_mov_b32 s7, s11
	s_mov_b32 s12, s6
	s_cmp_le_i32 s6, s8
	s_waitcnt vmcnt(0)
	v_pk_mul_f32 v[8:9], v[8:9], s[16:17]
	v_pk_mul_f32 v[6:7], v[6:7], s[16:17]
	v_mov_b32_e32 v12, v9
	v_mov_b32_e32 v13, v8
	;; [unrolled: 1-line block ×4, first 2 shown]
	s_cbranch_scc1 .LBB7_48
.LBB7_46:                               ;   Parent Loop BB7_45 Depth=1
                                        ; =>  This Inner Loop Header: Depth=2
	global_load_dword v6, v[10:11], off
	v_mov_b32_e32 v7, s7
	ds_read2_b32 v[8:9], v7 offset0:2 offset1:3
	ds_read2_b32 v[16:17], v7 offset1:1
	s_add_i32 s12, s12, -1
	s_sub_i32 s7, s7, 32
	v_add_co_u32_e32 v10, vcc, -4, v10
	v_addc_co_u32_e32 v11, vcc, -1, v11, vcc
	s_cmp_gt_i32 s12, s8
	s_waitcnt vmcnt(0) lgkmcnt(1)
	v_pk_mul_f32 v[8:9], v[6:7], v[8:9] op_sel_hi:[0,1]
	s_waitcnt lgkmcnt(0)
	v_pk_mul_f32 v[6:7], v[6:7], v[16:17] op_sel_hi:[0,1]
	v_pk_add_f32 v[12:13], v[12:13], v[8:9] op_sel:[0,1] op_sel_hi:[1,0] neg_lo:[0,1] neg_hi:[0,1]
	v_pk_add_f32 v[14:15], v[14:15], v[6:7] op_sel:[0,1] op_sel_hi:[1,0] neg_lo:[0,1] neg_hi:[0,1]
	s_cbranch_scc1 .LBB7_46
; %bb.47:                               ;   in Loop: Header=BB7_45 Depth=1
	v_mov_b32_e32 v6, v15
	v_mov_b32_e32 v7, v14
	;; [unrolled: 1-line block ×4, first 2 shown]
.LBB7_48:                               ;   in Loop: Header=BB7_45 Depth=1
	s_add_i32 s12, s8, -1
	s_lshl_b32 s13, s8, 3
	s_add_i32 s14, s12, s13
	s_mul_i32 s7, s8, 36
	s_lshl_b32 s14, s14, 2
	v_mov_b32_e32 v10, s14
	s_sub_i32 s14, s7, 36
	v_mov_b32_e32 v12, s14
	s_add_i32 s14, s8, -3
	s_lshl_b32 s12, s12, 3
	ds_read2_b32 v[10:11], v10 offset1:1
	s_add_i32 s13, s14, s13
	s_add_i32 s14, s14, s12
	s_lshl_b32 s15, s13, 2
	s_lshl_b32 s12, s14, 2
	v_mov_b32_e32 v13, s15
	v_mov_b32_e32 v14, s12
	s_ashr_i32 s13, s8, 31
	s_mov_b32 s12, s8
	ds_read_b32 v18, v12
	ds_read2_b32 v[12:13], v13 offset1:1
	ds_read2_b32 v[14:15], v14 offset1:1
	s_lshl_b64 s[12:13], s[12:13], 2
	s_waitcnt lgkmcnt(3)
	v_mul_f32_e32 v9, v9, v11
	v_add_co_u32_e32 v16, vcc, s12, v2
	s_sub_i32 s12, s15, 64
	v_mov_b32_e32 v11, s13
	v_fma_f32 v8, -v9, v10, v8
	v_mov_b32_e32 v10, s12
	v_addc_co_u32_e32 v17, vcc, v3, v11, vcc
	ds_read2_b32 v[10:11], v10 offset1:1
	s_addk_i32 s7, 0xff94
	s_waitcnt lgkmcnt(2)
	v_fma_f32 v7, -v9, v13, v7
	v_mov_b32_e32 v13, s7
	ds_read_b32 v13, v13
	v_mul_f32_e32 v8, v8, v18
	s_waitcnt lgkmcnt(2)
	v_fma_f32 v7, -v8, v15, v7
	v_fma_f32 v6, -v9, v12, v6
	s_waitcnt lgkmcnt(1)
	v_mul_f32_e32 v7, v7, v11
	v_fma_f32 v6, -v8, v14, v6
	v_fma_f32 v6, -v7, v10, v6
	s_add_i32 s12, s8, -4
	s_add_i32 s11, s11, -16
	s_waitcnt lgkmcnt(0)
	v_mul_f32_e32 v6, v6, v13
	s_cmp_gt_i32 s8, 6
	global_store_dwordx4 v[16:17], v[6:9], off offset:-12
	s_cbranch_scc0 .LBB7_51
; %bb.49:                               ;   in Loop: Header=BB7_45 Depth=1
	s_mov_b32 s8, s12
	s_branch .LBB7_45
.LBB7_50:
	s_mov_b32 s12, s8
.LBB7_51:
	s_cmp_lt_i32 s12, 0
	s_cbranch_scc1 .LBB7_68
; %bb.52:
	s_add_i32 s7, s12, 1
	s_and_b32 s11, s7, 3
	s_cmp_eq_u32 s11, 0
	s_mov_b32 s8, s12
	s_cbranch_scc1 .LBB7_57
; %bb.53:
	s_lshl_b32 s7, s18, 5
	s_lshl_b32 s8, s12, 2
	s_add_i32 s7, s7, s8
	s_sub_i32 s13, s7, 32
	s_ashr_i32 s7, s6, 31
	s_lshl_b64 s[8:9], s[6:7], 2
	s_add_u32 s7, s2, s8
	s_addc_u32 s8, s3, s9
	s_add_u32 s7, s7, s4
	s_addc_u32 s8, s8, s5
	;; [unrolled: 2-line block ×3, first 2 shown]
	v_mov_b32_e32 v0, s8
	v_add_co_u32_e32 v6, vcc, s7, v4
	s_mov_b32 s9, 0
	v_addc_co_u32_e32 v7, vcc, v0, v5, vcc
	s_mov_b32 s8, s12
	s_mov_b32 s7, s9
	s_branch .LBB7_55
.LBB7_54:                               ;   in Loop: Header=BB7_55 Depth=1
	s_mul_i32 s14, s8, 36
	v_mov_b32_e32 v1, s14
	ds_read_b32 v1, v1
	s_ashr_i32 s15, s8, 31
	s_mov_b32 s14, s8
	s_lshl_b64 s[14:15], s[14:15], 2
	v_mov_b32_e32 v8, s15
	s_waitcnt lgkmcnt(0)
	v_mul_f32_e32 v9, v0, v1
	v_add_co_u32_e32 v0, vcc, s14, v2
	s_add_i32 s8, s8, -1
	s_add_i32 s7, s7, 1
	s_add_i32 s13, s13, -4
	v_addc_co_u32_e32 v1, vcc, v3, v8, vcc
	s_cmp_lg_u32 s7, s11
	global_store_dword v[0:1], v9, off
	s_cbranch_scc0 .LBB7_57
.LBB7_55:                               ; =>This Loop Header: Depth=1
                                        ;     Child Loop BB7_56 Depth 2
	s_lshl_b64 s[14:15], s[8:9], 2
	v_mov_b32_e32 v1, s15
	v_add_co_u32_e32 v0, vcc, s14, v2
	v_addc_co_u32_e32 v1, vcc, v3, v1, vcc
	global_load_dword v0, v[0:1], off
	v_pk_mov_b32 v[8:9], v[6:7], v[6:7] op_sel:[0,1]
	s_mov_b32 s14, s13
	s_cmp_le_i32 s6, s8
	s_mov_b32 s15, s6
	s_waitcnt vmcnt(0)
	v_mul_f32_e32 v0, s16, v0
	s_cbranch_scc1 .LBB7_54
.LBB7_56:                               ;   Parent Loop BB7_55 Depth=1
                                        ; =>  This Inner Loop Header: Depth=2
	global_load_dword v1, v[8:9], off
	v_mov_b32_e32 v10, s14
	ds_read_b32 v10, v10
	s_add_i32 s15, s15, -1
	s_sub_i32 s14, s14, 32
	v_add_co_u32_e32 v8, vcc, -4, v8
	v_addc_co_u32_e32 v9, vcc, -1, v9, vcc
	s_cmp_gt_i32 s15, s8
	s_waitcnt vmcnt(0) lgkmcnt(0)
	v_fma_f32 v0, -v1, v10, v0
	s_cbranch_scc1 .LBB7_56
	s_branch .LBB7_54
.LBB7_57:
	s_cmp_lt_u32 s12, 3
	s_cbranch_scc1 .LBB7_68
; %bb.58:
	s_lshl_b32 s7, s18, 5
	s_lshl_b32 s9, s8, 2
	s_add_i32 s13, s7, s9
	s_sub_i32 s12, s13, 32
	s_add_u32 s0, s4, s0
	s_addc_u32 s1, s5, s1
	s_ashr_i32 s7, s6, 31
	v_mov_b32_e32 v0, s1
	v_add_co_u32_e32 v1, vcc, s0, v4
	s_lshl_b64 s[0:1], s[6:7], 2
	s_add_u32 s0, s2, s0
	v_addc_co_u32_e32 v0, vcc, v0, v5, vcc
	s_addc_u32 s1, s3, s1
	s_ashr_i32 s11, s10, 31
	v_mov_b32_e32 v5, s1
	v_add_co_u32_e32 v4, vcc, s0, v1
	s_sub_i32 s4, s13, 36
	v_cmp_lt_i64_e64 s[0:1], s[10:11], 8
	s_and_b64 s[0:1], s[0:1], exec
	s_cselect_b32 s1, s11, 0
	s_cselect_b32 s0, s10, 8
	s_lshl_b64 s[0:1], s[0:1], 2
	s_add_u32 s0, s2, s0
	v_addc_co_u32_e32 v5, vcc, v5, v0, vcc
	s_addc_u32 s1, s3, s1
	v_mov_b32_e32 v6, s1
	v_add_co_u32_e32 v1, vcc, s0, v1
	v_addc_co_u32_e32 v0, vcc, v6, v0, vcc
	v_add_co_u32_e32 v6, vcc, -4, v1
	s_mov_b32 s9, 0
	v_addc_co_u32_e32 v7, vcc, -1, v0, vcc
	s_sub_i32 s2, s13, 40
	s_sub_i32 s3, s13, 44
	s_branch .LBB7_60
.LBB7_59:                               ;   in Loop: Header=BB7_60 Depth=1
	s_sub_i32 s0, s1, 36
	v_mov_b32_e32 v1, s0
	ds_read_b32 v1, v1
	s_add_i32 s0, s8, -4
	s_add_i32 s12, s12, -16
	;; [unrolled: 1-line block ×5, first 2 shown]
	s_waitcnt lgkmcnt(0)
	v_mul_f32_e32 v0, v0, v1
	s_cmp_lt_i32 s8, 4
	s_mov_b32 s8, s0
	global_store_dword v[8:9], v0, off offset:-12
	s_cbranch_scc1 .LBB7_68
.LBB7_60:                               ; =>This Loop Header: Depth=1
                                        ;     Child Loop BB7_61 Depth 2
                                        ;     Child Loop BB7_63 Depth 2
	;; [unrolled: 1-line block ×4, first 2 shown]
	s_lshl_b64 s[0:1], s[8:9], 2
	v_mov_b32_e32 v1, s1
	v_add_co_u32_e32 v0, vcc, s0, v2
	v_addc_co_u32_e32 v1, vcc, v3, v1, vcc
	global_load_dword v0, v[0:1], off
	v_pk_mov_b32 v[8:9], v[4:5], v[4:5] op_sel:[0,1]
	s_mov_b32 s0, s12
	s_cmp_le_i32 s6, s8
	s_mov_b32 s1, s6
	s_waitcnt vmcnt(0)
	v_mul_f32_e32 v0, s16, v0
	s_cbranch_scc1 .LBB7_62
.LBB7_61:                               ;   Parent Loop BB7_60 Depth=1
                                        ; =>  This Inner Loop Header: Depth=2
	global_load_dword v1, v[8:9], off
	v_mov_b32_e32 v10, s0
	ds_read_b32 v10, v10
	s_add_i32 s1, s1, -1
	s_sub_i32 s0, s0, 32
	v_add_co_u32_e32 v8, vcc, -4, v8
	v_addc_co_u32_e32 v9, vcc, -1, v9, vcc
	s_cmp_gt_i32 s1, s8
	s_waitcnt vmcnt(0) lgkmcnt(0)
	v_fma_f32 v0, -v1, v10, v0
	s_cbranch_scc1 .LBB7_61
.LBB7_62:                               ;   in Loop: Header=BB7_60 Depth=1
	s_add_i32 s0, s8, -1
	s_mov_b32 s1, s9
	s_lshl_b64 s[0:1], s[0:1], 2
	v_mov_b32_e32 v1, s1
	v_add_co_u32_e32 v8, vcc, s0, v2
	v_addc_co_u32_e32 v9, vcc, v3, v1, vcc
	global_load_dword v1, v[8:9], off
	s_mul_i32 s5, s8, 36
	v_mov_b32_e32 v8, s5
	ds_read_b32 v12, v8
	s_ashr_i32 s11, s8, 31
	s_mov_b32 s10, s8
	s_lshl_b64 s[10:11], s[10:11], 2
	v_mov_b32_e32 v9, s11
	v_add_co_u32_e32 v8, vcc, s10, v2
	v_addc_co_u32_e32 v9, vcc, v3, v9, vcc
	s_waitcnt lgkmcnt(0)
	v_mul_f32_e32 v0, v0, v12
	v_pk_mov_b32 v[10:11], v[6:7], v[6:7] op_sel:[0,1]
	s_mov_b32 s0, s4
	s_cmp_le_i32 s18, s8
	global_store_dword v[8:9], v0, off
	s_mov_b32 s1, s18
	s_waitcnt vmcnt(1)
	v_mul_f32_e32 v0, s16, v1
	s_cbranch_scc1 .LBB7_64
.LBB7_63:                               ;   Parent Loop BB7_60 Depth=1
                                        ; =>  This Inner Loop Header: Depth=2
	global_load_dword v1, v[10:11], off
	v_mov_b32_e32 v12, s0
	ds_read_b32 v12, v12
	s_add_i32 s1, s1, -1
	s_sub_i32 s0, s0, 32
	v_add_co_u32_e32 v10, vcc, -4, v10
	v_addc_co_u32_e32 v11, vcc, -1, v11, vcc
	s_cmp_gt_i32 s1, s8
	s_waitcnt vmcnt(0) lgkmcnt(0)
	v_fma_f32 v0, -v1, v12, v0
	s_cbranch_scc1 .LBB7_63
.LBB7_64:                               ;   in Loop: Header=BB7_60 Depth=1
	s_add_i32 s0, s8, -2
	s_mov_b32 s1, s9
	s_lshl_b64 s[10:11], s[0:1], 2
	v_mov_b32_e32 v1, s11
	v_add_co_u32_e32 v10, vcc, s10, v2
	v_addc_co_u32_e32 v11, vcc, v3, v1, vcc
	global_load_dword v1, v[10:11], off
	s_sub_i32 s5, s5, 36
	v_mov_b32_e32 v10, s5
	ds_read_b32 v12, v10
	v_pk_mov_b32 v[10:11], v[4:5], v[4:5] op_sel:[0,1]
	s_mov_b32 s1, s2
	s_cmp_le_i32 s6, s0
	s_mov_b32 s7, s6
	s_waitcnt lgkmcnt(0)
	v_mul_f32_e32 v0, v0, v12
	global_store_dword v[8:9], v0, off offset:-4
	s_waitcnt vmcnt(1)
	v_mul_f32_e32 v0, s16, v1
	s_cbranch_scc1 .LBB7_66
.LBB7_65:                               ;   Parent Loop BB7_60 Depth=1
                                        ; =>  This Inner Loop Header: Depth=2
	global_load_dword v1, v[10:11], off
	v_mov_b32_e32 v12, s1
	ds_read_b32 v12, v12
	s_add_i32 s7, s7, -1
	s_sub_i32 s1, s1, 32
	v_add_co_u32_e32 v10, vcc, -4, v10
	v_addc_co_u32_e32 v11, vcc, -1, v11, vcc
	s_cmp_gt_i32 s7, s0
	s_waitcnt vmcnt(0) lgkmcnt(0)
	v_fma_f32 v0, -v1, v12, v0
	s_cbranch_scc1 .LBB7_65
.LBB7_66:                               ;   in Loop: Header=BB7_60 Depth=1
	s_add_i32 s0, s8, -3
	s_mov_b32 s1, s9
	s_lshl_b64 s[10:11], s[0:1], 2
	v_mov_b32_e32 v1, s11
	v_add_co_u32_e32 v10, vcc, s10, v2
	v_addc_co_u32_e32 v11, vcc, v3, v1, vcc
	global_load_dword v1, v[10:11], off
	s_sub_i32 s1, s5, 36
	v_mov_b32_e32 v10, s1
	ds_read_b32 v12, v10
	v_pk_mov_b32 v[10:11], v[4:5], v[4:5] op_sel:[0,1]
	s_mov_b32 s5, s3
	s_cmp_le_i32 s6, s0
	s_mov_b32 s7, s6
	s_waitcnt lgkmcnt(0)
	v_mul_f32_e32 v0, v0, v12
	global_store_dword v[8:9], v0, off offset:-8
	s_waitcnt vmcnt(1)
	v_mul_f32_e32 v0, s16, v1
	s_cbranch_scc1 .LBB7_59
.LBB7_67:                               ;   Parent Loop BB7_60 Depth=1
                                        ; =>  This Inner Loop Header: Depth=2
	global_load_dword v1, v[10:11], off
	v_mov_b32_e32 v12, s5
	ds_read_b32 v12, v12
	s_add_i32 s7, s7, -1
	s_sub_i32 s5, s5, 32
	v_add_co_u32_e32 v10, vcc, -4, v10
	v_addc_co_u32_e32 v11, vcc, -1, v11, vcc
	s_cmp_gt_i32 s7, s0
	s_waitcnt vmcnt(0) lgkmcnt(0)
	v_fma_f32 v0, -v1, v12, v0
	s_cbranch_scc1 .LBB7_67
	s_branch .LBB7_59
.LBB7_68:
	s_endpgm
	.section	.rodata,"a",@progbits
	.p2align	6, 0x0
	.amdhsa_kernel _ZL30rocblas_trsm_small_left_deviceILi8ELi8ELb0EffPKfPfEv13rocblas_fill_18rocblas_operation_17rocblas_diagonal_iiT3_T4_lilT5_lili
		.amdhsa_group_segment_fixed_size 256
		.amdhsa_private_segment_fixed_size 0
		.amdhsa_kernarg_size 352
		.amdhsa_user_sgpr_count 6
		.amdhsa_user_sgpr_private_segment_buffer 1
		.amdhsa_user_sgpr_dispatch_ptr 0
		.amdhsa_user_sgpr_queue_ptr 0
		.amdhsa_user_sgpr_kernarg_segment_ptr 1
		.amdhsa_user_sgpr_dispatch_id 0
		.amdhsa_user_sgpr_flat_scratch_init 0
		.amdhsa_user_sgpr_kernarg_preload_length 0
		.amdhsa_user_sgpr_kernarg_preload_offset 0
		.amdhsa_user_sgpr_private_segment_size 0
		.amdhsa_uses_dynamic_stack 0
		.amdhsa_system_sgpr_private_segment_wavefront_offset 0
		.amdhsa_system_sgpr_workgroup_id_x 1
		.amdhsa_system_sgpr_workgroup_id_y 0
		.amdhsa_system_sgpr_workgroup_id_z 1
		.amdhsa_system_sgpr_workgroup_info 0
		.amdhsa_system_vgpr_workitem_id 0
		.amdhsa_next_free_vgpr 48
		.amdhsa_next_free_sgpr 43
		.amdhsa_accum_offset 48
		.amdhsa_reserve_vcc 1
		.amdhsa_reserve_flat_scratch 0
		.amdhsa_float_round_mode_32 0
		.amdhsa_float_round_mode_16_64 0
		.amdhsa_float_denorm_mode_32 3
		.amdhsa_float_denorm_mode_16_64 3
		.amdhsa_dx10_clamp 1
		.amdhsa_ieee_mode 1
		.amdhsa_fp16_overflow 0
		.amdhsa_tg_split 0
		.amdhsa_exception_fp_ieee_invalid_op 0
		.amdhsa_exception_fp_denorm_src 0
		.amdhsa_exception_fp_ieee_div_zero 0
		.amdhsa_exception_fp_ieee_overflow 0
		.amdhsa_exception_fp_ieee_underflow 0
		.amdhsa_exception_fp_ieee_inexact 0
		.amdhsa_exception_int_div_zero 0
	.end_amdhsa_kernel
	.section	.text._ZL30rocblas_trsm_small_left_deviceILi8ELi8ELb0EffPKfPfEv13rocblas_fill_18rocblas_operation_17rocblas_diagonal_iiT3_T4_lilT5_lili,"axG",@progbits,_ZL30rocblas_trsm_small_left_deviceILi8ELi8ELb0EffPKfPfEv13rocblas_fill_18rocblas_operation_17rocblas_diagonal_iiT3_T4_lilT5_lili,comdat
.Lfunc_end7:
	.size	_ZL30rocblas_trsm_small_left_deviceILi8ELi8ELb0EffPKfPfEv13rocblas_fill_18rocblas_operation_17rocblas_diagonal_iiT3_T4_lilT5_lili, .Lfunc_end7-_ZL30rocblas_trsm_small_left_deviceILi8ELi8ELb0EffPKfPfEv13rocblas_fill_18rocblas_operation_17rocblas_diagonal_iiT3_T4_lilT5_lili
                                        ; -- End function
	.section	.AMDGPU.csdata,"",@progbits
; Kernel info:
; codeLenInByte = 5332
; NumSgprs: 47
; NumVgprs: 48
; NumAgprs: 0
; TotalNumVgprs: 48
; ScratchSize: 0
; MemoryBound: 0
; FloatMode: 240
; IeeeMode: 1
; LDSByteSize: 256 bytes/workgroup (compile time only)
; SGPRBlocks: 5
; VGPRBlocks: 5
; NumSGPRsForWavesPerEU: 47
; NumVGPRsForWavesPerEU: 48
; AccumOffset: 48
; Occupancy: 8
; WaveLimiterHint : 0
; COMPUTE_PGM_RSRC2:SCRATCH_EN: 0
; COMPUTE_PGM_RSRC2:USER_SGPR: 6
; COMPUTE_PGM_RSRC2:TRAP_HANDLER: 0
; COMPUTE_PGM_RSRC2:TGID_X_EN: 1
; COMPUTE_PGM_RSRC2:TGID_Y_EN: 0
; COMPUTE_PGM_RSRC2:TGID_Z_EN: 1
; COMPUTE_PGM_RSRC2:TIDIG_COMP_CNT: 0
; COMPUTE_PGM_RSRC3_GFX90A:ACCUM_OFFSET: 11
; COMPUTE_PGM_RSRC3_GFX90A:TG_SPLIT: 0
	.section	.text._ZL38rocblas_trsm_small_left_device_sharedBILi8ELi8ELb1EffPKfPfEv13rocblas_fill_18rocblas_operation_17rocblas_diagonal_iiT3_T4_lilT5_lili,"axG",@progbits,_ZL38rocblas_trsm_small_left_device_sharedBILi8ELi8ELb1EffPKfPfEv13rocblas_fill_18rocblas_operation_17rocblas_diagonal_iiT3_T4_lilT5_lili,comdat
	.globl	_ZL38rocblas_trsm_small_left_device_sharedBILi8ELi8ELb1EffPKfPfEv13rocblas_fill_18rocblas_operation_17rocblas_diagonal_iiT3_T4_lilT5_lili ; -- Begin function _ZL38rocblas_trsm_small_left_device_sharedBILi8ELi8ELb1EffPKfPfEv13rocblas_fill_18rocblas_operation_17rocblas_diagonal_iiT3_T4_lilT5_lili
	.p2align	8
	.type	_ZL38rocblas_trsm_small_left_device_sharedBILi8ELi8ELb1EffPKfPfEv13rocblas_fill_18rocblas_operation_17rocblas_diagonal_iiT3_T4_lilT5_lili,@function
_ZL38rocblas_trsm_small_left_device_sharedBILi8ELi8ELb1EffPKfPfEv13rocblas_fill_18rocblas_operation_17rocblas_diagonal_iiT3_T4_lilT5_lili: ; @_ZL38rocblas_trsm_small_left_device_sharedBILi8ELi8ELb1EffPKfPfEv13rocblas_fill_18rocblas_operation_17rocblas_diagonal_iiT3_T4_lilT5_lili
; %bb.0:
	s_load_dwordx4 s[0:3], s[4:5], 0x4
	s_load_dword s25, s[4:5], 0x14
	s_load_dwordx4 s[8:11], s[4:5], 0x30
	s_load_dwordx2 s[16:17], s[4:5], 0x40
	s_mov_b32 s26, 0
	s_waitcnt lgkmcnt(0)
	s_min_i32 s24, s2, 8
	v_cmp_gt_i32_e32 vcc, s24, v0
	s_and_saveexec_b64 s[18:19], vcc
	s_cbranch_execz .LBB8_15
; %bb.1:
	s_load_dword s20, s[4:5], 0x28
	s_load_dwordx4 s[12:15], s[4:5], 0x18
	s_cmp_gt_u32 s24, 1
	s_cselect_b64 s[22:23], -1, 0
	s_mov_b32 s21, 1
	s_waitcnt lgkmcnt(0)
	s_cmp_eq_u32 s20, 1
	s_cselect_b64 s[28:29], -1, 0
	s_and_b64 s[28:29], s[22:23], s[28:29]
	s_mov_b64 s[22:23], -1
	s_and_b64 vcc, exec, s[28:29]
	s_cbranch_vccz .LBB8_9
; %bb.2:
	s_add_i32 s22, s24, -2
	s_lshr_b32 s23, s22, 1
	s_add_i32 s23, s23, 1
	s_cmp_lt_u32 s22, 14
	s_mov_b32 s22, s26
	s_cbranch_scc1 .LBB8_5
; %bb.3:
	s_mul_i32 s21, s9, s7
	s_mul_hi_u32 s22, s8, s7
	s_add_i32 s29, s22, s21
	s_mul_i32 s28, s8, s7
	s_and_b32 s27, s23, -8
	s_lshl_b64 s[28:29], s[28:29], 2
	s_lshl_b64 s[30:31], s[14:15], 2
	s_add_u32 s21, s28, s30
	s_addc_u32 s22, s29, s31
	s_add_u32 s21, s12, s21
	v_lshlrev_b32_e32 v1, 2, v0
	s_addc_u32 s22, s13, s22
	v_mov_b32_e32 v2, s22
	v_add_co_u32_e32 v1, vcc, s21, v1
	v_addc_co_u32_e32 v3, vcc, 0, v2, vcc
	v_add_co_u32_e32 v2, vcc, 56, v1
	v_addc_co_u32_e32 v3, vcc, 0, v3, vcc
	s_mov_b32 s21, 1
	s_mov_b32 s22, 0
.LBB8_4:                                ; =>This Inner Loop Header: Depth=1
	global_load_dwordx4 v[4:7], v[2:3], off offset:-56
	global_load_dwordx4 v[8:11], v[2:3], off offset:-40
	;; [unrolled: 1-line block ×4, first 2 shown]
	s_lshl_b32 s28, s26, 3
	s_lshl_b32 s29, s21, 3
	s_add_i32 s22, s22, 16
	s_add_i32 s21, s21, 16
	;; [unrolled: 1-line block ×3, first 2 shown]
	s_add_i32 s27, s27, -8
	v_add_co_u32_e32 v2, vcc, 64, v2
	v_or_b32_e32 v1, s29, v0
	v_or_b32_e32 v20, s28, v0
	s_add_i32 s30, s28, 16
	s_add_i32 s31, s29, 16
	s_add_i32 s33, s28, 32
	s_add_i32 s34, s29, 32
	s_add_i32 s35, s28, 48
	s_add_i32 s36, s29, 48
	s_add_i32 s37, s28, 64
	s_add_i32 s38, s29, 64
	s_add_i32 s39, s28, 0x50
	s_add_i32 s40, s29, 0x50
	s_add_i32 s41, s28, 0x60
	s_add_i32 s42, s29, 0x60
	s_addk_i32 s28, 0x70
	s_addk_i32 s29, 0x70
	v_addc_co_u32_e32 v3, vcc, 0, v3, vcc
	v_lshlrev_b32_e32 v20, 2, v20
	v_or_b32_e32 v21, s31, v0
	v_or_b32_e32 v22, s30, v0
	;; [unrolled: 1-line block ×14, first 2 shown]
	s_cmp_lg_u32 s27, 0
	v_lshlrev_b32_e32 v1, 2, v1
	v_lshlrev_b32_e32 v22, 2, v22
	;; [unrolled: 1-line block ×15, first 2 shown]
	s_waitcnt vmcnt(3)
	ds_write_b32 v20, v4
	ds_write_b32 v1, v5
	ds_write_b32 v22, v6
	ds_write_b32 v21, v7
	s_waitcnt vmcnt(2)
	ds_write_b32 v24, v8
	ds_write_b32 v23, v9
	ds_write_b32 v26, v10
	ds_write_b32 v25, v11
	;; [unrolled: 5-line block ×4, first 2 shown]
	s_cbranch_scc1 .LBB8_4
.LBB8_5:
	s_and_b32 s27, s23, 7
	s_cmp_eq_u32 s27, 0
	s_mov_b32 s23, 0
	s_cbranch_scc1 .LBB8_8
; %bb.6:
	s_mul_i32 s28, s9, s7
	s_mul_hi_u32 s29, s8, s7
	s_add_i32 s29, s29, s28
	s_mul_i32 s28, s8, s7
	s_lshl_b64 s[28:29], s[28:29], 2
	s_lshl_b64 s[30:31], s[14:15], 2
	s_add_u32 s28, s28, s30
	s_addc_u32 s29, s29, s31
	s_lshl_b64 s[22:23], s[22:23], 2
	s_add_u32 s22, s12, s22
	s_addc_u32 s23, s13, s23
	s_add_u32 s22, s22, s28
	v_lshlrev_b32_e32 v1, 2, v0
	s_addc_u32 s23, s23, s29
	v_mov_b32_e32 v3, s23
	v_add_co_u32_e32 v2, vcc, s22, v1
	v_addc_co_u32_e32 v3, vcc, 0, v3, vcc
	s_lshl_b32 s22, s27, 3
.LBB8_7:                                ; =>This Inner Loop Header: Depth=1
	global_load_dwordx2 v[4:5], v[2:3], off
	v_lshl_or_b32 v6, s26, 5, v1
	v_lshl_or_b32 v7, s21, 5, v1
	s_add_i32 s21, s21, 2
	s_add_i32 s26, s26, 2
	v_add_co_u32_e32 v2, vcc, 8, v2
	s_add_i32 s22, s22, -8
	v_addc_co_u32_e32 v3, vcc, 0, v3, vcc
	s_cmp_lg_u32 s22, 0
	s_waitcnt vmcnt(0)
	ds_write_b32 v6, v4
	ds_write_b32 v7, v5
	s_cbranch_scc1 .LBB8_7
.LBB8_8:
	s_and_b32 s26, s24, -2
	s_cmp_lg_u32 s24, s26
	s_cselect_b64 s[22:23], -1, 0
.LBB8_9:
	s_and_b64 vcc, exec, s[22:23]
	s_cbranch_vccz .LBB8_12
; %bb.10:
	s_ashr_i32 s21, s20, 31
	s_mul_i32 s9, s9, s7
	s_mul_hi_u32 s22, s8, s7
	s_add_i32 s9, s22, s9
	s_mul_hi_u32 s22, s20, s26
	s_mul_i32 s23, s21, s26
	s_mul_i32 s8, s8, s7
	s_add_i32 s23, s22, s23
	s_mul_i32 s22, s20, s26
	s_lshl_b64 s[8:9], s[8:9], 2
	s_lshl_b64 s[22:23], s[22:23], 2
	s_add_u32 s22, s8, s22
	s_addc_u32 s23, s9, s23
	s_lshl_b64 s[8:9], s[14:15], 2
	s_add_u32 s8, s22, s8
	s_addc_u32 s9, s23, s9
	s_add_u32 s8, s12, s8
	v_lshlrev_b32_e32 v1, 2, v0
	s_addc_u32 s9, s13, s9
	v_mov_b32_e32 v3, s9
	v_add_co_u32_e32 v2, vcc, s8, v1
	s_lshl_b64 s[8:9], s[20:21], 2
	v_addc_co_u32_e32 v3, vcc, 0, v3, vcc
	v_lshl_or_b32 v1, s26, 5, v1
	s_sub_i32 s12, s24, s26
	v_mov_b32_e32 v4, s9
.LBB8_11:                               ; =>This Inner Loop Header: Depth=1
	global_load_dword v5, v[2:3], off
	v_add_co_u32_e32 v2, vcc, s8, v2
	s_add_i32 s12, s12, -1
	v_addc_co_u32_e32 v3, vcc, v3, v4, vcc
	s_cmp_eq_u32 s12, 0
	s_waitcnt vmcnt(0)
	ds_write_b32 v1, v5
	v_add_u32_e32 v1, 32, v1
	s_cbranch_scc0 .LBB8_11
.LBB8_12:
	v_mul_u32_u24_e32 v1, 9, v0
	s_cmpk_lg_i32 s1, 0x84
	v_lshlrev_b32_e32 v1, 2, v1
	v_mov_b32_e32 v2, 1.0
	s_cbranch_scc0 .LBB8_14
; %bb.13:
	ds_read_b32 v2, v1
	s_waitcnt lgkmcnt(0)
	v_div_scale_f32 v3, s[8:9], v2, v2, 1.0
	v_rcp_f32_e32 v4, v3
	v_div_scale_f32 v5, vcc, 1.0, v2, 1.0
	v_fma_f32 v6, -v3, v4, 1.0
	v_fmac_f32_e32 v4, v6, v4
	v_mul_f32_e32 v6, v5, v4
	v_fma_f32 v7, -v3, v6, v5
	v_fmac_f32_e32 v6, v7, v4
	v_fma_f32 v3, -v3, v6, v5
	v_div_fmas_f32 v3, v3, v4, v6
	v_div_fixup_f32 v2, v3, v2, 1.0
.LBB8_14:
	ds_write_b32 v1, v2
.LBB8_15:
	s_or_b64 exec, exec, s[18:19]
	s_load_dword s1, s[4:5], 0x60
	s_load_dwordx2 s[12:13], s[4:5], 0x50
	s_load_dword s8, s[4:5], 0x48
	v_lshlrev_b32_e32 v6, 2, v0
	s_waitcnt lgkmcnt(0)
	s_mul_i32 s5, s7, s13
	s_mul_hi_u32 s9, s7, s12
	s_mul_i32 s4, s7, s12
	s_add_i32 s5, s9, s5
	s_lshl_b64 s[4:5], s[4:5], 2
	s_add_u32 s7, s10, s4
	s_addc_u32 s9, s11, s5
	s_lshl_b64 s[4:5], s[16:17], 2
	s_add_u32 s7, s7, s4
	s_addc_u32 s9, s9, s5
	s_lshl_b32 s4, s6, 3
	s_add_i32 s1, s1, -1
	s_sub_i32 s3, s3, s4
	s_cmp_ge_u32 s6, s1
	s_mul_hi_i32 s5, s8, s4
	s_mul_i32 s4, s8, s4
	s_cselect_b32 s1, s3, 8
	s_lshl_b64 s[4:5], s[4:5], 2
	s_add_u32 s3, s7, s4
	s_addc_u32 s9, s9, s5
	s_cmp_gt_i32 s2, 0
	v_cmp_gt_i32_e32 vcc, s1, v0
	s_cselect_b64 s[4:5], -1, 0
	s_and_b64 s[4:5], vcc, s[4:5]
	s_and_saveexec_b64 s[6:7], s[4:5]
	s_cbranch_execz .LBB8_24
; %bb.16:
	v_mad_i64_i32 v[2:3], s[10:11], s8, v0, 0
	v_lshlrev_b64 v[2:3], 2, v[2:3]
	v_mov_b32_e32 v1, s9
	v_add_co_u32_e32 v2, vcc, s3, v2
	v_addc_co_u32_e32 v3, vcc, v1, v3, vcc
	global_load_dword v1, v[2:3], off
	s_cmp_eq_u32 s2, 1
	s_waitcnt vmcnt(0)
	v_mul_f32_e32 v1, s25, v1
	ds_write_b32 v6, v1 offset:256
	s_cbranch_scc1 .LBB8_24
; %bb.17:
	global_load_dword v4, v[2:3], off offset:4
	v_or_b32_e32 v1, 0x100, v6
	s_cmp_eq_u32 s2, 2
	s_waitcnt vmcnt(0)
	v_mul_f32_e32 v4, s25, v4
	ds_write_b32 v1, v4 offset:32
	s_cbranch_scc1 .LBB8_24
; %bb.18:
	global_load_dword v4, v[2:3], off offset:8
	s_cmp_eq_u32 s2, 3
	s_waitcnt vmcnt(0)
	v_mul_f32_e32 v4, s25, v4
	ds_write_b32 v1, v4 offset:64
	s_cbranch_scc1 .LBB8_24
; %bb.19:
	global_load_dword v4, v[2:3], off offset:12
	;; [unrolled: 7-line block ×6, first 2 shown]
	s_waitcnt vmcnt(0)
	v_mul_f32_e32 v2, s25, v2
	ds_write_b32 v1, v2 offset:224
.LBB8_24:
	s_or_b64 exec, exec, s[6:7]
	s_cmpk_eq_i32 s0, 0x6f
	s_mov_b64 s[0:1], -1
	s_waitcnt lgkmcnt(0)
	; wave barrier
	s_waitcnt lgkmcnt(0)
	s_cbranch_scc1 .LBB8_49
; %bb.25:
	s_add_i32 s0, s24, -1
	s_cmp_gt_i32 s2, 7
	s_cbranch_scc0 .LBB8_27
; %bb.26:
	s_lshl_b32 s1, s24, 3
	s_add_i32 s6, s1, -16
	v_or_b32_e32 v2, s6, v0
	s_sub_i32 s6, s1, 24
	v_or_b32_e32 v3, s6, v0
	s_sub_i32 s7, s1, 32
	v_lshlrev_b32_e32 v7, 2, v3
	v_or_b32_e32 v3, s7, v0
	s_sub_i32 s10, s1, 40
	v_lshlrev_b32_e32 v30, 2, v3
	v_or_b32_e32 v3, s10, v0
	s_sub_i32 s11, s1, 48
	v_lshlrev_b32_e32 v31, 2, v3
	v_or_b32_e32 v3, s11, v0
	s_sub_i32 s12, s1, 56
	s_add_i32 s14, s24, -2
	v_lshlrev_b32_e32 v32, 2, v3
	v_or_b32_e32 v3, s12, v0
	s_sub_i32 s1, s1, 64
	s_mul_i32 s13, s0, 36
	v_lshl_or_b32 v42, s14, 5, v6
	s_add_i32 s14, s14, s6
	v_lshl_or_b32 v1, s0, 5, v6
	v_lshlrev_b32_e32 v2, 2, v2
	v_lshlrev_b32_e32 v33, 2, v3
	v_or_b32_e32 v3, s1, v0
	s_sub_i32 s15, s13, 36
	s_lshl_b32 s6, s14, 2
	s_add_i32 s14, s13, 0xffffffb8
	s_add_i32 s7, s7, s0
	;; [unrolled: 1-line block ×4, first 2 shown]
	v_lshlrev_b32_e32 v34, 2, v3
	ds_read_b32 v28, v1 offset:256
	ds_read_b32 v35, v2 offset:256
	;; [unrolled: 1-line block ×8, first 2 shown]
	v_mov_b32_e32 v2, s13
	v_mov_b32_e32 v3, s15
	;; [unrolled: 1-line block ×3, first 2 shown]
	s_lshl_b32 s7, s7, 2
	s_add_i32 s14, s13, 0xffffff94
	s_add_i32 s10, s10, s0
	;; [unrolled: 1-line block ×3, first 2 shown]
	s_lshl_b32 s11, s11, 2
	s_add_i32 s16, s13, 0xffffff4c
	s_add_i32 s12, s12, s0
	;; [unrolled: 1-line block ×3, first 2 shown]
	s_lshl_b32 s1, s1, 2
	v_mov_b32_e32 v5, s7
	v_mov_b32_e32 v8, s14
	s_lshl_b32 s10, s10, 2
	v_mov_b32_e32 v9, s15
	v_mov_b32_e32 v10, s11
	;; [unrolled: 1-line block ×3, first 2 shown]
	ds_read_b32 v29, v2
	ds_read2_b32 v[2:3], v3 offset1:1
	ds_read_b32 v43, v4
	ds_read_b32 v44, v5
	;; [unrolled: 1-line block ×6, first 2 shown]
	s_lshl_b32 s12, s12, 2
	v_mov_b32_e32 v4, s18
	s_add_i32 s18, s1, -8
	s_add_i32 s7, s7, -8
	;; [unrolled: 1-line block ×8, first 2 shown]
	s_sub_i32 s12, s12, 20
	v_mov_b32_e32 v5, s18
	s_add_i32 s18, s1, -16
	ds_read_b32 v49, v4
	v_mov_b32_e32 v4, s1
	v_mov_b32_e32 v8, s18
	;; [unrolled: 1-line block ×11, first 2 shown]
	ds_read_b32 v50, v4
	ds_read2_b32 v[4:5], v5 offset1:1
	ds_read2_b32 v[8:9], v8 offset1:1
	;; [unrolled: 1-line block ×11, first 2 shown]
	s_waitcnt lgkmcnt(14)
	v_mul_f32_e32 v29, v28, v29
	ds_write_b32 v1, v29 offset:256
	v_fma_f32 v1, -v29, v3, v35
	v_mul_f32_e32 v28, v1, v2
	s_waitcnt lgkmcnt(3)
	v_pk_mul_f32 v[2:3], v[28:29], v[22:23]
	v_sub_f32_e32 v1, v36, v3
	v_sub_f32_e32 v1, v1, v2
	v_mul_f32_e32 v2, v1, v43
	v_mov_b32_e32 v3, v28
	v_fma_f32 v35, -v29, v44, v37
	v_pk_mul_f32 v[18:19], v[2:3], v[18:19]
	v_sub_f32_e32 v1, v35, v19
	s_waitcnt lgkmcnt(2)
	v_pk_mul_f32 v[22:23], v[28:29], v[24:25]
	v_sub_f32_e32 v1, v1, v18
	v_sub_f32_e32 v23, v38, v23
	v_mul_f32_e32 v18, v1, v45
	v_mov_b32_e32 v19, v2
	s_waitcnt lgkmcnt(1)
	v_pk_mul_f32 v[24:25], v[28:29], v[26:27]
	v_sub_f32_e32 v22, v23, v22
	v_pk_mul_f32 v[14:15], v[18:19], v[14:15]
	v_sub_f32_e32 v25, v40, v25
	v_fma_f32 v26, -v29, v50, v41
	v_pk_mul_f32 v[20:21], v[2:3], v[20:21]
	ds_write_b32 v7, v2 offset:256
	v_sub_f32_e32 v1, v22, v15
	v_pk_mul_f32 v[2:3], v[2:3], v[4:5]
	v_fma_f32 v36, -v29, v47, v39
	v_sub_f32_e32 v23, v25, v24
	v_pk_mul_f32 v[16:17], v[18:19], v[16:17]
	v_sub_f32_e32 v3, v26, v3
	v_sub_f32_e32 v1, v1, v14
	;; [unrolled: 1-line block ×5, first 2 shown]
	v_mul_f32_e32 v2, v1, v46
	v_mov_b32_e32 v3, v18
	v_sub_f32_e32 v7, v21, v20
	v_pk_mul_f32 v[4:5], v[2:3], v[12:13]
	v_sub_f32_e32 v1, v7, v5
	v_sub_f32_e32 v1, v1, v4
	v_mul_f32_e32 v4, v1, v48
	v_mov_b32_e32 v5, v2
	v_sub_f32_e32 v7, v15, v16
	v_pk_mul_f32 v[10:11], v[4:5], v[10:11]
	ds_write_b32 v31, v2 offset:256
	v_sub_f32_e32 v1, v7, v11
	v_pk_mul_f32 v[2:3], v[2:3], v[8:9]
	s_sub_i32 s1, s1, 24
	v_sub_f32_e32 v3, v17, v3
	v_sub_f32_e32 v1, v1, v10
	;; [unrolled: 1-line block ×3, first 2 shown]
	v_mul_f32_e32 v2, v1, v49
	v_mov_b32_e32 v1, s1
	ds_read2_b32 v[8:9], v1 offset1:1
	s_add_i32 s1, s13, 0xffffff04
	v_mov_b32_e32 v1, s1
	ds_read_b32 v1, v1
	v_mov_b32_e32 v3, v4
	ds_write_b32 v33, v2 offset:256
	s_waitcnt lgkmcnt(2)
	v_pk_mul_f32 v[2:3], v[2:3], v[8:9]
	v_sub_f32_e32 v3, v5, v3
	v_sub_f32_e32 v2, v3, v2
	s_waitcnt lgkmcnt(1)
	v_mul_f32_e32 v1, v2, v1
	s_add_i32 s1, s24, -9
	ds_write_b32 v42, v28 offset:256
	ds_write_b32 v30, v18 offset:256
	;; [unrolled: 1-line block ×4, first 2 shown]
	s_cmp_gt_i32 s1, -1
	s_cbranch_scc1 .LBB8_28
	s_branch .LBB8_48
.LBB8_27:
	s_mov_b32 s1, s0
	s_cmp_gt_i32 s1, -1
	s_cbranch_scc0 .LBB8_48
.LBB8_28:
	s_cmp_lt_u32 s1, 3
	s_cbranch_scc1 .LBB8_34
; %bb.29:
	s_lshl_b32 s6, s1, 5
	s_lshl_b32 s7, s24, 2
	s_add_i32 s6, s6, s7
	v_lshl_or_b32 v1, s24, 5, v6
	s_addk_i32 s6, 0xff9c
	v_add_u32_e32 v5, 0xe0, v1
.LBB8_30:                               ; =>This Loop Header: Depth=1
                                        ;     Child Loop BB8_31 Depth 2
	s_lshl_b32 s10, s1, 3
	v_or_b32_e32 v1, s10, v0
	s_add_i32 s7, s10, -8
	v_lshlrev_b32_e32 v9, 2, v1
	v_or_b32_e32 v1, s7, v0
	s_add_i32 s7, s10, -16
	v_or_b32_e32 v2, s7, v0
	s_sub_i32 s10, s10, 24
	v_lshlrev_b32_e32 v1, 2, v1
	v_lshlrev_b32_e32 v8, 2, v2
	v_or_b32_e32 v2, s10, v0
	v_lshlrev_b32_e32 v7, 2, v2
	ds_read_b32 v4, v9 offset:256
	ds_read_b32 v1, v1 offset:256
	;; [unrolled: 1-line block ×4, first 2 shown]
	s_cmp_le_i32 s0, s1
	v_mov_b32_e32 v10, v5
	s_mov_b32 s11, s6
	s_mov_b32 s12, s0
	s_cbranch_scc1 .LBB8_32
.LBB8_31:                               ;   Parent Loop BB8_30 Depth=1
                                        ; =>  This Inner Loop Header: Depth=2
	v_mov_b32_e32 v14, s11
	ds_read_b32 v11, v10
	ds_read2_b32 v[12:13], v14 offset0:16 offset1:24
	ds_read2_b32 v[14:15], v14 offset1:8
	s_add_i32 s12, s12, -1
	s_add_i32 s11, s11, -4
	v_subrev_u32_e32 v10, 32, v10
	s_cmp_gt_i32 s12, s1
	s_waitcnt lgkmcnt(1)
	v_fma_f32 v4, -v11, v13, v4
	v_fma_f32 v1, -v11, v12, v1
	s_waitcnt lgkmcnt(0)
	v_fma_f32 v2, -v11, v15, v2
	v_fma_f32 v3, -v11, v14, v3
	s_cbranch_scc1 .LBB8_31
.LBB8_32:                               ;   in Loop: Header=BB8_30 Depth=1
	s_mul_i32 s11, s1, 36
	s_add_i32 s12, s1, -1
	s_sub_i32 s13, s11, 36
	v_lshl_or_b32 v16, s12, 5, v6
	s_add_i32 s12, s12, s7
	s_add_i32 s10, s10, s1
	v_mov_b32_e32 v10, s11
	v_mov_b32_e32 v11, s13
	s_lshl_b32 s7, s12, 2
	s_add_i32 s12, s11, 0xffffffb8
	s_lshl_b32 s10, s10, 2
	v_mov_b32_e32 v12, s12
	v_mov_b32_e32 v13, s10
	ds_read_b32 v14, v10
	ds_read2_b32 v[10:11], v11 offset1:1
	ds_read_b32 v17, v12
	ds_read_b32 v18, v13
	v_add_u32_e32 v9, 0x100, v9
	s_waitcnt lgkmcnt(3)
	v_mul_f32_e32 v13, v4, v14
	s_waitcnt lgkmcnt(2)
	v_fma_f32 v1, -v13, v11, v1
	v_mov_b32_e32 v4, s7
	v_mul_f32_e32 v12, v1, v10
	ds_read2_b32 v[10:11], v4 offset1:1
	s_add_i32 s10, s10, -8
	ds_write_b32 v9, v13
	v_mov_b32_e32 v1, s10
	s_add_i32 s7, s11, 0xffffff94
	v_mov_b32_e32 v4, s7
	ds_read2_b32 v[14:15], v1 offset1:1
	ds_read_b32 v1, v4
	s_waitcnt lgkmcnt(3)
	v_pk_mul_f32 v[10:11], v[12:13], v[10:11]
	v_sub_f32_e32 v2, v2, v11
	v_sub_f32_e32 v2, v2, v10
	v_fma_f32 v4, -v13, v18, v3
	v_mul_f32_e32 v2, v2, v17
	v_mov_b32_e32 v3, v12
	ds_write_b32 v8, v2 offset:256
	s_waitcnt lgkmcnt(2)
	v_pk_mul_f32 v[2:3], v[2:3], v[14:15]
	v_sub_f32_e32 v3, v4, v3
	v_sub_f32_e32 v2, v3, v2
	s_add_i32 s7, s1, -4
	s_addk_i32 s6, 0xff80
	s_waitcnt lgkmcnt(1)
	v_mul_f32_e32 v1, v2, v1
	s_cmp_gt_i32 s1, 6
	ds_write_b32 v16, v12 offset:256
	ds_write_b32 v7, v1 offset:256
	s_cbranch_scc0 .LBB8_35
; %bb.33:                               ;   in Loop: Header=BB8_30 Depth=1
	s_mov_b32 s1, s7
	s_branch .LBB8_30
.LBB8_34:
	s_mov_b32 s7, s1
.LBB8_35:
	s_cmp_lt_i32 s7, 0
	s_cbranch_scc1 .LBB8_48
; %bb.36:
	s_bitcmp1_b32 s7, 0
	s_cselect_b64 s[10:11], -1, 0
	s_and_b64 vcc, exec, s[10:11]
	s_mov_b32 s1, s7
	s_cbranch_vccnz .LBB8_41
; %bb.37:
	v_lshl_or_b32 v1, s7, 5, v6
	ds_read_b32 v2, v1 offset:256
	s_cmp_le_i32 s0, s7
	s_cbranch_scc1 .LBB8_40
; %bb.38:
	s_lshl_b32 s1, s7, 5
	s_lshl_b32 s6, s24, 2
	s_add_i32 s1, s1, s6
	v_lshl_or_b32 v3, s24, 5, v6
	s_add_i32 s1, s1, -4
	v_add_u32_e32 v3, 0xe0, v3
	s_mov_b32 s6, s0
.LBB8_39:                               ; =>This Inner Loop Header: Depth=1
	v_mov_b32_e32 v5, s1
	ds_read_b32 v4, v3
	ds_read_b32 v5, v5
	s_add_i32 s6, s6, -1
	s_add_i32 s1, s1, -4
	v_subrev_u32_e32 v3, 32, v3
	s_cmp_gt_i32 s6, s7
	s_waitcnt lgkmcnt(0)
	v_fma_f32 v2, -v4, v5, v2
	s_cbranch_scc1 .LBB8_39
.LBB8_40:
	s_mul_i32 s1, s7, 36
	v_mov_b32_e32 v3, s1
	ds_read_b32 v3, v3
	v_add_u32_e32 v1, 0x100, v1
	s_add_i32 s1, s7, -1
	s_waitcnt lgkmcnt(0)
	v_mul_f32_e32 v2, v2, v3
	ds_write_b32 v1, v2
.LBB8_41:
	s_cmp_eq_u32 s7, 0
	s_cbranch_scc1 .LBB8_48
; %bb.42:
	s_lshl_b32 s6, s1, 5
	s_lshl_b32 s7, s24, 2
	s_add_i32 s7, s6, s7
	v_lshl_or_b32 v1, s24, 5, v6
	s_add_i32 s6, s7, -4
	v_add_u32_e32 v1, 0xe0, v1
	s_sub_i32 s7, s7, 36
	s_branch .LBB8_44
.LBB8_43:                               ;   in Loop: Header=BB8_44 Depth=1
	s_sub_i32 s10, s10, 36
	v_mov_b32_e32 v4, s10
	ds_read_b32 v4, v4
	s_add_i32 s10, s1, -2
	s_sub_i32 s6, s6, 64
	s_sub_i32 s7, s7, 64
	v_add_u32_e32 v3, 0x100, v3
	s_cmp_lt_i32 s1, 2
	s_waitcnt lgkmcnt(0)
	v_mul_f32_e32 v2, v2, v4
	s_mov_b32 s1, s10
	ds_write_b32 v3, v2
	s_cbranch_scc1 .LBB8_48
.LBB8_44:                               ; =>This Loop Header: Depth=1
                                        ;     Child Loop BB8_45 Depth 2
                                        ;     Child Loop BB8_47 Depth 2
	v_lshl_or_b32 v2, s1, 5, v6
	ds_read_b32 v4, v2 offset:256
	s_cmp_le_i32 s0, s1
	v_mov_b32_e32 v3, v1
	s_mov_b32 s10, s6
	s_mov_b32 s11, s0
	s_cbranch_scc1 .LBB8_46
.LBB8_45:                               ;   Parent Loop BB8_44 Depth=1
                                        ; =>  This Inner Loop Header: Depth=2
	v_mov_b32_e32 v7, s10
	ds_read_b32 v5, v3
	ds_read_b32 v7, v7
	s_add_i32 s11, s11, -1
	s_add_i32 s10, s10, -4
	v_subrev_u32_e32 v3, 32, v3
	s_cmp_gt_i32 s11, s1
	s_waitcnt lgkmcnt(0)
	v_fma_f32 v4, -v5, v7, v4
	s_cbranch_scc1 .LBB8_45
.LBB8_46:                               ;   in Loop: Header=BB8_44 Depth=1
	s_mul_i32 s10, s1, 36
	v_add_u32_e32 v5, 0x100, v2
	v_mov_b32_e32 v2, s10
	s_lshl_b32 s11, s1, 5
	ds_read_b32 v7, v2
	s_sub_i32 s11, s11, 32
	v_lshl_or_b32 v3, v0, 2, s11
	ds_read_b32 v2, v3 offset:256
	s_cmp_le_i32 s24, s1
	s_waitcnt lgkmcnt(1)
	v_mul_f32_e32 v4, v4, v7
	ds_write_b32 v5, v4
	v_mov_b32_e32 v4, v1
	s_mov_b32 s11, s7
	s_mov_b32 s12, s24
	s_cbranch_scc1 .LBB8_43
.LBB8_47:                               ;   Parent Loop BB8_44 Depth=1
                                        ; =>  This Inner Loop Header: Depth=2
	v_mov_b32_e32 v7, s11
	ds_read_b32 v5, v4
	ds_read_b32 v7, v7
	s_add_i32 s12, s12, -1
	s_add_i32 s11, s11, -4
	v_subrev_u32_e32 v4, 32, v4
	s_cmp_gt_i32 s12, s1
	s_waitcnt lgkmcnt(0)
	v_fma_f32 v2, -v5, v7, v2
	s_cbranch_scc1 .LBB8_47
	s_branch .LBB8_43
.LBB8_48:
	s_mov_b64 s[0:1], 0
.LBB8_49:
	s_and_b64 vcc, exec, s[0:1]
	s_cbranch_vccz .LBB8_77
; %bb.50:
	s_cmp_gt_i32 s2, 7
	s_cbranch_scc0 .LBB8_52
; %bb.51:
	ds_read2_b32 v[12:13], v6 offset0:64 offset1:72
	v_mov_b32_e32 v1, 0
	ds_read_b128 v[2:5], v1
	ds_read2_b32 v[16:17], v6 offset0:80 offset1:88
	ds_read2_b32 v[18:19], v6 offset0:96 offset1:104
	;; [unrolled: 1-line block ×3, first 2 shown]
	ds_read_b128 v[8:11], v1 offset:16
	ds_read2_b32 v[22:23], v1 offset0:9 offset1:10
	ds_read2_b32 v[24:25], v1 offset0:11 offset1:12
	;; [unrolled: 1-line block ×3, first 2 shown]
	ds_read_b32 v30, v1 offset:60
	s_waitcnt lgkmcnt(8)
	v_mul_f32_e32 v7, v12, v2
	v_fma_f32 v2, -v7, v3, v13
	ds_read2_b64 v[12:15], v1 offset0:9 offset1:10
	s_waitcnt lgkmcnt(4)
	v_mul_f32_e32 v31, v2, v22
	v_fma_f32 v2, -v7, v4, v16
	ds_read2_b32 v[28:29], v1 offset0:27 offset1:28
	v_fma_f32 v2, -v31, v23, v2
	ds_read_b64 v[22:23], v1 offset:88
	s_waitcnt lgkmcnt(2)
	v_mul_f32_e32 v32, v2, v12
	v_fma_f32 v2, -v7, v5, v17
	v_fma_f32 v2, -v31, v24, v2
	;; [unrolled: 1-line block ×3, first 2 shown]
	ds_read2_b32 v[12:13], v1 offset0:29 offset1:30
	ds_read2_b32 v[16:17], v1 offset0:45 offset1:46
	s_waitcnt lgkmcnt(3)
	v_mul_f32_e32 v24, v2, v28
	ds_read_b128 v[2:5], v1 offset:144
	v_fma_f32 v8, -v7, v8, v18
	v_fma_f32 v8, -v31, v25, v8
	;; [unrolled: 1-line block ×4, first 2 shown]
	s_waitcnt lgkmcnt(0)
	v_mul_f32_e32 v14, v8, v2
	v_fma_f32 v2, -v7, v9, v19
	v_fma_f32 v2, -v31, v26, v2
	;; [unrolled: 1-line block ×5, first 2 shown]
	v_mul_f32_e32 v12, v2, v16
	v_fma_f32 v2, -v7, v10, v20
	v_fma_f32 v2, -v31, v27, v2
	;; [unrolled: 1-line block ×4, first 2 shown]
	ds_read_b64 v[2:3], v1 offset:216
	ds_write2_b32 v6, v7, v31 offset0:64 offset1:72
	ds_write2_b32 v6, v32, v24 offset0:80 offset1:88
	;; [unrolled: 1-line block ×3, first 2 shown]
	v_fma_f32 v4, -v14, v4, v8
	v_fma_f32 v4, -v12, v17, v4
	ds_read2_b32 v[8:9], v1 offset0:31 offset1:47
	ds_read_b32 v1, v1 offset:252
	s_waitcnt lgkmcnt(5)
	v_mul_f32_e32 v2, v4, v2
	v_fma_f32 v4, -v7, v11, v21
	v_fma_f32 v4, -v31, v30, v4
	;; [unrolled: 1-line block ×3, first 2 shown]
	s_waitcnt lgkmcnt(1)
	v_fma_f32 v4, -v24, v8, v4
	v_fma_f32 v4, -v14, v5, v4
	;; [unrolled: 1-line block ×4, first 2 shown]
	s_waitcnt lgkmcnt(0)
	v_mul_f32_e32 v1, v3, v1
	s_mov_b32 s6, 8
	ds_write2_b32 v6, v2, v1 offset0:112 offset1:120
	s_cmp_lt_i32 s6, s24
	s_cbranch_scc1 .LBB8_53
	s_branch .LBB8_77
.LBB8_52:
	s_mov_b32 s6, 0
	s_cmp_lt_i32 s6, s24
	s_cbranch_scc0 .LBB8_77
.LBB8_53:
	s_or_b32 s0, s6, 3
	s_cmp_ge_u32 s0, s24
	s_cbranch_scc1 .LBB8_65
; %bb.54:
	s_add_i32 s7, s6, -1
	s_lshl_b32 s10, s6, 2
	v_mov_b32_e32 v1, 0x100
	s_bitcmp1_b32 s6, 2
	v_lshl_or_b32 v1, v0, 2, v1
	s_mov_b32 s11, 0
	s_cselect_b64 s[0:1], -1, 0
.LBB8_55:                               ; =>This Loop Header: Depth=1
                                        ;     Child Loop BB8_58 Depth 2
                                        ;     Child Loop BB8_62 Depth 2
	v_lshl_or_b32 v7, s6, 5, v6
	ds_read2_b32 v[4:5], v7 offset0:64 offset1:72
	ds_read2_b32 v[2:3], v7 offset0:80 offset1:88
	s_cmp_eq_u32 s6, 0
	s_cbranch_scc1 .LBB8_63
; %bb.56:                               ;   in Loop: Header=BB8_55 Depth=1
	s_lshl_b32 s12, s11, 2
	s_add_i32 s12, s7, s12
	s_cmp_lt_u32 s12, 7
	s_cbranch_scc1 .LBB8_60
; %bb.57:                               ;   in Loop: Header=BB8_55 Depth=1
	s_and_b32 s12, s6, -8
	s_mov_b32 s13, 0
	v_mov_b32_e32 v8, v1
	s_mov_b32 s14, s10
.LBB8_58:                               ;   Parent Loop BB8_55 Depth=1
                                        ; =>  This Inner Loop Header: Depth=2
	ds_read2_b32 v[42:43], v8 offset1:8
	ds_read2_b32 v[44:45], v8 offset0:16 offset1:24
	ds_read2_b32 v[46:47], v8 offset0:32 offset1:40
	;; [unrolled: 1-line block ×3, first 2 shown]
	v_mov_b32_e32 v9, s14
	ds_read_b128 v[10:13], v9
	ds_read_b128 v[14:17], v9 offset:32
	ds_read_b128 v[18:21], v9 offset:64
	;; [unrolled: 1-line block ×7, first 2 shown]
	s_waitcnt lgkmcnt(11)
	v_mov_b32_e32 v50, v43
	s_waitcnt lgkmcnt(7)
	v_pk_fma_f32 v[4:5], v[42:43], v[10:11], v[4:5] op_sel_hi:[0,1,1] neg_lo:[1,0,0] neg_hi:[1,0,0]
	v_pk_fma_f32 v[2:3], v[42:43], v[12:13], v[2:3] op_sel_hi:[0,1,1] neg_lo:[1,0,0] neg_hi:[1,0,0]
	s_waitcnt lgkmcnt(6)
	v_pk_fma_f32 v[4:5], v[50:51], v[14:15], v[4:5] op_sel_hi:[0,1,1] neg_lo:[1,0,0] neg_hi:[1,0,0]
	v_pk_fma_f32 v[2:3], v[50:51], v[16:17], v[2:3] op_sel_hi:[0,1,1] neg_lo:[1,0,0] neg_hi:[1,0,0]
	v_mov_b32_e32 v52, v45
	s_waitcnt lgkmcnt(5)
	v_pk_fma_f32 v[4:5], v[44:45], v[18:19], v[4:5] op_sel_hi:[0,1,1] neg_lo:[1,0,0] neg_hi:[1,0,0]
	v_pk_fma_f32 v[2:3], v[44:45], v[20:21], v[2:3] op_sel_hi:[0,1,1] neg_lo:[1,0,0] neg_hi:[1,0,0]
	s_waitcnt lgkmcnt(4)
	v_pk_fma_f32 v[4:5], v[52:53], v[22:23], v[4:5] op_sel_hi:[0,1,1] neg_lo:[1,0,0] neg_hi:[1,0,0]
	v_pk_fma_f32 v[2:3], v[52:53], v[24:25], v[2:3] op_sel_hi:[0,1,1] neg_lo:[1,0,0] neg_hi:[1,0,0]
	v_mov_b32_e32 v54, v47
	s_waitcnt lgkmcnt(3)
	v_pk_fma_f32 v[4:5], v[46:47], v[26:27], v[4:5] op_sel_hi:[0,1,1] neg_lo:[1,0,0] neg_hi:[1,0,0]
	v_pk_fma_f32 v[2:3], v[46:47], v[28:29], v[2:3] op_sel_hi:[0,1,1] neg_lo:[1,0,0] neg_hi:[1,0,0]
	s_waitcnt lgkmcnt(2)
	v_pk_fma_f32 v[4:5], v[54:55], v[30:31], v[4:5] op_sel_hi:[0,1,1] neg_lo:[1,0,0] neg_hi:[1,0,0]
	v_pk_fma_f32 v[2:3], v[54:55], v[32:33], v[2:3] op_sel_hi:[0,1,1] neg_lo:[1,0,0] neg_hi:[1,0,0]
	s_add_i32 s13, s13, 8
	s_addk_i32 s14, 0x100
	v_mov_b32_e32 v56, v49
	s_waitcnt lgkmcnt(1)
	v_pk_fma_f32 v[4:5], v[48:49], v[34:35], v[4:5] op_sel_hi:[0,1,1] neg_lo:[1,0,0] neg_hi:[1,0,0]
	v_pk_fma_f32 v[2:3], v[48:49], v[36:37], v[2:3] op_sel_hi:[0,1,1] neg_lo:[1,0,0] neg_hi:[1,0,0]
	v_add_u32_e32 v8, 0x100, v8
	s_cmp_lg_u32 s12, s13
	s_waitcnt lgkmcnt(0)
	v_pk_fma_f32 v[4:5], v[56:57], v[38:39], v[4:5] op_sel_hi:[0,1,1] neg_lo:[1,0,0] neg_hi:[1,0,0]
	v_pk_fma_f32 v[2:3], v[56:57], v[40:41], v[2:3] op_sel_hi:[0,1,1] neg_lo:[1,0,0] neg_hi:[1,0,0]
	s_cbranch_scc1 .LBB8_58
; %bb.59:                               ;   in Loop: Header=BB8_55 Depth=1
	s_bitcmp0_b32 s6, 2
	s_cbranch_scc0 .LBB8_61
	s_branch .LBB8_63
.LBB8_60:                               ;   in Loop: Header=BB8_55 Depth=1
	s_mov_b32 s12, 0
	s_bitcmp0_b32 s6, 2
	s_cbranch_scc1 .LBB8_63
.LBB8_61:                               ;   in Loop: Header=BB8_55 Depth=1
	v_cndmask_b32_e64 v8, 0, 1, s[0:1]
	v_readfirstlane_b32 s13, v8
	s_lshl_b32 s13, s13, 2
	s_lshl_b32 s12, s12, 5
.LBB8_62:                               ;   Parent Loop BB8_55 Depth=1
                                        ; =>  This Inner Loop Header: Depth=2
	v_add_u32_e32 v8, s12, v1
	s_add_i32 s14, s10, s12
	ds_read_b32 v12, v8
	v_mov_b32_e32 v8, s14
	ds_read_b128 v[8:11], v8
	s_add_i32 s13, s13, -1
	s_add_i32 s12, s12, 32
	s_cmp_lg_u32 s13, 0
	s_waitcnt lgkmcnt(0)
	v_pk_fma_f32 v[4:5], v[12:13], v[8:9], v[4:5] op_sel_hi:[0,1,1] neg_lo:[1,0,0] neg_hi:[1,0,0]
	v_pk_fma_f32 v[2:3], v[12:13], v[10:11], v[2:3] op_sel_hi:[0,1,1] neg_lo:[1,0,0] neg_hi:[1,0,0]
	s_cbranch_scc1 .LBB8_62
.LBB8_63:                               ;   in Loop: Header=BB8_55 Depth=1
	s_mul_i32 s12, s6, 36
	v_mov_b32_e32 v14, s12
	ds_read_b128 v[8:11], v14
	ds_read2_b32 v[12:13], v14 offset0:9 offset1:10
	s_lshl_b32 s12, s6, 3
	v_add_u32_e32 v7, 0x100, v7
	s_or_b32 s12, s12, 8
	s_waitcnt lgkmcnt(1)
	v_mul_f32_e32 v8, v4, v8
	v_fma_f32 v4, -v8, v9, v5
	ds_write_b32 v7, v8
	s_waitcnt lgkmcnt(1)
	v_mul_f32_e32 v7, v4, v12
	v_or_b32_e32 v4, s12, v0
	s_add_i32 s12, s6, s12
	v_lshlrev_b32_e32 v4, 2, v4
	s_lshl_b32 s12, s12, 2
	ds_write_b32 v4, v7 offset:256
	ds_read_b64 v[4:5], v14 offset:72
	v_mov_b32_e32 v9, s12
	v_fma_f32 v2, -v8, v10, v2
	ds_read_b32 v9, v9 offset:12
	ds_read_b32 v10, v14 offset:108
	v_fma_f32 v2, -v7, v13, v2
	v_fma_f32 v3, -v8, v11, v3
	s_waitcnt lgkmcnt(2)
	v_mul_f32_e32 v2, v2, v4
	s_lshl_b32 s12, s6, 5
	s_waitcnt lgkmcnt(1)
	v_fma_f32 v3, -v7, v9, v3
	v_lshl_or_b32 v4, v0, 2, s12
	v_fma_f32 v3, -v2, v5, v3
	s_add_i32 s12, s6, 4
	s_add_i32 s6, s6, 7
	s_add_i32 s11, s11, 1
	s_add_i32 s10, s10, 16
	s_not_b64 s[0:1], s[0:1]
	s_waitcnt lgkmcnt(0)
	v_mul_f32_e32 v3, v3, v10
	s_cmp_lt_i32 s6, s24
	ds_write2_b32 v4, v2, v3 offset0:80 offset1:88
	s_cbranch_scc0 .LBB8_66
; %bb.64:                               ;   in Loop: Header=BB8_55 Depth=1
	s_mov_b32 s6, s12
	s_branch .LBB8_55
.LBB8_65:
	s_mov_b32 s12, s6
.LBB8_66:
	s_cmp_ge_i32 s12, s24
	s_cbranch_scc1 .LBB8_77
; %bb.67:
	v_mov_b32_e32 v1, 0x100
	s_add_i32 s0, s12, -1
	s_lshl_b32 s1, s12, 2
	v_lshl_or_b32 v1, v0, 2, v1
	s_mov_b32 s6, 0
	s_mov_b32 s7, s12
	s_branch .LBB8_69
.LBB8_68:                               ;   in Loop: Header=BB8_69 Depth=1
	s_mul_i32 s10, s12, 36
	v_mov_b32_e32 v4, s10
	ds_read_b32 v4, v4
	s_add_i32 s12, s12, 1
	s_add_i32 s6, s6, 1
	;; [unrolled: 1-line block ×3, first 2 shown]
	v_add_u16_e64 v5, s7, 1
	v_add_u32_e32 v3, 0x100, v3
	s_waitcnt lgkmcnt(0)
	v_mul_f32_e32 v2, v2, v4
	s_cmp_ge_i32 s12, s24
	v_readfirstlane_b32 s7, v5
	ds_write_b32 v3, v2
	s_cbranch_scc1 .LBB8_77
.LBB8_69:                               ; =>This Loop Header: Depth=1
                                        ;     Child Loop BB8_72 Depth 2
                                        ;     Child Loop BB8_76 Depth 2
	v_lshl_or_b32 v3, s12, 5, v6
	ds_read_b32 v2, v3 offset:256
	s_cmp_eq_u32 s12, 0
	s_cbranch_scc1 .LBB8_68
; %bb.70:                               ;   in Loop: Header=BB8_69 Depth=1
	s_add_i32 s10, s0, s6
	s_cmp_lt_u32 s10, 7
	s_cbranch_scc1 .LBB8_74
; %bb.71:                               ;   in Loop: Header=BB8_69 Depth=1
	s_and_b32 s10, s12, -8
	s_mov_b32 s11, 0
	v_mov_b32_e32 v4, v1
	s_mov_b32 s13, s1
.LBB8_72:                               ;   Parent Loop BB8_69 Depth=1
                                        ; =>  This Inner Loop Header: Depth=2
	ds_read2_b32 v[8:9], v4 offset1:8
	v_mov_b32_e32 v5, s13
	ds_read2_b32 v[10:11], v4 offset0:16 offset1:24
	ds_read2_b32 v[12:13], v4 offset0:32 offset1:40
	;; [unrolled: 1-line block ×3, first 2 shown]
	ds_read2_b32 v[16:17], v5 offset1:8
	ds_read2_b32 v[18:19], v5 offset0:16 offset1:24
	ds_read2_b32 v[20:21], v5 offset0:32 offset1:40
	;; [unrolled: 1-line block ×3, first 2 shown]
	s_add_i32 s11, s11, 8
	s_waitcnt lgkmcnt(3)
	v_fma_f32 v2, -v8, v16, v2
	v_fma_f32 v2, -v9, v17, v2
	s_waitcnt lgkmcnt(2)
	v_fma_f32 v2, -v10, v18, v2
	v_fma_f32 v2, -v11, v19, v2
	s_waitcnt lgkmcnt(1)
	v_fma_f32 v2, -v12, v20, v2
	v_fma_f32 v2, -v13, v21, v2
	s_addk_i32 s13, 0x100
	s_waitcnt lgkmcnt(0)
	v_fma_f32 v2, -v14, v22, v2
	v_add_u32_e32 v4, 0x100, v4
	s_cmp_lg_u32 s10, s11
	v_fma_f32 v2, -v15, v23, v2
	s_cbranch_scc1 .LBB8_72
; %bb.73:                               ;   in Loop: Header=BB8_69 Depth=1
	s_and_b32 s11, s12, 7
	s_cmp_eq_u32 s11, 0
	s_cbranch_scc0 .LBB8_75
	s_branch .LBB8_68
.LBB8_74:                               ;   in Loop: Header=BB8_69 Depth=1
	s_mov_b32 s10, 0
	s_and_b32 s11, s12, 7
	s_cmp_eq_u32 s11, 0
	s_cbranch_scc1 .LBB8_68
.LBB8_75:                               ;   in Loop: Header=BB8_69 Depth=1
	s_and_b32 s11, s7, 7
	s_lshl_b32 s10, s10, 5
.LBB8_76:                               ;   Parent Loop BB8_69 Depth=1
                                        ; =>  This Inner Loop Header: Depth=2
	s_add_i32 s13, s1, s10
	v_add_u32_e32 v4, s10, v1
	v_mov_b32_e32 v5, s13
	ds_read_b32 v4, v4
	ds_read_b32 v5, v5
	s_add_i32 s10, s10, 32
	s_add_i32 s11, s11, -1
	s_cmp_lg_u32 s11, 0
	s_waitcnt lgkmcnt(0)
	v_fma_f32 v2, -v4, v5, v2
	s_cbranch_scc1 .LBB8_76
	s_branch .LBB8_68
.LBB8_77:
	s_waitcnt lgkmcnt(0)
	; wave barrier
	s_waitcnt lgkmcnt(0)
	s_and_saveexec_b64 s[0:1], s[4:5]
	s_cbranch_execz .LBB8_86
; %bb.78:
	ds_read_b32 v3, v6 offset:256
	v_mad_i64_i32 v[0:1], s[0:1], s8, v0, 0
	v_lshlrev_b64 v[0:1], 2, v[0:1]
	v_mov_b32_e32 v2, s9
	v_add_co_u32_e32 v0, vcc, s3, v0
	v_addc_co_u32_e32 v1, vcc, v2, v1, vcc
	s_cmp_eq_u32 s2, 1
	s_waitcnt lgkmcnt(0)
	global_store_dword v[0:1], v3, off
	s_cbranch_scc1 .LBB8_86
; %bb.79:
	v_or_b32_e32 v2, 0x100, v6
	ds_read_b32 v3, v2 offset:32
	s_cmp_eq_u32 s2, 2
	s_waitcnt lgkmcnt(0)
	global_store_dword v[0:1], v3, off offset:4
	s_cbranch_scc1 .LBB8_86
; %bb.80:
	ds_read_b32 v3, v2 offset:64
	s_cmp_eq_u32 s2, 3
	s_waitcnt lgkmcnt(0)
	global_store_dword v[0:1], v3, off offset:8
	s_cbranch_scc1 .LBB8_86
; %bb.81:
	ds_read_b32 v3, v2 offset:96
	s_cmp_eq_u32 s2, 4
	s_waitcnt lgkmcnt(0)
	global_store_dword v[0:1], v3, off offset:12
	s_cbranch_scc1 .LBB8_86
; %bb.82:
	ds_read_b32 v3, v2 offset:128
	s_cmp_eq_u32 s2, 5
	s_waitcnt lgkmcnt(0)
	global_store_dword v[0:1], v3, off offset:16
	s_cbranch_scc1 .LBB8_86
; %bb.83:
	ds_read_b32 v3, v2 offset:160
	s_cmp_eq_u32 s2, 6
	s_waitcnt lgkmcnt(0)
	global_store_dword v[0:1], v3, off offset:20
	s_cbranch_scc1 .LBB8_86
; %bb.84:
	ds_read_b32 v3, v2 offset:192
	s_cmp_eq_u32 s2, 7
	s_waitcnt lgkmcnt(0)
	global_store_dword v[0:1], v3, off offset:24
	s_cbranch_scc1 .LBB8_86
; %bb.85:
	ds_read_b32 v2, v2 offset:224
	s_waitcnt lgkmcnt(0)
	global_store_dword v[0:1], v2, off offset:28
.LBB8_86:
	s_endpgm
	.section	.rodata,"a",@progbits
	.p2align	6, 0x0
	.amdhsa_kernel _ZL38rocblas_trsm_small_left_device_sharedBILi8ELi8ELb1EffPKfPfEv13rocblas_fill_18rocblas_operation_17rocblas_diagonal_iiT3_T4_lilT5_lili
		.amdhsa_group_segment_fixed_size 512
		.amdhsa_private_segment_fixed_size 0
		.amdhsa_kernarg_size 352
		.amdhsa_user_sgpr_count 6
		.amdhsa_user_sgpr_private_segment_buffer 1
		.amdhsa_user_sgpr_dispatch_ptr 0
		.amdhsa_user_sgpr_queue_ptr 0
		.amdhsa_user_sgpr_kernarg_segment_ptr 1
		.amdhsa_user_sgpr_dispatch_id 0
		.amdhsa_user_sgpr_flat_scratch_init 0
		.amdhsa_user_sgpr_kernarg_preload_length 0
		.amdhsa_user_sgpr_kernarg_preload_offset 0
		.amdhsa_user_sgpr_private_segment_size 0
		.amdhsa_uses_dynamic_stack 0
		.amdhsa_system_sgpr_private_segment_wavefront_offset 0
		.amdhsa_system_sgpr_workgroup_id_x 1
		.amdhsa_system_sgpr_workgroup_id_y 0
		.amdhsa_system_sgpr_workgroup_id_z 1
		.amdhsa_system_sgpr_workgroup_info 0
		.amdhsa_system_vgpr_workitem_id 0
		.amdhsa_next_free_vgpr 58
		.amdhsa_next_free_sgpr 43
		.amdhsa_accum_offset 60
		.amdhsa_reserve_vcc 1
		.amdhsa_reserve_flat_scratch 0
		.amdhsa_float_round_mode_32 0
		.amdhsa_float_round_mode_16_64 0
		.amdhsa_float_denorm_mode_32 3
		.amdhsa_float_denorm_mode_16_64 3
		.amdhsa_dx10_clamp 1
		.amdhsa_ieee_mode 1
		.amdhsa_fp16_overflow 0
		.amdhsa_tg_split 0
		.amdhsa_exception_fp_ieee_invalid_op 0
		.amdhsa_exception_fp_denorm_src 0
		.amdhsa_exception_fp_ieee_div_zero 0
		.amdhsa_exception_fp_ieee_overflow 0
		.amdhsa_exception_fp_ieee_underflow 0
		.amdhsa_exception_fp_ieee_inexact 0
		.amdhsa_exception_int_div_zero 0
	.end_amdhsa_kernel
	.section	.text._ZL38rocblas_trsm_small_left_device_sharedBILi8ELi8ELb1EffPKfPfEv13rocblas_fill_18rocblas_operation_17rocblas_diagonal_iiT3_T4_lilT5_lili,"axG",@progbits,_ZL38rocblas_trsm_small_left_device_sharedBILi8ELi8ELb1EffPKfPfEv13rocblas_fill_18rocblas_operation_17rocblas_diagonal_iiT3_T4_lilT5_lili,comdat
.Lfunc_end8:
	.size	_ZL38rocblas_trsm_small_left_device_sharedBILi8ELi8ELb1EffPKfPfEv13rocblas_fill_18rocblas_operation_17rocblas_diagonal_iiT3_T4_lilT5_lili, .Lfunc_end8-_ZL38rocblas_trsm_small_left_device_sharedBILi8ELi8ELb1EffPKfPfEv13rocblas_fill_18rocblas_operation_17rocblas_diagonal_iiT3_T4_lilT5_lili
                                        ; -- End function
	.section	.AMDGPU.csdata,"",@progbits
; Kernel info:
; codeLenInByte = 5572
; NumSgprs: 47
; NumVgprs: 58
; NumAgprs: 0
; TotalNumVgprs: 58
; ScratchSize: 0
; MemoryBound: 0
; FloatMode: 240
; IeeeMode: 1
; LDSByteSize: 512 bytes/workgroup (compile time only)
; SGPRBlocks: 5
; VGPRBlocks: 7
; NumSGPRsForWavesPerEU: 47
; NumVGPRsForWavesPerEU: 58
; AccumOffset: 60
; Occupancy: 8
; WaveLimiterHint : 0
; COMPUTE_PGM_RSRC2:SCRATCH_EN: 0
; COMPUTE_PGM_RSRC2:USER_SGPR: 6
; COMPUTE_PGM_RSRC2:TRAP_HANDLER: 0
; COMPUTE_PGM_RSRC2:TGID_X_EN: 1
; COMPUTE_PGM_RSRC2:TGID_Y_EN: 0
; COMPUTE_PGM_RSRC2:TGID_Z_EN: 1
; COMPUTE_PGM_RSRC2:TIDIG_COMP_CNT: 0
; COMPUTE_PGM_RSRC3_GFX90A:ACCUM_OFFSET: 14
; COMPUTE_PGM_RSRC3_GFX90A:TG_SPLIT: 0
	.section	.text._ZL30rocblas_trsm_small_left_deviceILi8ELi8ELb1EffPKfPfEv13rocblas_fill_18rocblas_operation_17rocblas_diagonal_iiT3_T4_lilT5_lili,"axG",@progbits,_ZL30rocblas_trsm_small_left_deviceILi8ELi8ELb1EffPKfPfEv13rocblas_fill_18rocblas_operation_17rocblas_diagonal_iiT3_T4_lilT5_lili,comdat
	.globl	_ZL30rocblas_trsm_small_left_deviceILi8ELi8ELb1EffPKfPfEv13rocblas_fill_18rocblas_operation_17rocblas_diagonal_iiT3_T4_lilT5_lili ; -- Begin function _ZL30rocblas_trsm_small_left_deviceILi8ELi8ELb1EffPKfPfEv13rocblas_fill_18rocblas_operation_17rocblas_diagonal_iiT3_T4_lilT5_lili
	.p2align	8
	.type	_ZL30rocblas_trsm_small_left_deviceILi8ELi8ELb1EffPKfPfEv13rocblas_fill_18rocblas_operation_17rocblas_diagonal_iiT3_T4_lilT5_lili,@function
_ZL30rocblas_trsm_small_left_deviceILi8ELi8ELb1EffPKfPfEv13rocblas_fill_18rocblas_operation_17rocblas_diagonal_iiT3_T4_lilT5_lili: ; @_ZL30rocblas_trsm_small_left_deviceILi8ELi8ELb1EffPKfPfEv13rocblas_fill_18rocblas_operation_17rocblas_diagonal_iiT3_T4_lilT5_lili
; %bb.0:
	s_load_dwordx4 s[8:11], s[4:5], 0x4
	s_load_dword s16, s[4:5], 0x14
	s_load_dwordx4 s[0:3], s[4:5], 0x30
	s_load_dwordx2 s[20:21], s[4:5], 0x40
	s_mov_b32 s19, 0
	s_waitcnt lgkmcnt(0)
	s_min_i32 s18, s10, 8
	v_cmp_gt_i32_e32 vcc, s18, v0
	s_and_saveexec_b64 s[22:23], vcc
	s_cbranch_execz .LBB9_15
; %bb.1:
	s_load_dword s24, s[4:5], 0x28
	s_load_dwordx4 s[12:15], s[4:5], 0x18
	s_cmp_gt_u32 s18, 1
	s_cselect_b64 s[26:27], -1, 0
	s_mov_b32 s17, 1
	s_waitcnt lgkmcnt(0)
	s_cmp_eq_u32 s24, 1
	s_cselect_b64 s[28:29], -1, 0
	s_and_b64 s[28:29], s[26:27], s[28:29]
	s_mov_b64 s[26:27], -1
	s_and_b64 vcc, exec, s[28:29]
	s_cbranch_vccz .LBB9_9
; %bb.2:
	s_add_i32 s26, s18, -2
	s_lshr_b32 s25, s26, 1
	s_add_i32 s25, s25, 1
	s_cmp_lt_u32 s26, 14
	s_mov_b32 s26, s19
	s_cbranch_scc1 .LBB9_5
; %bb.3:
	s_mul_i32 s17, s1, s7
	s_mul_hi_u32 s19, s0, s7
	s_add_i32 s29, s19, s17
	s_mul_i32 s28, s0, s7
	s_and_b32 s27, s25, -8
	s_lshl_b64 s[28:29], s[28:29], 2
	s_lshl_b64 s[30:31], s[14:15], 2
	s_add_u32 s17, s28, s30
	s_addc_u32 s19, s29, s31
	s_add_u32 s17, s12, s17
	v_lshlrev_b32_e32 v1, 2, v0
	s_addc_u32 s19, s13, s19
	v_mov_b32_e32 v2, s19
	v_add_co_u32_e32 v1, vcc, s17, v1
	v_addc_co_u32_e32 v3, vcc, 0, v2, vcc
	v_add_co_u32_e32 v2, vcc, 56, v1
	v_addc_co_u32_e32 v3, vcc, 0, v3, vcc
	s_mov_b32 s17, 1
	s_mov_b32 s26, 0
	;; [unrolled: 1-line block ×3, first 2 shown]
.LBB9_4:                                ; =>This Inner Loop Header: Depth=1
	global_load_dwordx4 v[4:7], v[2:3], off offset:-56
	global_load_dwordx4 v[8:11], v[2:3], off offset:-40
	;; [unrolled: 1-line block ×4, first 2 shown]
	s_lshl_b32 s28, s19, 3
	s_lshl_b32 s29, s17, 3
	s_add_i32 s26, s26, 16
	s_add_i32 s17, s17, 16
	;; [unrolled: 1-line block ×3, first 2 shown]
	s_add_i32 s27, s27, -8
	v_add_co_u32_e32 v2, vcc, 64, v2
	v_or_b32_e32 v1, s29, v0
	v_or_b32_e32 v20, s28, v0
	s_add_i32 s30, s28, 16
	s_add_i32 s31, s29, 16
	;; [unrolled: 1-line block ×12, first 2 shown]
	s_addk_i32 s28, 0x70
	s_addk_i32 s29, 0x70
	v_addc_co_u32_e32 v3, vcc, 0, v3, vcc
	v_lshlrev_b32_e32 v20, 2, v20
	v_or_b32_e32 v21, s31, v0
	v_or_b32_e32 v22, s30, v0
	;; [unrolled: 1-line block ×14, first 2 shown]
	s_cmp_lg_u32 s27, 0
	v_lshlrev_b32_e32 v1, 2, v1
	v_lshlrev_b32_e32 v22, 2, v22
	;; [unrolled: 1-line block ×15, first 2 shown]
	s_waitcnt vmcnt(3)
	ds_write_b32 v20, v4
	ds_write_b32 v1, v5
	ds_write_b32 v22, v6
	ds_write_b32 v21, v7
	s_waitcnt vmcnt(2)
	ds_write_b32 v24, v8
	ds_write_b32 v23, v9
	ds_write_b32 v26, v10
	ds_write_b32 v25, v11
	;; [unrolled: 5-line block ×4, first 2 shown]
	s_cbranch_scc1 .LBB9_4
.LBB9_5:
	s_and_b32 s25, s25, 7
	s_cmp_eq_u32 s25, 0
	s_mov_b32 s27, 0
	s_cbranch_scc1 .LBB9_8
; %bb.6:
	s_mul_i32 s28, s1, s7
	s_mul_hi_u32 s29, s0, s7
	s_add_i32 s29, s29, s28
	s_mul_i32 s28, s0, s7
	s_lshl_b64 s[28:29], s[28:29], 2
	s_lshl_b64 s[30:31], s[14:15], 2
	s_add_u32 s28, s28, s30
	s_addc_u32 s29, s29, s31
	s_lshl_b64 s[26:27], s[26:27], 2
	s_add_u32 s26, s12, s26
	s_addc_u32 s27, s13, s27
	s_add_u32 s26, s26, s28
	v_lshlrev_b32_e32 v1, 2, v0
	s_addc_u32 s27, s27, s29
	v_mov_b32_e32 v3, s27
	v_add_co_u32_e32 v2, vcc, s26, v1
	v_addc_co_u32_e32 v3, vcc, 0, v3, vcc
	s_lshl_b32 s25, s25, 3
.LBB9_7:                                ; =>This Inner Loop Header: Depth=1
	global_load_dwordx2 v[4:5], v[2:3], off
	v_lshl_or_b32 v6, s19, 5, v1
	v_lshl_or_b32 v7, s17, 5, v1
	s_add_i32 s17, s17, 2
	s_add_i32 s19, s19, 2
	v_add_co_u32_e32 v2, vcc, 8, v2
	s_add_i32 s25, s25, -8
	v_addc_co_u32_e32 v3, vcc, 0, v3, vcc
	s_cmp_lg_u32 s25, 0
	s_waitcnt vmcnt(0)
	ds_write_b32 v6, v4
	ds_write_b32 v7, v5
	s_cbranch_scc1 .LBB9_7
.LBB9_8:
	s_and_b32 s19, s18, -2
	s_cmp_lg_u32 s18, s19
	s_cselect_b64 s[26:27], -1, 0
.LBB9_9:
	s_and_b64 vcc, exec, s[26:27]
	s_cbranch_vccz .LBB9_12
; %bb.10:
	s_ashr_i32 s25, s24, 31
	s_mul_i32 s1, s1, s7
	s_mul_hi_u32 s17, s0, s7
	s_add_i32 s1, s17, s1
	s_mul_hi_u32 s17, s24, s19
	s_mul_i32 s26, s25, s19
	s_mul_i32 s0, s0, s7
	s_add_i32 s27, s17, s26
	s_mul_i32 s26, s24, s19
	s_lshl_b64 s[0:1], s[0:1], 2
	s_lshl_b64 s[26:27], s[26:27], 2
	s_add_u32 s17, s0, s26
	s_addc_u32 s26, s1, s27
	s_lshl_b64 s[0:1], s[14:15], 2
	s_add_u32 s0, s17, s0
	s_addc_u32 s1, s26, s1
	s_add_u32 s0, s12, s0
	v_lshlrev_b32_e32 v1, 2, v0
	s_addc_u32 s1, s13, s1
	v_mov_b32_e32 v3, s1
	v_add_co_u32_e32 v2, vcc, s0, v1
	s_lshl_b64 s[0:1], s[24:25], 2
	v_addc_co_u32_e32 v3, vcc, 0, v3, vcc
	v_lshl_or_b32 v1, s19, 5, v1
	s_sub_i32 s12, s18, s19
	v_mov_b32_e32 v4, s1
.LBB9_11:                               ; =>This Inner Loop Header: Depth=1
	global_load_dword v5, v[2:3], off
	v_add_co_u32_e32 v2, vcc, s0, v2
	s_add_i32 s12, s12, -1
	v_addc_co_u32_e32 v3, vcc, v3, v4, vcc
	s_cmp_eq_u32 s12, 0
	s_waitcnt vmcnt(0)
	ds_write_b32 v1, v5
	v_add_u32_e32 v1, 32, v1
	s_cbranch_scc0 .LBB9_11
.LBB9_12:
	v_mul_u32_u24_e32 v1, 9, v0
	s_cmpk_lg_i32 s9, 0x84
	v_lshlrev_b32_e32 v1, 2, v1
	v_mov_b32_e32 v2, 1.0
	s_cbranch_scc0 .LBB9_14
; %bb.13:
	ds_read_b32 v2, v1
	s_waitcnt lgkmcnt(0)
	v_div_scale_f32 v3, s[0:1], v2, v2, 1.0
	v_rcp_f32_e32 v4, v3
	v_div_scale_f32 v5, vcc, 1.0, v2, 1.0
	v_fma_f32 v6, -v3, v4, 1.0
	v_fmac_f32_e32 v4, v6, v4
	v_mul_f32_e32 v6, v5, v4
	v_fma_f32 v7, -v3, v6, v5
	v_fmac_f32_e32 v6, v7, v4
	v_fma_f32 v3, -v3, v6, v5
	v_div_fmas_f32 v3, v3, v4, v6
	v_div_fixup_f32 v2, v3, v2, 1.0
.LBB9_14:
	ds_write_b32 v1, v2
.LBB9_15:
	s_or_b64 exec, exec, s[22:23]
	s_load_dword s0, s[4:5], 0x60
	s_lshl_b32 s9, s6, 3
	s_sub_i32 s1, s11, s9
	s_waitcnt lgkmcnt(0)
	; wave barrier
	s_waitcnt lgkmcnt(0)
	s_add_i32 s0, s0, -1
	s_cmp_ge_u32 s6, s0
	s_cselect_b32 s0, s1, 8
	v_cmp_gt_i32_e32 vcc, s0, v0
	s_and_saveexec_b64 s[0:1], vcc
	s_cbranch_execz .LBB9_73
; %bb.16:
	s_load_dwordx2 s[0:1], s[4:5], 0x50
	s_load_dword s6, s[4:5], 0x48
	v_add_u32_e32 v0, s9, v0
	s_waitcnt lgkmcnt(0)
	s_mul_i32 s1, s7, s1
	s_mul_hi_u32 s4, s7, s0
	s_mul_i32 s0, s7, s0
	s_add_i32 s1, s4, s1
	s_lshl_b64 s[0:1], s[0:1], 2
	s_add_u32 s7, s2, s0
	s_addc_u32 s11, s3, s1
	s_lshl_b64 s[4:5], s[20:21], 2
	s_add_u32 s12, s7, s4
	v_mad_i64_i32 v[0:1], s[6:7], s6, v0, 0
	s_addc_u32 s11, s11, s5
	v_lshlrev_b64 v[4:5], 2, v[0:1]
	v_mov_b32_e32 v0, s11
	v_add_co_u32_e32 v2, vcc, s12, v4
	v_addc_co_u32_e32 v3, vcc, v0, v5, vcc
	s_cmpk_eq_i32 s8, 0x6f
	s_mov_b64 s[6:7], -1
	s_cbranch_scc1 .LBB9_45
; %bb.17:
	s_add_i32 s6, s18, -1
	s_cmp_gt_i32 s10, 7
	s_cbranch_scc0 .LBB9_19
; %bb.18:
	s_ashr_i32 s19, s18, 31
	s_lshl_b64 s[8:9], s[18:19], 2
	v_mov_b32_e32 v1, s9
	v_add_co_u32_e32 v0, vcc, s8, v2
	v_addc_co_u32_e32 v1, vcc, v3, v1, vcc
	global_load_dword v15, v[0:1], off offset:-4
	s_mov_b32 s19, 0
	s_lshl_b64 s[8:9], s[18:19], 2
	v_mov_b32_e32 v6, s9
	v_add_co_u32_e32 v10, vcc, s8, v2
	v_addc_co_u32_e32 v11, vcc, v3, v6, vcc
	global_load_dwordx3 v[12:14], v[10:11], off offset:-16
	global_load_dwordx4 v[6:9], v[10:11], off offset:-32
	s_lshl_b32 s8, s18, 3
	s_mul_i32 s7, s6, 36
	s_add_i32 s9, s8, s18
	s_add_i32 s8, s8, s6
	s_sub_i32 s11, s7, 36
	s_add_i32 s12, s7, 0xffffffb8
	s_add_i32 s14, s7, 0xffffff70
	;; [unrolled: 1-line block ×3, first 2 shown]
	s_lshl_b32 s8, s8, 2
	s_add_i32 s13, s7, 0xffffff94
	s_add_i32 s17, s7, 0xffffff28
	v_mov_b32_e32 v11, s11
	v_mov_b32_e32 v18, s12
	;; [unrolled: 1-line block ×4, first 2 shown]
	s_add_i32 s11, s8, 0xffffff80
	s_add_i32 s12, s8, 0xffffff78
	;; [unrolled: 1-line block ×10, first 2 shown]
	v_mov_b32_e32 v10, s7
	s_lshl_b32 s9, s9, 2
	v_mov_b32_e32 v19, s13
	v_mov_b32_e32 v16, s17
	v_mov_b32_e32 v22, s11
	v_mov_b32_e32 v23, s15
	v_mov_b32_e32 v24, s23
	v_mov_b32_e32 v25, s24
	v_mov_b32_e32 v26, s25
	v_mov_b32_e32 v27, s22
	v_mov_b32_e32 v28, s19
	v_mov_b32_e32 v29, s14
	v_mov_b32_e32 v30, s21
	v_mov_b32_e32 v31, s12
	s_addk_i32 s9, 0xff98
	s_add_i32 s13, s8, 0xffffff5c
	s_add_i32 s17, s8, 0xffffff38
	;; [unrolled: 1-line block ×3, first 2 shown]
	ds_read_b32 v40, v16
	ds_read_b32 v10, v10
	ds_read2_b32 v[16:17], v11 offset1:1
	ds_read_b32 v41, v18
	ds_read_b32 v42, v22
	;; [unrolled: 1-line block ×7, first 2 shown]
	ds_read2_b32 v[18:19], v25 offset1:1
	ds_read2_b32 v[20:21], v26 offset1:1
	ds_read2_b32 v[22:23], v27 offset1:1
	ds_read2_b32 v[24:25], v28 offset1:1
	ds_read2_b32 v[26:27], v29 offset1:1
	ds_read2_b32 v[28:29], v30 offset1:1
	ds_read2_b32 v[30:31], v31 offset1:1
	v_mov_b32_e32 v32, s17
	v_mov_b32_e32 v34, s9
	;; [unrolled: 1-line block ×4, first 2 shown]
	ds_read2_b32 v[32:33], v32 offset1:1
	ds_read2_b32 v[34:35], v34 offset1:1
	;; [unrolled: 1-line block ×4, first 2 shown]
	s_addk_i32 s8, 0xfee8
	s_addk_i32 s7, 0xff04
	s_waitcnt vmcnt(2)
	v_mul_f32_e32 v11, s16, v15
	s_waitcnt lgkmcnt(14)
	v_mul_f32_e32 v11, v11, v10
	v_mul_f32_e32 v10, v11, v17
	s_waitcnt vmcnt(1)
	v_fma_f32 v10, v14, s16, -v10
	v_mul_f32_e32 v10, v10, v16
	s_waitcnt lgkmcnt(2)
	v_pk_mul_f32 v[14:15], v[10:11], v[34:35]
	v_fma_f32 v15, v13, s16, -v15
	v_mul_f32_e32 v13, v11, v42
	v_fma_f32 v16, v12, s16, -v13
	s_waitcnt lgkmcnt(1)
	v_pk_mul_f32 v[12:13], v[10:11], v[36:37]
	s_waitcnt vmcnt(0)
	v_fma_f32 v13, v9, s16, -v13
	v_mul_f32_e32 v9, v11, v45
	v_fma_f32 v17, v8, s16, -v9
	s_waitcnt lgkmcnt(0)
	v_pk_mul_f32 v[8:9], v[10:11], v[38:39]
	v_fma_f32 v9, v7, s16, -v9
	v_mul_f32_e32 v7, v11, v47
	v_fma_f32 v34, v6, s16, -v7
	v_sub_f32_e32 v6, v15, v14
	v_mul_f32_e32 v6, v6, v41
	v_mov_b32_e32 v7, v10
	v_pk_mul_f32 v[14:15], v[6:7], v[30:31]
	v_sub_f32_e32 v15, v16, v15
	v_sub_f32_e32 v16, v13, v12
	v_pk_mul_f32 v[12:13], v[6:7], v[32:33]
	v_sub_f32_e32 v13, v17, v13
	v_sub_f32_e32 v17, v9, v8
	;; [unrolled: 1-line block ×3, first 2 shown]
	v_mul_f32_e32 v8, v8, v43
	v_mov_b32_e32 v9, v6
	v_pk_mul_f32 v[14:15], v[8:9], v[26:27]
	v_sub_f32_e32 v15, v16, v15
	v_sub_f32_e32 v26, v13, v12
	v_pk_mul_f32 v[12:13], v[8:9], v[28:29]
	v_sub_f32_e32 v13, v17, v13
	v_pk_mul_f32 v[16:17], v[6:7], v[18:19]
	v_sub_f32_e32 v6, v15, v14
	v_sub_f32_e32 v7, v34, v17
	global_store_dwordx4 v[0:1], v[8:11], off offset:-16
	v_sub_f32_e32 v16, v7, v16
	v_mul_f32_e32 v10, v6, v44
	v_mov_b32_e32 v11, v8
	v_pk_mul_f32 v[6:7], v[10:11], v[24:25]
	v_sub_f32_e32 v7, v26, v7
	v_sub_f32_e32 v6, v7, v6
	v_mul_f32_e32 v8, v6, v46
	v_mov_b32_e32 v9, v10
	v_sub_f32_e32 v12, v13, v12
	v_pk_mul_f32 v[6:7], v[8:9], v[22:23]
	v_sub_f32_e32 v7, v12, v7
	v_pk_mul_f32 v[12:13], v[10:11], v[20:21]
	v_sub_f32_e32 v9, v16, v13
	v_sub_f32_e32 v6, v7, v6
	;; [unrolled: 1-line block ×3, first 2 shown]
	v_mul_f32_e32 v12, v6, v40
	v_mov_b32_e32 v6, s8
	ds_read2_b32 v[6:7], v6 offset1:1
	v_mov_b32_e32 v11, s7
	ds_read_b32 v11, v11
	v_mov_b32_e32 v13, v8
	s_add_i32 s8, s18, -9
	s_waitcnt lgkmcnt(1)
	v_pk_mul_f32 v[6:7], v[12:13], v[6:7]
	v_sub_f32_e32 v7, v9, v7
	v_sub_f32_e32 v6, v7, v6
	s_waitcnt lgkmcnt(0)
	v_mul_f32_e32 v6, v6, v11
	v_mov_b32_e32 v7, v12
	v_mov_b32_e32 v9, v10
	global_store_dwordx4 v[0:1], v[6:9], off offset:-32
	s_cmp_gt_i32 s8, -1
	s_cbranch_scc1 .LBB9_20
	s_branch .LBB9_44
.LBB9_19:
	s_mov_b32 s8, s6
	s_cmp_gt_i32 s8, -1
	s_cbranch_scc0 .LBB9_44
.LBB9_20:
	s_cmp_lt_u32 s8, 3
	s_cbranch_scc1 .LBB9_26
; %bb.21:
	s_lshl_b32 s7, s8, 5
	s_lshl_b32 s9, s18, 2
	s_add_i32 s7, s7, s9
	s_add_i32 s11, s7, 0xffffff9c
	s_ashr_i32 s7, s6, 31
	s_lshl_b64 s[12:13], s[6:7], 2
	s_add_u32 s7, s2, s12
	s_addc_u32 s9, s3, s13
	s_add_u32 s7, s7, s4
	s_addc_u32 s9, s9, s5
	;; [unrolled: 2-line block ×3, first 2 shown]
	v_mov_b32_e32 v1, s9
	v_add_co_u32_e32 v0, vcc, s7, v4
	s_mov_b32 s17, s16
	v_addc_co_u32_e32 v1, vcc, v1, v5, vcc
	s_mov_b32 s9, 0
.LBB9_22:                               ; =>This Loop Header: Depth=1
                                        ;     Child Loop BB9_23 Depth 2
	s_lshl_b64 s[12:13], s[8:9], 2
	v_mov_b32_e32 v7, s13
	v_add_co_u32_e32 v6, vcc, s12, v2
	v_addc_co_u32_e32 v7, vcc, v3, v7, vcc
	global_load_dwordx4 v[6:9], v[6:7], off offset:-12
	v_pk_mov_b32 v[10:11], v[0:1], v[0:1] op_sel:[0,1]
	s_mov_b32 s7, s11
	s_cmp_le_i32 s6, s8
	s_mov_b32 s12, s6
	s_waitcnt vmcnt(0)
	v_pk_mul_f32 v[8:9], v[8:9], s[16:17]
	v_pk_mul_f32 v[6:7], v[6:7], s[16:17]
	s_cbranch_scc1 .LBB9_24
.LBB9_23:                               ;   Parent Loop BB9_22 Depth=1
                                        ; =>  This Inner Loop Header: Depth=2
	global_load_dword v16, v[10:11], off
	v_mov_b32_e32 v14, s7
	ds_read2_b32 v[12:13], v14 offset0:16 offset1:24
	ds_read2_b32 v[14:15], v14 offset1:8
	s_add_i32 s12, s12, -1
	s_add_i32 s7, s7, -4
	v_add_co_u32_e32 v10, vcc, -4, v10
	v_addc_co_u32_e32 v11, vcc, -1, v11, vcc
	s_cmp_gt_i32 s12, s8
	s_waitcnt vmcnt(0) lgkmcnt(1)
	v_fma_f32 v9, -v16, v13, v9
	v_fma_f32 v8, -v16, v12, v8
	s_waitcnt lgkmcnt(0)
	v_fma_f32 v7, -v16, v15, v7
	v_fma_f32 v6, -v16, v14, v6
	s_cbranch_scc1 .LBB9_23
.LBB9_24:                               ;   in Loop: Header=BB9_22 Depth=1
	s_ashr_i32 s13, s8, 31
	s_mov_b32 s12, s8
	s_mul_i32 s7, s8, 36
	s_lshl_b64 s[12:13], s[12:13], 2
	v_add_co_u32_e32 v10, vcc, s12, v2
	s_sub_i32 s12, s7, 36
	v_mov_b32_e32 v13, s12
	s_lshl_b32 s12, s8, 3
	s_add_i32 s12, s12, s8
	s_lshl_b32 s12, s12, 2
	s_add_i32 s14, s7, 0xffffffb8
	v_mov_b32_e32 v12, s7
	v_mov_b32_e32 v14, s14
	s_add_i32 s14, s12, 0xffffffa0
	v_mov_b32_e32 v15, s14
	ds_read_b32 v16, v12
	ds_read2_b32 v[12:13], v13 offset1:1
	ds_read_b32 v17, v14
	ds_read_b32 v18, v15
	v_mov_b32_e32 v11, s13
	s_add_i32 s13, s12, 0xffffffbc
	s_waitcnt lgkmcnt(3)
	v_mul_f32_e32 v9, v9, v16
	s_waitcnt lgkmcnt(2)
	v_fma_f32 v8, -v9, v13, v8
	v_mov_b32_e32 v13, s13
	v_mul_f32_e32 v8, v8, v12
	ds_read2_b32 v[12:13], v13 offset1:1
	s_addk_i32 s12, 0xff98
	s_addk_i32 s7, 0xff94
	v_mov_b32_e32 v14, s12
	v_mov_b32_e32 v16, s7
	ds_read2_b32 v[14:15], v14 offset1:1
	ds_read_b32 v16, v16
	s_waitcnt lgkmcnt(2)
	v_pk_mul_f32 v[12:13], v[8:9], v[12:13]
	v_sub_f32_e32 v7, v7, v13
	v_fma_f32 v18, -v9, v18, v6
	v_sub_f32_e32 v6, v7, v12
	v_mul_f32_e32 v12, v6, v17
	v_mov_b32_e32 v13, v8
	s_waitcnt lgkmcnt(1)
	v_pk_mul_f32 v[6:7], v[12:13], v[14:15]
	v_sub_f32_e32 v7, v18, v7
	v_sub_f32_e32 v6, v7, v6
	s_add_i32 s12, s8, -4
	s_addk_i32 s11, 0xff80
	v_addc_co_u32_e32 v11, vcc, v3, v11, vcc
	s_waitcnt lgkmcnt(0)
	v_mul_f32_e32 v6, v6, v16
	v_mov_b32_e32 v7, v12
	s_cmp_gt_i32 s8, 6
	global_store_dwordx4 v[10:11], v[6:9], off offset:-12
	s_cbranch_scc0 .LBB9_27
; %bb.25:                               ;   in Loop: Header=BB9_22 Depth=1
	s_mov_b32 s8, s12
	s_branch .LBB9_22
.LBB9_26:
	s_mov_b32 s12, s8
.LBB9_27:
	s_cmp_lt_i32 s12, 0
	s_cbranch_scc1 .LBB9_44
; %bb.28:
	s_add_i32 s7, s12, 1
	s_and_b32 s11, s7, 3
	s_cmp_eq_u32 s11, 0
	s_mov_b32 s8, s12
	s_cbranch_scc1 .LBB9_33
; %bb.29:
	s_lshl_b32 s7, s12, 5
	s_lshl_b32 s8, s18, 2
	s_add_i32 s7, s7, s8
	s_add_i32 s13, s7, -4
	s_ashr_i32 s7, s6, 31
	s_lshl_b64 s[8:9], s[6:7], 2
	s_add_u32 s7, s2, s8
	s_addc_u32 s8, s3, s9
	s_add_u32 s7, s7, s4
	s_addc_u32 s8, s8, s5
	;; [unrolled: 2-line block ×3, first 2 shown]
	v_mov_b32_e32 v0, s8
	v_add_co_u32_e32 v6, vcc, s7, v4
	s_mov_b32 s9, 0
	v_addc_co_u32_e32 v7, vcc, v0, v5, vcc
	s_mov_b32 s8, s12
	s_mov_b32 s7, s9
	s_branch .LBB9_31
.LBB9_30:                               ;   in Loop: Header=BB9_31 Depth=1
	s_mul_i32 s14, s8, 36
	v_mov_b32_e32 v1, s14
	ds_read_b32 v1, v1
	s_ashr_i32 s15, s8, 31
	s_mov_b32 s14, s8
	s_lshl_b64 s[14:15], s[14:15], 2
	v_mov_b32_e32 v8, s15
	s_waitcnt lgkmcnt(0)
	v_mul_f32_e32 v9, v0, v1
	v_add_co_u32_e32 v0, vcc, s14, v2
	s_add_i32 s8, s8, -1
	s_add_i32 s7, s7, 1
	s_sub_i32 s13, s13, 32
	v_addc_co_u32_e32 v1, vcc, v3, v8, vcc
	s_cmp_lg_u32 s7, s11
	global_store_dword v[0:1], v9, off
	s_cbranch_scc0 .LBB9_33
.LBB9_31:                               ; =>This Loop Header: Depth=1
                                        ;     Child Loop BB9_32 Depth 2
	s_lshl_b64 s[14:15], s[8:9], 2
	v_mov_b32_e32 v1, s15
	v_add_co_u32_e32 v0, vcc, s14, v2
	v_addc_co_u32_e32 v1, vcc, v3, v1, vcc
	global_load_dword v0, v[0:1], off
	v_pk_mov_b32 v[8:9], v[6:7], v[6:7] op_sel:[0,1]
	s_mov_b32 s14, s13
	s_cmp_le_i32 s6, s8
	s_mov_b32 s15, s6
	s_waitcnt vmcnt(0)
	v_mul_f32_e32 v0, s16, v0
	s_cbranch_scc1 .LBB9_30
.LBB9_32:                               ;   Parent Loop BB9_31 Depth=1
                                        ; =>  This Inner Loop Header: Depth=2
	global_load_dword v1, v[8:9], off
	v_mov_b32_e32 v10, s14
	ds_read_b32 v10, v10
	s_add_i32 s15, s15, -1
	s_add_i32 s14, s14, -4
	v_add_co_u32_e32 v8, vcc, -4, v8
	v_addc_co_u32_e32 v9, vcc, -1, v9, vcc
	s_cmp_gt_i32 s15, s8
	s_waitcnt vmcnt(0) lgkmcnt(0)
	v_fma_f32 v0, -v1, v10, v0
	s_cbranch_scc1 .LBB9_32
	s_branch .LBB9_30
.LBB9_33:
	s_cmp_lt_u32 s12, 3
	s_cbranch_scc1 .LBB9_44
; %bb.34:
	s_lshl_b32 s7, s8, 5
	s_lshl_b32 s9, s18, 2
	s_add_i32 s15, s7, s9
	s_add_i32 s14, s15, -4
	s_add_u32 s7, s4, s0
	s_addc_u32 s9, s5, s1
	v_add_co_u32_e32 v1, vcc, s7, v4
	s_ashr_i32 s7, s6, 31
	s_lshl_b64 s[12:13], s[6:7], 2
	v_mov_b32_e32 v0, s9
	s_add_u32 s7, s2, s12
	v_addc_co_u32_e32 v0, vcc, v0, v5, vcc
	s_addc_u32 s9, s3, s13
	s_ashr_i32 s11, s10, 31
	v_add_co_u32_e32 v6, vcc, s7, v1
	s_sub_i32 s7, s15, 36
	v_cmp_lt_i64_e64 s[12:13], s[10:11], 8
	s_and_b64 s[12:13], s[12:13], exec
	s_cselect_b32 s13, s11, 0
	s_cselect_b32 s12, s10, 8
	s_lshl_b64 s[12:13], s[12:13], 2
	v_mov_b32_e32 v7, s9
	s_add_u32 s11, s2, s12
	v_addc_co_u32_e32 v7, vcc, v7, v0, vcc
	s_addc_u32 s12, s3, s13
	v_mov_b32_e32 v8, s12
	v_add_co_u32_e32 v1, vcc, s11, v1
	v_addc_co_u32_e32 v0, vcc, v8, v0, vcc
	v_add_co_u32_e32 v8, vcc, -4, v1
	s_mov_b32 s9, 0
	v_addc_co_u32_e32 v9, vcc, -1, v0, vcc
	s_add_i32 s11, s15, 0xffffffbc
	s_addk_i32 s15, 0xff9c
	s_branch .LBB9_36
.LBB9_35:                               ;   in Loop: Header=BB9_36 Depth=1
	s_sub_i32 s12, s13, 36
	v_mov_b32_e32 v1, s12
	ds_read_b32 v1, v1
	s_add_i32 s12, s8, -4
	s_addk_i32 s14, 0xff80
	s_addk_i32 s7, 0xff80
	;; [unrolled: 1-line block ×4, first 2 shown]
	s_waitcnt lgkmcnt(0)
	v_mul_f32_e32 v0, v0, v1
	s_cmp_lt_i32 s8, 4
	s_mov_b32 s8, s12
	global_store_dword v[10:11], v0, off offset:-12
	s_cbranch_scc1 .LBB9_44
.LBB9_36:                               ; =>This Loop Header: Depth=1
                                        ;     Child Loop BB9_37 Depth 2
                                        ;     Child Loop BB9_39 Depth 2
	;; [unrolled: 1-line block ×4, first 2 shown]
	s_lshl_b64 s[12:13], s[8:9], 2
	v_mov_b32_e32 v1, s13
	v_add_co_u32_e32 v0, vcc, s12, v2
	v_addc_co_u32_e32 v1, vcc, v3, v1, vcc
	global_load_dword v0, v[0:1], off
	v_pk_mov_b32 v[10:11], v[6:7], v[6:7] op_sel:[0,1]
	s_mov_b32 s12, s14
	s_cmp_le_i32 s6, s8
	s_mov_b32 s13, s6
	s_waitcnt vmcnt(0)
	v_mul_f32_e32 v0, s16, v0
	s_cbranch_scc1 .LBB9_38
.LBB9_37:                               ;   Parent Loop BB9_36 Depth=1
                                        ; =>  This Inner Loop Header: Depth=2
	global_load_dword v1, v[10:11], off
	v_mov_b32_e32 v12, s12
	ds_read_b32 v12, v12
	s_add_i32 s13, s13, -1
	s_add_i32 s12, s12, -4
	v_add_co_u32_e32 v10, vcc, -4, v10
	v_addc_co_u32_e32 v11, vcc, -1, v11, vcc
	s_cmp_gt_i32 s13, s8
	s_waitcnt vmcnt(0) lgkmcnt(0)
	v_fma_f32 v0, -v1, v12, v0
	s_cbranch_scc1 .LBB9_37
.LBB9_38:                               ;   in Loop: Header=BB9_36 Depth=1
	s_add_i32 s12, s8, -1
	s_mov_b32 s13, s9
	s_lshl_b64 s[12:13], s[12:13], 2
	v_mov_b32_e32 v1, s13
	v_add_co_u32_e32 v10, vcc, s12, v2
	v_addc_co_u32_e32 v11, vcc, v3, v1, vcc
	global_load_dword v1, v[10:11], off
	s_mul_i32 s17, s8, 36
	v_mov_b32_e32 v10, s17
	ds_read_b32 v14, v10
	s_ashr_i32 s21, s8, 31
	s_mov_b32 s20, s8
	s_lshl_b64 s[20:21], s[20:21], 2
	v_mov_b32_e32 v11, s21
	v_add_co_u32_e32 v10, vcc, s20, v2
	v_addc_co_u32_e32 v11, vcc, v3, v11, vcc
	s_waitcnt lgkmcnt(0)
	v_mul_f32_e32 v0, v0, v14
	v_pk_mov_b32 v[12:13], v[8:9], v[8:9] op_sel:[0,1]
	s_mov_b32 s12, s7
	s_cmp_le_i32 s18, s8
	global_store_dword v[10:11], v0, off
	s_mov_b32 s13, s18
	s_waitcnt vmcnt(1)
	v_mul_f32_e32 v0, s16, v1
	s_cbranch_scc1 .LBB9_40
.LBB9_39:                               ;   Parent Loop BB9_36 Depth=1
                                        ; =>  This Inner Loop Header: Depth=2
	global_load_dword v1, v[12:13], off
	v_mov_b32_e32 v14, s12
	ds_read_b32 v14, v14
	s_add_i32 s13, s13, -1
	s_add_i32 s12, s12, -4
	v_add_co_u32_e32 v12, vcc, -4, v12
	v_addc_co_u32_e32 v13, vcc, -1, v13, vcc
	s_cmp_gt_i32 s13, s8
	s_waitcnt vmcnt(0) lgkmcnt(0)
	v_fma_f32 v0, -v1, v14, v0
	s_cbranch_scc1 .LBB9_39
.LBB9_40:                               ;   in Loop: Header=BB9_36 Depth=1
	s_add_i32 s12, s8, -2
	s_mov_b32 s13, s9
	s_lshl_b64 s[20:21], s[12:13], 2
	v_mov_b32_e32 v1, s21
	v_add_co_u32_e32 v12, vcc, s20, v2
	v_addc_co_u32_e32 v13, vcc, v3, v1, vcc
	global_load_dword v1, v[12:13], off
	s_sub_i32 s17, s17, 36
	v_mov_b32_e32 v12, s17
	ds_read_b32 v14, v12
	v_pk_mov_b32 v[12:13], v[6:7], v[6:7] op_sel:[0,1]
	s_mov_b32 s13, s11
	s_cmp_le_i32 s6, s12
	s_mov_b32 s19, s6
	s_waitcnt lgkmcnt(0)
	v_mul_f32_e32 v0, v0, v14
	global_store_dword v[10:11], v0, off offset:-4
	s_waitcnt vmcnt(1)
	v_mul_f32_e32 v0, s16, v1
	s_cbranch_scc1 .LBB9_42
.LBB9_41:                               ;   Parent Loop BB9_36 Depth=1
                                        ; =>  This Inner Loop Header: Depth=2
	global_load_dword v1, v[12:13], off
	v_mov_b32_e32 v14, s13
	ds_read_b32 v14, v14
	s_add_i32 s19, s19, -1
	s_add_i32 s13, s13, -4
	v_add_co_u32_e32 v12, vcc, -4, v12
	v_addc_co_u32_e32 v13, vcc, -1, v13, vcc
	s_cmp_gt_i32 s19, s12
	s_waitcnt vmcnt(0) lgkmcnt(0)
	v_fma_f32 v0, -v1, v14, v0
	s_cbranch_scc1 .LBB9_41
.LBB9_42:                               ;   in Loop: Header=BB9_36 Depth=1
	s_add_i32 s12, s8, -3
	s_mov_b32 s13, s9
	s_lshl_b64 s[20:21], s[12:13], 2
	v_mov_b32_e32 v1, s21
	v_add_co_u32_e32 v12, vcc, s20, v2
	v_addc_co_u32_e32 v13, vcc, v3, v1, vcc
	global_load_dword v1, v[12:13], off
	s_sub_i32 s13, s17, 36
	v_mov_b32_e32 v12, s13
	ds_read_b32 v14, v12
	v_pk_mov_b32 v[12:13], v[6:7], v[6:7] op_sel:[0,1]
	s_mov_b32 s17, s15
	s_cmp_le_i32 s6, s12
	s_mov_b32 s19, s6
	s_waitcnt lgkmcnt(0)
	v_mul_f32_e32 v0, v0, v14
	global_store_dword v[10:11], v0, off offset:-8
	s_waitcnt vmcnt(1)
	v_mul_f32_e32 v0, s16, v1
	s_cbranch_scc1 .LBB9_35
.LBB9_43:                               ;   Parent Loop BB9_36 Depth=1
                                        ; =>  This Inner Loop Header: Depth=2
	global_load_dword v1, v[12:13], off
	v_mov_b32_e32 v14, s17
	ds_read_b32 v14, v14
	s_add_i32 s19, s19, -1
	s_add_i32 s17, s17, -4
	v_add_co_u32_e32 v12, vcc, -4, v12
	v_addc_co_u32_e32 v13, vcc, -1, v13, vcc
	s_cmp_gt_i32 s19, s12
	s_waitcnt vmcnt(0) lgkmcnt(0)
	v_fma_f32 v0, -v1, v14, v0
	s_cbranch_scc1 .LBB9_43
	s_branch .LBB9_35
.LBB9_44:
	s_mov_b64 s[6:7], 0
.LBB9_45:
	s_and_b64 vcc, exec, s[6:7]
	s_cbranch_vccz .LBB9_73
; %bb.46:
	s_cmp_gt_i32 s10, 7
	s_cbranch_scc0 .LBB9_48
; %bb.47:
	global_load_dwordx4 v[6:9], v[2:3], off
	global_load_dwordx4 v[10:13], v[2:3], off offset:16
	v_mov_b32_e32 v46, 0
	ds_read_b128 v[14:17], v46
	ds_read_b128 v[18:21], v46 offset:16
	ds_read2_b32 v[0:1], v46 offset0:9 offset1:10
	ds_read2_b32 v[30:31], v46 offset0:11 offset1:12
	ds_read_b32 v47, v46 offset:60
	ds_read2_b32 v[32:33], v46 offset0:13 offset1:14
	ds_read2_b32 v[34:35], v46 offset0:27 offset1:28
	;; [unrolled: 1-line block ×3, first 2 shown]
	ds_read_b128 v[22:25], v46 offset:144
	ds_read2_b32 v[38:39], v46 offset0:45 offset1:46
	ds_read2_b64 v[26:29], v46 offset0:9 offset1:10
	ds_read_b64 v[40:41], v46 offset:88
	ds_read2_b32 v[42:43], v46 offset0:31 offset1:47
	ds_read_b64 v[44:45], v46 offset:216
	ds_read_b32 v46, v46 offset:252
	s_mov_b32 s6, 8
	s_waitcnt vmcnt(1)
	v_mul_f32_e32 v6, s16, v6
	s_waitcnt lgkmcnt(14)
	v_mul_f32_e32 v6, v6, v14
	v_mul_f32_e32 v14, v6, v15
	v_mul_f32_e32 v15, v6, v16
	v_fma_f32 v7, v7, s16, -v14
	v_mul_f32_e32 v16, v6, v17
	v_fma_f32 v8, v8, s16, -v15
	s_waitcnt lgkmcnt(12)
	v_mul_f32_e32 v7, v7, v0
	v_mul_f32_e32 v17, v6, v18
	v_fma_f32 v9, v9, s16, -v16
	v_fma_f32 v0, -v7, v1, v8
	v_mul_f32_e32 v18, v6, v19
	s_waitcnt vmcnt(0)
	v_fma_f32 v10, v10, s16, -v17
	s_waitcnt lgkmcnt(11)
	v_fma_f32 v1, -v7, v30, v9
	s_waitcnt lgkmcnt(4)
	v_mul_f32_e32 v8, v0, v26
	v_mul_f32_e32 v19, v6, v20
	v_fma_f32 v11, v11, s16, -v18
	v_fma_f32 v9, -v7, v31, v10
	v_fma_f32 v0, -v8, v27, v1
	v_mul_f32_e32 v20, v6, v21
	v_fma_f32 v12, v12, s16, -v19
	v_fma_f32 v10, -v7, v32, v11
	v_fma_f32 v1, -v8, v28, v9
	;; [unrolled: 4-line block ×3, first 2 shown]
	v_fma_f32 v0, -v9, v35, v1
	v_fma_f32 v12, -v7, v47, v13
	s_waitcnt lgkmcnt(3)
	v_fma_f32 v11, -v8, v40, v11
	global_store_dwordx4 v[2:3], v[6:9], off
	v_fma_f32 v1, -v9, v36, v10
	v_mul_f32_e32 v6, v0, v22
	v_fma_f32 v12, -v8, v41, v12
	v_fma_f32 v7, -v9, v37, v11
	v_fma_f32 v0, -v6, v23, v1
	s_waitcnt lgkmcnt(2)
	v_fma_f32 v8, -v9, v42, v12
	v_fma_f32 v1, -v6, v24, v7
	v_mul_f32_e32 v7, v0, v38
	v_fma_f32 v8, -v6, v25, v8
	v_fma_f32 v0, -v7, v39, v1
	;; [unrolled: 1-line block ×3, first 2 shown]
	s_waitcnt lgkmcnt(1)
	v_mul_f32_e32 v8, v0, v44
	v_fma_f32 v0, -v8, v45, v1
	s_waitcnt lgkmcnt(0)
	v_mul_f32_e32 v9, v0, v46
	global_store_dwordx4 v[2:3], v[6:9], off offset:16
	s_cmp_lt_i32 s6, s18
	s_cbranch_scc1 .LBB9_49
	s_branch .LBB9_73
.LBB9_48:
	s_mov_b32 s6, 0
	s_cmp_lt_i32 s6, s18
	s_cbranch_scc0 .LBB9_73
.LBB9_49:
	s_or_b32 s7, s6, 3
	s_cmp_ge_u32 s7, s18
	s_cbranch_scc1 .LBB9_61
; %bb.50:
	s_add_i32 s12, s6, -1
	s_lshl_b32 s13, s6, 2
	s_add_u32 s7, s2, s4
	s_addc_u32 s8, s3, s5
	s_add_u32 s7, s7, s0
	s_addc_u32 s8, s8, s1
	v_mov_b32_e32 v0, s8
	v_add_co_u32_e32 v14, vcc, s7, v4
	v_addc_co_u32_e32 v15, vcc, v0, v5, vcc
	v_add_co_u32_e32 v0, vcc, 28, v14
	s_bitcmp1_b32 s6, 2
	s_mov_b32 s17, s16
	v_addc_co_u32_e32 v1, vcc, 0, v15, vcc
	s_mov_b32 s7, 0
	s_cselect_b64 s[8:9], -1, 0
	s_mov_b32 s14, 0
.LBB9_51:                               ; =>This Loop Header: Depth=1
                                        ;     Child Loop BB9_54 Depth 2
                                        ;     Child Loop BB9_58 Depth 2
	s_lshl_b64 s[10:11], s[6:7], 2
	v_mov_b32_e32 v7, s11
	v_add_co_u32_e32 v6, vcc, s10, v2
	v_addc_co_u32_e32 v7, vcc, v3, v7, vcc
	global_load_dwordx4 v[10:13], v[6:7], off
	s_cmp_eq_u32 s6, 0
	s_waitcnt vmcnt(0)
	v_pk_mul_f32 v[10:11], v[10:11], s[16:17]
	v_pk_mul_f32 v[8:9], v[12:13], s[16:17]
	s_cbranch_scc1 .LBB9_59
; %bb.52:                               ;   in Loop: Header=BB9_51 Depth=1
	s_lshl_b32 s10, s14, 2
	s_add_i32 s10, s12, s10
	s_cmp_lt_u32 s10, 7
	s_cbranch_scc1 .LBB9_56
; %bb.53:                               ;   in Loop: Header=BB9_51 Depth=1
	s_and_b32 s10, s6, -8
	s_mov_b32 s11, 0
	v_pk_mov_b32 v[12:13], v[0:1], v[0:1] op_sel:[0,1]
	s_mov_b32 s15, s13
.LBB9_54:                               ;   Parent Loop BB9_51 Depth=1
                                        ; =>  This Inner Loop Header: Depth=2
	global_load_dwordx4 v[16:19], v[12:13], off offset:-28
	global_load_dwordx4 v[20:23], v[12:13], off offset:-12
	v_mov_b32_e32 v52, s15
	ds_read_b128 v[24:27], v52
	ds_read_b128 v[28:31], v52 offset:32
	ds_read_b128 v[32:35], v52 offset:64
	;; [unrolled: 1-line block ×7, first 2 shown]
	s_add_i32 s11, s11, 8
	s_addk_i32 s15, 0x100
	v_add_co_u32_e32 v12, vcc, 32, v12
	v_addc_co_u32_e32 v13, vcc, 0, v13, vcc
	s_cmp_lg_u32 s10, s11
	s_waitcnt vmcnt(1) lgkmcnt(7)
	v_pk_fma_f32 v[10:11], v[16:17], v[24:25], v[10:11] op_sel_hi:[0,1,1] neg_lo:[1,0,0] neg_hi:[1,0,0]
	v_pk_fma_f32 v[8:9], v[16:17], v[26:27], v[8:9] op_sel_hi:[0,1,1] neg_lo:[1,0,0] neg_hi:[1,0,0]
	s_waitcnt lgkmcnt(6)
	v_pk_fma_f32 v[10:11], v[16:17], v[28:29], v[10:11] op_sel:[1,0,0] neg_lo:[1,0,0] neg_hi:[1,0,0]
	v_pk_fma_f32 v[8:9], v[16:17], v[30:31], v[8:9] op_sel:[1,0,0] neg_lo:[1,0,0] neg_hi:[1,0,0]
	v_mov_b32_e32 v24, v19
	s_waitcnt lgkmcnt(5)
	v_pk_fma_f32 v[10:11], v[18:19], v[32:33], v[10:11] op_sel_hi:[0,1,1] neg_lo:[1,0,0] neg_hi:[1,0,0]
	v_pk_fma_f32 v[8:9], v[18:19], v[34:35], v[8:9] op_sel_hi:[0,1,1] neg_lo:[1,0,0] neg_hi:[1,0,0]
	s_waitcnt lgkmcnt(4)
	v_pk_fma_f32 v[10:11], v[24:25], v[36:37], v[10:11] op_sel_hi:[0,1,1] neg_lo:[1,0,0] neg_hi:[1,0,0]
	v_pk_fma_f32 v[8:9], v[24:25], v[38:39], v[8:9] op_sel_hi:[0,1,1] neg_lo:[1,0,0] neg_hi:[1,0,0]
	s_waitcnt vmcnt(0) lgkmcnt(3)
	v_pk_fma_f32 v[10:11], v[20:21], v[40:41], v[10:11] op_sel_hi:[0,1,1] neg_lo:[1,0,0] neg_hi:[1,0,0]
	v_pk_fma_f32 v[8:9], v[20:21], v[42:43], v[8:9] op_sel_hi:[0,1,1] neg_lo:[1,0,0] neg_hi:[1,0,0]
	s_waitcnt lgkmcnt(2)
	v_pk_fma_f32 v[10:11], v[20:21], v[44:45], v[10:11] op_sel:[1,0,0] neg_lo:[1,0,0] neg_hi:[1,0,0]
	v_pk_fma_f32 v[8:9], v[20:21], v[46:47], v[8:9] op_sel:[1,0,0] neg_lo:[1,0,0] neg_hi:[1,0,0]
	v_mov_b32_e32 v26, v23
	s_waitcnt lgkmcnt(1)
	v_pk_fma_f32 v[10:11], v[22:23], v[48:49], v[10:11] op_sel_hi:[0,1,1] neg_lo:[1,0,0] neg_hi:[1,0,0]
	v_pk_fma_f32 v[8:9], v[22:23], v[50:51], v[8:9] op_sel_hi:[0,1,1] neg_lo:[1,0,0] neg_hi:[1,0,0]
	s_waitcnt lgkmcnt(0)
	v_pk_fma_f32 v[10:11], v[26:27], v[52:53], v[10:11] op_sel_hi:[0,1,1] neg_lo:[1,0,0] neg_hi:[1,0,0]
	v_pk_fma_f32 v[8:9], v[26:27], v[54:55], v[8:9] op_sel_hi:[0,1,1] neg_lo:[1,0,0] neg_hi:[1,0,0]
	s_cbranch_scc1 .LBB9_54
; %bb.55:                               ;   in Loop: Header=BB9_51 Depth=1
	s_bitcmp0_b32 s6, 2
	s_cbranch_scc0 .LBB9_57
	s_branch .LBB9_59
.LBB9_56:                               ;   in Loop: Header=BB9_51 Depth=1
	s_mov_b32 s10, 0
	s_bitcmp0_b32 s6, 2
	s_cbranch_scc1 .LBB9_59
.LBB9_57:                               ;   in Loop: Header=BB9_51 Depth=1
	v_cndmask_b32_e64 v12, 0, 1, s[8:9]
	v_readfirstlane_b32 s11, v12
	s_lshl_b32 s15, s11, 2
	s_mov_b32 s11, s7
	s_lshl_b32 s19, s10, 5
	s_lshl_b64 s[10:11], s[10:11], 2
	v_mov_b32_e32 v13, s11
	v_add_co_u32_e32 v12, vcc, s10, v14
	v_addc_co_u32_e32 v13, vcc, v15, v13, vcc
.LBB9_58:                               ;   Parent Loop BB9_51 Depth=1
                                        ; =>  This Inner Loop Header: Depth=2
	global_load_dword v20, v[12:13], off
	s_add_i32 s10, s13, s19
	v_mov_b32_e32 v16, s10
	ds_read_b128 v[16:19], v16
	s_add_i32 s19, s19, 32
	v_add_co_u32_e32 v12, vcc, 4, v12
	s_add_i32 s15, s15, -1
	v_addc_co_u32_e32 v13, vcc, 0, v13, vcc
	s_cmp_lg_u32 s15, 0
	s_waitcnt vmcnt(0) lgkmcnt(0)
	v_pk_fma_f32 v[10:11], v[20:21], v[16:17], v[10:11] op_sel_hi:[0,1,1] neg_lo:[1,0,0] neg_hi:[1,0,0]
	v_pk_fma_f32 v[8:9], v[20:21], v[18:19], v[8:9] op_sel_hi:[0,1,1] neg_lo:[1,0,0] neg_hi:[1,0,0]
	s_cbranch_scc1 .LBB9_58
.LBB9_59:                               ;   in Loop: Header=BB9_51 Depth=1
	s_mul_i32 s10, s6, 36
	v_mov_b32_e32 v20, s10
	ds_read_b128 v[16:19], v20
	ds_read2_b32 v[12:13], v20 offset0:9 offset1:10
	s_lshl_b32 s10, s6, 3
	s_add_i32 s10, s6, s10
	s_lshl_b32 s10, s10, 2
	s_waitcnt lgkmcnt(1)
	v_mul_f32_e32 v10, v10, v16
	v_fma_f32 v11, -v10, v17, v11
	s_waitcnt lgkmcnt(0)
	v_mul_f32_e32 v11, v11, v12
	v_mov_b32_e32 v12, s10
	ds_read_b32 v12, v12 offset:44
	ds_read_b64 v[16:17], v20 offset:72
	v_fma_f32 v8, -v10, v18, v8
	v_fma_f32 v8, -v11, v13, v8
	ds_read_b32 v13, v20 offset:108
	v_fma_f32 v9, -v10, v19, v9
	s_waitcnt lgkmcnt(2)
	v_fma_f32 v9, -v11, v12, v9
	s_waitcnt lgkmcnt(1)
	v_mul_f32_e32 v12, v8, v16
	v_fma_f32 v8, -v12, v17, v9
	s_add_i32 s10, s6, 4
	s_add_i32 s6, s6, 7
	;; [unrolled: 1-line block ×4, first 2 shown]
	s_not_b64 s[8:9], s[8:9]
	s_waitcnt lgkmcnt(0)
	v_mul_f32_e32 v13, v8, v13
	s_cmp_lt_i32 s6, s18
	global_store_dwordx4 v[6:7], v[10:13], off
	s_cbranch_scc0 .LBB9_62
; %bb.60:                               ;   in Loop: Header=BB9_51 Depth=1
	s_mov_b32 s6, s10
	s_branch .LBB9_51
.LBB9_61:
	s_mov_b32 s10, s6
.LBB9_62:
	s_cmp_ge_i32 s10, s18
	s_cbranch_scc1 .LBB9_73
; %bb.63:
	s_add_i32 s6, s10, -1
	s_lshl_b32 s7, s10, 2
	s_add_u32 s2, s2, s4
	s_addc_u32 s3, s3, s5
	s_add_u32 s0, s2, s0
	s_addc_u32 s1, s3, s1
	v_mov_b32_e32 v0, s1
	v_add_co_u32_e32 v1, vcc, s0, v4
	v_addc_co_u32_e32 v10, vcc, v0, v5, vcc
	v_add_co_u32_e32 v4, vcc, 28, v1
	v_addc_co_u32_e32 v5, vcc, 0, v10, vcc
	s_mov_b32 s1, 0
	s_mov_b32 s3, s10
	;; [unrolled: 1-line block ×3, first 2 shown]
	s_branch .LBB9_65
.LBB9_64:                               ;   in Loop: Header=BB9_65 Depth=1
	s_mul_i32 s0, s10, 36
	v_mov_b32_e32 v8, s0
	ds_read_b32 v8, v8
	s_add_i32 s10, s10, 1
	s_add_i32 s2, s2, 1
	s_add_i32 s7, s7, 4
	v_add_u16_e64 v9, s3, 1
	s_waitcnt lgkmcnt(0)
	v_mul_f32_e32 v0, v0, v8
	s_cmp_ge_i32 s10, s18
	v_readfirstlane_b32 s3, v9
	global_store_dword v[6:7], v0, off
	s_cbranch_scc1 .LBB9_73
.LBB9_65:                               ; =>This Loop Header: Depth=1
                                        ;     Child Loop BB9_68 Depth 2
                                        ;     Child Loop BB9_72 Depth 2
	s_ashr_i32 s11, s10, 31
	s_lshl_b64 s[4:5], s[10:11], 2
	v_mov_b32_e32 v0, s5
	v_add_co_u32_e32 v6, vcc, s4, v2
	v_addc_co_u32_e32 v7, vcc, v3, v0, vcc
	global_load_dword v0, v[6:7], off
	s_cmp_eq_u32 s10, 0
	s_waitcnt vmcnt(0)
	v_mul_f32_e32 v0, s16, v0
	s_cbranch_scc1 .LBB9_64
; %bb.66:                               ;   in Loop: Header=BB9_65 Depth=1
	s_add_i32 s0, s6, s2
	s_cmp_lt_u32 s0, 7
	s_cbranch_scc1 .LBB9_70
; %bb.67:                               ;   in Loop: Header=BB9_65 Depth=1
	s_and_b32 s0, s10, -8
	s_mov_b32 s4, 0
	v_pk_mov_b32 v[8:9], v[4:5], v[4:5] op_sel:[0,1]
	s_mov_b32 s5, s7
.LBB9_68:                               ;   Parent Loop BB9_65 Depth=1
                                        ; =>  This Inner Loop Header: Depth=2
	global_load_dwordx4 v[12:15], v[8:9], off offset:-28
	global_load_dwordx4 v[16:19], v[8:9], off offset:-12
	v_mov_b32_e32 v11, s5
	ds_read2_b32 v[20:21], v11 offset1:8
	ds_read2_b32 v[22:23], v11 offset0:16 offset1:24
	ds_read2_b32 v[24:25], v11 offset0:32 offset1:40
	;; [unrolled: 1-line block ×3, first 2 shown]
	s_add_i32 s4, s4, 8
	s_addk_i32 s5, 0x100
	v_add_co_u32_e32 v8, vcc, 32, v8
	v_addc_co_u32_e32 v9, vcc, 0, v9, vcc
	s_cmp_lg_u32 s0, s4
	s_waitcnt vmcnt(1) lgkmcnt(3)
	v_fma_f32 v0, -v12, v20, v0
	v_fma_f32 v0, -v13, v21, v0
	s_waitcnt lgkmcnt(2)
	v_fma_f32 v0, -v14, v22, v0
	v_fma_f32 v0, -v15, v23, v0
	s_waitcnt vmcnt(0) lgkmcnt(1)
	v_fma_f32 v0, -v16, v24, v0
	v_fma_f32 v0, -v17, v25, v0
	s_waitcnt lgkmcnt(0)
	v_fma_f32 v0, -v18, v26, v0
	v_fma_f32 v0, -v19, v27, v0
	s_cbranch_scc1 .LBB9_68
; %bb.69:                               ;   in Loop: Header=BB9_65 Depth=1
	s_and_b32 s4, s10, 7
	s_cmp_eq_u32 s4, 0
	s_cbranch_scc0 .LBB9_71
	s_branch .LBB9_64
.LBB9_70:                               ;   in Loop: Header=BB9_65 Depth=1
	s_mov_b32 s0, 0
	s_and_b32 s4, s10, 7
	s_cmp_eq_u32 s4, 0
	s_cbranch_scc1 .LBB9_64
.LBB9_71:                               ;   in Loop: Header=BB9_65 Depth=1
	s_lshl_b64 s[8:9], s[0:1], 2
	v_mov_b32_e32 v9, s9
	v_add_co_u32_e32 v8, vcc, s8, v1
	s_and_b32 s4, s3, 7
	s_lshl_b32 s5, s0, 5
	v_addc_co_u32_e32 v9, vcc, v10, v9, vcc
.LBB9_72:                               ;   Parent Loop BB9_65 Depth=1
                                        ; =>  This Inner Loop Header: Depth=2
	global_load_dword v11, v[8:9], off
	s_add_i32 s0, s7, s5
	v_mov_b32_e32 v12, s0
	ds_read_b32 v12, v12
	s_add_i32 s5, s5, 32
	v_add_co_u32_e32 v8, vcc, 4, v8
	s_add_i32 s4, s4, -1
	v_addc_co_u32_e32 v9, vcc, 0, v9, vcc
	s_cmp_lg_u32 s4, 0
	s_waitcnt vmcnt(0) lgkmcnt(0)
	v_fma_f32 v0, -v11, v12, v0
	s_cbranch_scc1 .LBB9_72
	s_branch .LBB9_64
.LBB9_73:
	s_endpgm
	.section	.rodata,"a",@progbits
	.p2align	6, 0x0
	.amdhsa_kernel _ZL30rocblas_trsm_small_left_deviceILi8ELi8ELb1EffPKfPfEv13rocblas_fill_18rocblas_operation_17rocblas_diagonal_iiT3_T4_lilT5_lili
		.amdhsa_group_segment_fixed_size 256
		.amdhsa_private_segment_fixed_size 0
		.amdhsa_kernarg_size 352
		.amdhsa_user_sgpr_count 6
		.amdhsa_user_sgpr_private_segment_buffer 1
		.amdhsa_user_sgpr_dispatch_ptr 0
		.amdhsa_user_sgpr_queue_ptr 0
		.amdhsa_user_sgpr_kernarg_segment_ptr 1
		.amdhsa_user_sgpr_dispatch_id 0
		.amdhsa_user_sgpr_flat_scratch_init 0
		.amdhsa_user_sgpr_kernarg_preload_length 0
		.amdhsa_user_sgpr_kernarg_preload_offset 0
		.amdhsa_user_sgpr_private_segment_size 0
		.amdhsa_uses_dynamic_stack 0
		.amdhsa_system_sgpr_private_segment_wavefront_offset 0
		.amdhsa_system_sgpr_workgroup_id_x 1
		.amdhsa_system_sgpr_workgroup_id_y 0
		.amdhsa_system_sgpr_workgroup_id_z 1
		.amdhsa_system_sgpr_workgroup_info 0
		.amdhsa_system_vgpr_workitem_id 0
		.amdhsa_next_free_vgpr 56
		.amdhsa_next_free_sgpr 43
		.amdhsa_accum_offset 56
		.amdhsa_reserve_vcc 1
		.amdhsa_reserve_flat_scratch 0
		.amdhsa_float_round_mode_32 0
		.amdhsa_float_round_mode_16_64 0
		.amdhsa_float_denorm_mode_32 3
		.amdhsa_float_denorm_mode_16_64 3
		.amdhsa_dx10_clamp 1
		.amdhsa_ieee_mode 1
		.amdhsa_fp16_overflow 0
		.amdhsa_tg_split 0
		.amdhsa_exception_fp_ieee_invalid_op 0
		.amdhsa_exception_fp_denorm_src 0
		.amdhsa_exception_fp_ieee_div_zero 0
		.amdhsa_exception_fp_ieee_overflow 0
		.amdhsa_exception_fp_ieee_underflow 0
		.amdhsa_exception_fp_ieee_inexact 0
		.amdhsa_exception_int_div_zero 0
	.end_amdhsa_kernel
	.section	.text._ZL30rocblas_trsm_small_left_deviceILi8ELi8ELb1EffPKfPfEv13rocblas_fill_18rocblas_operation_17rocblas_diagonal_iiT3_T4_lilT5_lili,"axG",@progbits,_ZL30rocblas_trsm_small_left_deviceILi8ELi8ELb1EffPKfPfEv13rocblas_fill_18rocblas_operation_17rocblas_diagonal_iiT3_T4_lilT5_lili,comdat
.Lfunc_end9:
	.size	_ZL30rocblas_trsm_small_left_deviceILi8ELi8ELb1EffPKfPfEv13rocblas_fill_18rocblas_operation_17rocblas_diagonal_iiT3_T4_lilT5_lili, .Lfunc_end9-_ZL30rocblas_trsm_small_left_deviceILi8ELi8ELb1EffPKfPfEv13rocblas_fill_18rocblas_operation_17rocblas_diagonal_iiT3_T4_lilT5_lili
                                        ; -- End function
	.section	.AMDGPU.csdata,"",@progbits
; Kernel info:
; codeLenInByte = 5588
; NumSgprs: 47
; NumVgprs: 56
; NumAgprs: 0
; TotalNumVgprs: 56
; ScratchSize: 0
; MemoryBound: 0
; FloatMode: 240
; IeeeMode: 1
; LDSByteSize: 256 bytes/workgroup (compile time only)
; SGPRBlocks: 5
; VGPRBlocks: 6
; NumSGPRsForWavesPerEU: 47
; NumVGPRsForWavesPerEU: 56
; AccumOffset: 56
; Occupancy: 8
; WaveLimiterHint : 0
; COMPUTE_PGM_RSRC2:SCRATCH_EN: 0
; COMPUTE_PGM_RSRC2:USER_SGPR: 6
; COMPUTE_PGM_RSRC2:TRAP_HANDLER: 0
; COMPUTE_PGM_RSRC2:TGID_X_EN: 1
; COMPUTE_PGM_RSRC2:TGID_Y_EN: 0
; COMPUTE_PGM_RSRC2:TGID_Z_EN: 1
; COMPUTE_PGM_RSRC2:TIDIG_COMP_CNT: 0
; COMPUTE_PGM_RSRC3_GFX90A:ACCUM_OFFSET: 13
; COMPUTE_PGM_RSRC3_GFX90A:TG_SPLIT: 0
	.section	.text._ZL31rocblas_trsm_small_right_deviceIffPKfPfLi8EEv13rocblas_fill_18rocblas_operation_17rocblas_diagonal_iiT0_T1_lilT2_lili,"axG",@progbits,_ZL31rocblas_trsm_small_right_deviceIffPKfPfLi8EEv13rocblas_fill_18rocblas_operation_17rocblas_diagonal_iiT0_T1_lilT2_lili,comdat
	.globl	_ZL31rocblas_trsm_small_right_deviceIffPKfPfLi8EEv13rocblas_fill_18rocblas_operation_17rocblas_diagonal_iiT0_T1_lilT2_lili ; -- Begin function _ZL31rocblas_trsm_small_right_deviceIffPKfPfLi8EEv13rocblas_fill_18rocblas_operation_17rocblas_diagonal_iiT0_T1_lilT2_lili
	.p2align	8
	.type	_ZL31rocblas_trsm_small_right_deviceIffPKfPfLi8EEv13rocblas_fill_18rocblas_operation_17rocblas_diagonal_iiT0_T1_lilT2_lili,@function
_ZL31rocblas_trsm_small_right_deviceIffPKfPfLi8EEv13rocblas_fill_18rocblas_operation_17rocblas_diagonal_iiT0_T1_lilT2_lili: ; @_ZL31rocblas_trsm_small_right_deviceIffPKfPfLi8EEv13rocblas_fill_18rocblas_operation_17rocblas_diagonal_iiT0_T1_lilT2_lili
; %bb.0:
	s_load_dwordx4 s[12:15], s[4:5], 0x0
	s_load_dwordx2 s[20:21], s[4:5], 0x10
	s_load_dwordx4 s[8:11], s[4:5], 0x30
	s_load_dwordx2 s[2:3], s[4:5], 0x40
	s_mov_b32 s0, s7
	s_mov_b32 s28, 0
	s_waitcnt lgkmcnt(0)
	s_min_i32 s1, s20, 8
	v_cmp_gt_i32_e32 vcc, s1, v0
	s_and_saveexec_b64 s[22:23], vcc
	s_cbranch_execz .LBB10_14
; %bb.1:
	s_load_dword s24, s[4:5], 0x28
	s_load_dwordx4 s[16:19], s[4:5], 0x18
	s_cmp_gt_u32 s1, 1
	s_cselect_b64 s[26:27], -1, 0
	s_mov_b32 s7, 1
	s_waitcnt lgkmcnt(0)
	s_cmp_eq_u32 s24, 1
	s_cselect_b64 s[30:31], -1, 0
	s_and_b64 s[30:31], s[26:27], s[30:31]
	s_mov_b64 s[26:27], -1
	s_and_b64 vcc, exec, s[30:31]
	s_cbranch_vccz .LBB10_9
; %bb.2:
	s_add_i32 s26, s1, -2
	s_lshr_b32 s27, s26, 1
	s_add_i32 s27, s27, 1
	s_mov_b32 s25, 0
	s_cmp_lt_u32 s26, 14
	s_mov_b32 s26, s25
	s_cbranch_scc1 .LBB10_5
; %bb.3:
	s_mul_i32 s7, s9, s0
	s_mul_hi_u32 s25, s8, s0
	s_add_i32 s31, s25, s7
	s_mul_i32 s30, s8, s0
	s_and_b32 s28, s27, -8
	s_lshl_b64 s[30:31], s[30:31], 2
	s_lshl_b64 s[34:35], s[18:19], 2
	s_add_u32 s7, s30, s34
	s_addc_u32 s25, s31, s35
	s_add_u32 s7, s16, s7
	v_lshlrev_b32_e32 v1, 2, v0
	s_addc_u32 s25, s17, s25
	v_mov_b32_e32 v2, s25
	v_add_co_u32_e32 v1, vcc, s7, v1
	v_addc_co_u32_e32 v3, vcc, 0, v2, vcc
	v_add_co_u32_e32 v2, vcc, 56, v1
	v_addc_co_u32_e32 v3, vcc, 0, v3, vcc
	s_mov_b32 s7, 1
	s_mov_b32 s26, 0
	;; [unrolled: 1-line block ×3, first 2 shown]
.LBB10_4:                               ; =>This Inner Loop Header: Depth=1
	global_load_dwordx4 v[4:7], v[2:3], off offset:-56
	global_load_dwordx4 v[8:11], v[2:3], off offset:-40
	;; [unrolled: 1-line block ×4, first 2 shown]
	s_lshl_b32 s29, s25, 3
	s_lshl_b32 s30, s7, 3
	s_add_i32 s26, s26, 16
	s_add_i32 s7, s7, 16
	;; [unrolled: 1-line block ×3, first 2 shown]
	s_add_i32 s28, s28, -8
	v_add_co_u32_e32 v2, vcc, 64, v2
	v_or_b32_e32 v1, s30, v0
	v_or_b32_e32 v20, s29, v0
	s_add_i32 s31, s29, 16
	s_add_i32 s33, s30, 16
	;; [unrolled: 1-line block ×12, first 2 shown]
	s_addk_i32 s29, 0x70
	s_addk_i32 s30, 0x70
	v_addc_co_u32_e32 v3, vcc, 0, v3, vcc
	v_lshlrev_b32_e32 v20, 2, v20
	v_or_b32_e32 v21, s33, v0
	v_or_b32_e32 v22, s31, v0
	;; [unrolled: 1-line block ×14, first 2 shown]
	s_cmp_lg_u32 s28, 0
	v_lshlrev_b32_e32 v1, 2, v1
	v_lshlrev_b32_e32 v22, 2, v22
	;; [unrolled: 1-line block ×15, first 2 shown]
	s_waitcnt vmcnt(3)
	ds_write_b32 v20, v4
	ds_write_b32 v1, v5
	ds_write_b32 v22, v6
	ds_write_b32 v21, v7
	s_waitcnt vmcnt(2)
	ds_write_b32 v24, v8
	ds_write_b32 v23, v9
	ds_write_b32 v26, v10
	ds_write_b32 v25, v11
	;; [unrolled: 5-line block ×4, first 2 shown]
	s_cbranch_scc1 .LBB10_4
.LBB10_5:
	s_and_b32 s28, s27, 7
	s_cmp_eq_u32 s28, 0
	s_mov_b32 s27, 0
	s_cbranch_scc1 .LBB10_8
; %bb.6:
	s_mul_i32 s29, s9, s0
	s_mul_hi_u32 s30, s8, s0
	s_add_i32 s31, s30, s29
	s_mul_i32 s30, s8, s0
	s_lshl_b64 s[30:31], s[30:31], 2
	s_lshl_b64 s[34:35], s[18:19], 2
	s_add_u32 s29, s30, s34
	s_addc_u32 s30, s31, s35
	s_lshl_b64 s[26:27], s[26:27], 2
	s_add_u32 s26, s16, s26
	s_addc_u32 s27, s17, s27
	s_add_u32 s26, s26, s29
	v_lshlrev_b32_e32 v1, 2, v0
	s_addc_u32 s27, s27, s30
	v_mov_b32_e32 v3, s27
	v_add_co_u32_e32 v2, vcc, s26, v1
	v_addc_co_u32_e32 v3, vcc, 0, v3, vcc
	s_lshl_b32 s26, s28, 3
.LBB10_7:                               ; =>This Inner Loop Header: Depth=1
	global_load_dwordx2 v[4:5], v[2:3], off
	v_lshl_or_b32 v6, s25, 5, v1
	v_lshl_or_b32 v7, s7, 5, v1
	s_add_i32 s7, s7, 2
	s_add_i32 s25, s25, 2
	v_add_co_u32_e32 v2, vcc, 8, v2
	s_add_i32 s26, s26, -8
	v_addc_co_u32_e32 v3, vcc, 0, v3, vcc
	s_cmp_lg_u32 s26, 0
	s_waitcnt vmcnt(0)
	ds_write_b32 v6, v4
	ds_write_b32 v7, v5
	s_cbranch_scc1 .LBB10_7
.LBB10_8:
	s_and_b32 s28, s1, -2
	s_cmp_lg_u32 s1, s28
	s_cselect_b64 s[26:27], -1, 0
.LBB10_9:
	s_and_b64 vcc, exec, s[26:27]
	s_cbranch_vccz .LBB10_12
; %bb.10:
	s_ashr_i32 s25, s24, 31
	s_mul_i32 s7, s9, s0
	s_mul_hi_u32 s9, s8, s0
	s_add_i32 s9, s9, s7
	s_mul_hi_u32 s7, s24, s28
	s_mul_i32 s26, s25, s28
	s_mul_i32 s8, s8, s0
	s_add_i32 s27, s7, s26
	s_mul_i32 s26, s24, s28
	s_lshl_b64 s[8:9], s[8:9], 2
	s_lshl_b64 s[26:27], s[26:27], 2
	s_add_u32 s7, s8, s26
	s_addc_u32 s26, s9, s27
	s_lshl_b64 s[8:9], s[18:19], 2
	s_add_u32 s7, s7, s8
	s_addc_u32 s8, s26, s9
	s_add_u32 s7, s16, s7
	v_lshlrev_b32_e32 v1, 2, v0
	s_addc_u32 s8, s17, s8
	v_mov_b32_e32 v3, s8
	v_add_co_u32_e32 v2, vcc, s7, v1
	s_lshl_b64 s[8:9], s[24:25], 2
	v_addc_co_u32_e32 v3, vcc, 0, v3, vcc
	v_lshl_or_b32 v1, s28, 5, v1
	s_sub_i32 s7, s1, s28
	v_mov_b32_e32 v4, s9
.LBB10_11:                              ; =>This Inner Loop Header: Depth=1
	global_load_dword v5, v[2:3], off
	v_add_co_u32_e32 v2, vcc, s8, v2
	s_add_i32 s7, s7, -1
	v_addc_co_u32_e32 v3, vcc, v3, v4, vcc
	s_cmp_eq_u32 s7, 0
	s_waitcnt vmcnt(0)
	ds_write_b32 v1, v5
	v_add_u32_e32 v1, 32, v1
	s_cbranch_scc0 .LBB10_11
.LBB10_12:
	s_cmpk_eq_i32 s14, 0x84
	s_cbranch_scc0 .LBB10_14
; %bb.13:
	v_mul_u32_u24_e32 v1, 9, v0
	v_lshlrev_b32_e32 v1, 2, v1
	v_mov_b32_e32 v2, 1.0
	ds_write_b32 v1, v2
.LBB10_14:
	s_or_b64 exec, exec, s[22:23]
	s_load_dword s7, s[4:5], 0x60
	s_load_dword s8, s[4:5], 0x48
	s_load_dwordx2 s[16:17], s[4:5], 0x50
	s_lshl_b32 s4, s6, 3
	s_sub_i32 s4, s15, s4
	s_waitcnt lgkmcnt(0)
	s_add_i32 s7, s7, -1
	s_cmp_ge_u32 s6, s7
	s_cselect_b32 s9, s4, 8
	s_ashr_i32 s7, s6, 31
	s_lshl_b64 s[4:5], s[6:7], 5
	s_cmp_gt_i32 s20, 0
	v_cmp_gt_i32_e32 vcc, s9, v0
	s_cselect_b64 s[6:7], -1, 0
	s_mov_b32 s23, 0
	s_and_b64 s[6:7], vcc, s[6:7]
	s_and_saveexec_b64 s[14:15], s[6:7]
	s_cbranch_execz .LBB10_26
; %bb.15:
	s_cmp_lt_u32 s20, 2
	s_cselect_b64 s[24:25], -1, 0
	s_cmp_lg_u32 s8, 1
	s_cselect_b64 s[26:27], -1, 0
	s_or_b64 s[24:25], s[24:25], s[26:27]
	s_mov_b32 s9, 1
	s_mov_b64 s[18:19], -1
	s_and_b64 vcc, exec, s[24:25]
	s_cbranch_vccnz .LBB10_23
; %bb.16:
	s_add_i32 s22, s20, -2
	s_lshr_b32 s23, s22, 1
	s_add_i32 s23, s23, 1
	s_mov_b32 s24, 0
	s_mov_b32 s18, s21
	;; [unrolled: 1-line block ×3, first 2 shown]
	s_cmp_lt_u32 s22, 14
	s_mov_b32 s22, s24
	s_cbranch_scc1 .LBB10_19
; %bb.17:
	s_mul_i32 s9, s17, s0
	s_mul_hi_u32 s22, s16, s0
	s_add_i32 s27, s22, s9
	s_mul_i32 s26, s16, s0
	s_and_b32 s25, s23, -8
	s_lshl_b64 s[26:27], s[26:27], 2
	s_add_u32 s9, s26, s4
	s_addc_u32 s22, s27, s5
	s_lshl_b64 s[26:27], s[2:3], 2
	s_add_u32 s9, s9, s26
	s_addc_u32 s22, s22, s27
	s_add_u32 s9, s10, s9
	v_lshlrev_b32_e32 v1, 2, v0
	s_addc_u32 s22, s11, s22
	v_mov_b32_e32 v2, s22
	v_add_co_u32_e32 v1, vcc, s9, v1
	v_addc_co_u32_e32 v3, vcc, 0, v2, vcc
	v_add_co_u32_e32 v2, vcc, 56, v1
	v_addc_co_u32_e32 v3, vcc, 0, v3, vcc
	s_mov_b32 s9, 1
	s_mov_b32 s22, 0
.LBB10_18:                              ; =>This Inner Loop Header: Depth=1
	global_load_dwordx4 v[4:7], v[2:3], off offset:-56
	global_load_dwordx4 v[8:11], v[2:3], off offset:-40
	;; [unrolled: 1-line block ×4, first 2 shown]
	s_lshl_b32 s26, s24, 3
	s_lshl_b32 s27, s9, 3
	s_add_i32 s22, s22, 16
	s_add_i32 s9, s9, 16
	;; [unrolled: 1-line block ×3, first 2 shown]
	s_add_i32 s25, s25, -8
	v_add_co_u32_e32 v2, vcc, 64, v2
	v_or_b32_e32 v1, s27, v0
	v_or_b32_e32 v20, s26, v0
	s_add_i32 s28, s26, 16
	s_add_i32 s29, s27, 16
	;; [unrolled: 1-line block ×12, first 2 shown]
	s_addk_i32 s26, 0x70
	s_addk_i32 s27, 0x70
	v_addc_co_u32_e32 v3, vcc, 0, v3, vcc
	v_lshlrev_b32_e32 v20, 2, v20
	v_or_b32_e32 v21, s29, v0
	v_or_b32_e32 v22, s28, v0
	v_or_b32_e32 v23, s31, v0
	v_or_b32_e32 v24, s30, v0
	v_or_b32_e32 v25, s34, v0
	v_or_b32_e32 v26, s33, v0
	v_or_b32_e32 v27, s36, v0
	v_or_b32_e32 v28, s35, v0
	v_or_b32_e32 v29, s38, v0
	v_or_b32_e32 v30, s37, v0
	v_or_b32_e32 v31, s40, v0
	v_or_b32_e32 v32, s39, v0
	v_or_b32_e32 v33, s27, v0
	v_or_b32_e32 v34, s26, v0
	s_cmp_lg_u32 s25, 0
	v_lshlrev_b32_e32 v1, 2, v1
	v_lshlrev_b32_e32 v22, 2, v22
	;; [unrolled: 1-line block ×15, first 2 shown]
	s_waitcnt vmcnt(3)
	v_pk_mul_f32 v[4:5], v[4:5], s[18:19]
	v_pk_mul_f32 v[6:7], v[6:7], s[18:19]
	s_waitcnt vmcnt(2)
	v_pk_mul_f32 v[8:9], v[8:9], s[18:19]
	v_pk_mul_f32 v[10:11], v[10:11], s[18:19]
	;; [unrolled: 3-line block ×4, first 2 shown]
	ds_write_b32 v20, v4 offset:256
	ds_write_b32 v1, v5 offset:256
	;; [unrolled: 1-line block ×16, first 2 shown]
	s_cbranch_scc1 .LBB10_18
.LBB10_19:
	s_and_b32 s25, s23, 7
	s_cmp_eq_u32 s25, 0
	s_mov_b32 s23, 0
	s_cbranch_scc1 .LBB10_22
; %bb.20:
	s_mul_i32 s26, s17, s0
	s_mul_hi_u32 s27, s16, s0
	s_add_i32 s27, s27, s26
	s_mul_i32 s26, s16, s0
	s_lshl_b64 s[26:27], s[26:27], 2
	s_add_u32 s28, s26, s4
	s_addc_u32 s29, s27, s5
	s_lshl_b64 s[26:27], s[2:3], 2
	s_add_u32 s26, s28, s26
	s_addc_u32 s27, s29, s27
	;; [unrolled: 3-line block ×3, first 2 shown]
	s_add_u32 s22, s22, s26
	v_lshlrev_b32_e32 v1, 2, v0
	s_addc_u32 s23, s23, s27
	v_mov_b32_e32 v3, s23
	v_add_co_u32_e32 v2, vcc, s22, v1
	v_addc_co_u32_e32 v3, vcc, 0, v3, vcc
.LBB10_21:                              ; =>This Inner Loop Header: Depth=1
	global_load_dwordx2 v[4:5], v[2:3], off
	v_lshl_or_b32 v6, s24, 5, v1
	v_lshl_or_b32 v7, s9, 5, v1
	s_add_i32 s9, s9, 2
	s_add_i32 s24, s24, 2
	v_add_co_u32_e32 v2, vcc, 8, v2
	s_add_i32 s25, s25, -1
	v_addc_co_u32_e32 v3, vcc, 0, v3, vcc
	s_cmp_lg_u32 s25, 0
	s_waitcnt vmcnt(0)
	v_pk_mul_f32 v[4:5], v[4:5], s[18:19]
	ds_write_b32 v6, v4 offset:256
	ds_write_b32 v7, v5 offset:256
	s_cbranch_scc1 .LBB10_21
.LBB10_22:
	s_and_b32 s23, s20, 0x7ffffffe
	s_cmp_lg_u32 s23, s20
	s_cselect_b64 s[18:19], -1, 0
.LBB10_23:
	s_and_b64 vcc, exec, s[18:19]
	s_cbranch_vccz .LBB10_26
; %bb.24:
	s_mul_i32 s18, s17, s0
	s_mul_hi_u32 s19, s16, s0
	s_add_i32 s19, s19, s18
	s_mul_i32 s18, s16, s0
	s_mul_hi_i32 s25, s8, s23
	s_mul_i32 s24, s8, s23
	s_ashr_i32 s9, s8, 31
	s_sub_i32 s22, s20, s23
	s_lshl_b64 s[18:19], s[18:19], 2
	s_lshl_b64 s[24:25], s[24:25], 2
	s_add_u32 s18, s18, s24
	v_lshlrev_b32_e32 v2, 2, v0
	s_addc_u32 s19, s19, s25
	v_lshl_or_b32 v1, s23, 5, v2
	s_add_u32 s23, s18, s4
	s_addc_u32 s24, s19, s5
	s_lshl_b64 s[18:19], s[2:3], 2
	s_add_u32 s18, s23, s18
	s_addc_u32 s19, s24, s19
	s_add_u32 s18, s10, s18
	s_addc_u32 s19, s11, s19
	v_mov_b32_e32 v3, s19
	v_add_co_u32_e32 v2, vcc, s18, v2
	s_lshl_b64 s[18:19], s[8:9], 2
	v_add_u32_e32 v1, 0x100, v1
	v_addc_co_u32_e32 v3, vcc, 0, v3, vcc
	v_mov_b32_e32 v4, s19
.LBB10_25:                              ; =>This Inner Loop Header: Depth=1
	global_load_dword v5, v[2:3], off
	s_add_i32 s22, s22, -1
	v_add_co_u32_e32 v2, vcc, s18, v2
	v_addc_co_u32_e32 v3, vcc, v3, v4, vcc
	s_cmp_lg_u32 s22, 0
	s_waitcnt vmcnt(0)
	v_mul_f32_e32 v5, s21, v5
	ds_write_b32 v1, v5
	v_add_u32_e32 v1, 32, v1
	s_cbranch_scc1 .LBB10_25
.LBB10_26:
	s_or_b64 exec, exec, s[14:15]
	s_cmpk_eq_i32 s13, 0x6f
	s_cselect_b64 s[18:19], -1, 0
	s_cmpk_eq_i32 s12, 0x79
	s_cselect_b64 s[22:23], -1, 0
	s_cmpk_lg_i32 s12, 0x79
	s_cselect_b64 s[14:15], -1, 0
	s_and_b64 s[22:23], s[22:23], s[18:19]
	s_andn2_b64 vcc, exec, s[22:23]
	s_mov_b64 s[22:23], -1
	s_waitcnt lgkmcnt(0)
	; wave barrier
	s_waitcnt lgkmcnt(0)
	s_cbranch_vccz .LBB10_96
; %bb.27:
	s_cmpk_lg_i32 s12, 0x7a
	s_cselect_b64 s[12:13], -1, 0
	s_xor_b64 s[18:19], s[18:19], -1
	s_add_i32 s9, s1, -1
	s_or_b64 s[18:19], s[12:13], s[18:19]
	s_cmp_gt_i32 s20, 3
	s_cselect_b64 s[12:13], -1, 0
	s_and_b64 vcc, exec, s[18:19]
	s_cbranch_vccz .LBB10_75
; %bb.28:
	s_andn2_b64 vcc, exec, s[14:15]
	s_mov_b64 s[14:15], -1
	s_cbranch_vccnz .LBB10_48
; %bb.29:
	s_andn2_b64 vcc, exec, s[12:13]
	s_mov_b32 s18, 0
	s_cbranch_vccnz .LBB10_36
; %bb.30:
	v_mov_b32_e32 v1, 0x100
	v_lshl_or_b32 v1, v0, 2, v1
	s_mov_b32 s14, 0
	s_mov_b32 s15, 0
.LBB10_31:                              ; =>This Loop Header: Depth=1
                                        ;     Child Loop BB10_33 Depth 2
	s_lshl_b32 s18, s15, 3
	s_lshl_b32 s19, s15, 5
	v_or_b32_e32 v2, s18, v0
	s_or_b32 s18, s18, 8
	v_lshlrev_b32_e32 v6, 2, v2
	v_or_b32_e32 v2, s18, v0
	v_lshl_or_b32 v10, v0, 2, s19
	v_lshlrev_b32_e32 v8, 2, v2
	ds_read_b32 v4, v6 offset:256
	ds_read_b32 v5, v8 offset:256
	ds_read2_b32 v[2:3], v10 offset0:80 offset1:88
	s_cmp_eq_u32 s15, 0
	s_cbranch_scc1 .LBB10_34
; %bb.32:                               ;   in Loop: Header=BB10_31 Depth=1
	s_mov_b32 s19, 0
	v_mov_b32_e32 v7, v1
	s_mov_b32 s21, s14
.LBB10_33:                              ;   Parent Loop BB10_31 Depth=1
                                        ; =>  This Inner Loop Header: Depth=2
	v_mov_b32_e32 v9, s21
	ds_read_b32 v16, v7
	ds_read_b128 v[12:15], v9
	s_add_i32 s19, s19, 1
	s_add_i32 s21, s21, 32
	v_add_u32_e32 v7, 32, v7
	s_cmp_ge_u32 s19, s15
	s_waitcnt lgkmcnt(0)
	v_pk_fma_f32 v[4:5], v[16:17], v[12:13], v[4:5] op_sel_hi:[0,1,1] neg_lo:[1,0,0] neg_hi:[1,0,0]
	v_pk_fma_f32 v[2:3], v[16:17], v[14:15], v[2:3] op_sel_hi:[0,1,1] neg_lo:[1,0,0] neg_hi:[1,0,0]
	s_cbranch_scc0 .LBB10_33
.LBB10_34:                              ;   in Loop: Header=BB10_31 Depth=1
	s_mul_i32 s19, s15, 36
	v_mov_b32_e32 v16, s19
	v_add_u32_e32 v7, 0x100, v6
	v_add_u32_e32 v9, 0x140, v10
	;; [unrolled: 1-line block ×3, first 2 shown]
	ds_read_b128 v[10:13], v16
	ds_read2_b32 v[14:15], v16 offset0:9 offset1:10
	s_add_i32 s21, s18, s15
	v_add_u32_e32 v8, 0x100, v8
	s_add_i32 s14, s14, 16
	s_waitcnt lgkmcnt(1)
	v_div_scale_f32 v17, s[22:23], v10, v10, v4
	v_rcp_f32_e32 v18, v17
	v_div_scale_f32 v19, vcc, v4, v10, v4
	v_fma_f32 v20, -v17, v18, 1.0
	v_fmac_f32_e32 v18, v20, v18
	v_mul_f32_e32 v20, v19, v18
	v_fma_f32 v21, -v17, v20, v19
	v_fmac_f32_e32 v20, v21, v18
	v_fma_f32 v17, -v17, v20, v19
	v_div_fmas_f32 v17, v17, v18, v20
	v_div_fixup_f32 v10, v17, v10, v4
	v_fma_f32 v4, -v10, v11, v5
	s_waitcnt lgkmcnt(0)
	v_div_scale_f32 v5, s[22:23], v14, v14, v4
	v_rcp_f32_e32 v11, v5
	v_fma_f32 v2, -v10, v12, v2
	v_div_scale_f32 v12, vcc, v4, v14, v4
	v_fma_f32 v17, -v5, v11, 1.0
	v_fmac_f32_e32 v11, v17, v11
	v_mul_f32_e32 v17, v12, v11
	v_fma_f32 v18, -v5, v17, v12
	v_fmac_f32_e32 v17, v18, v11
	v_fma_f32 v5, -v5, v17, v12
	v_div_fmas_f32 v5, v5, v11, v17
	v_div_fixup_f32 v11, v5, v14, v4
	ds_read_b64 v[4:5], v16 offset:72
	ds_read_b32 v12, v16 offset:108
	v_fma_f32 v2, -v11, v15, v2
	v_fma_f32 v3, -v10, v13, v3
	s_waitcnt lgkmcnt(1)
	v_div_scale_f32 v14, s[18:19], v4, v4, v2
	v_rcp_f32_e32 v15, v14
	s_lshl_b32 s18, s21, 2
	v_mov_b32_e32 v16, s18
	ds_read_b32 v16, v16 offset:12
	v_fma_f32 v17, -v14, v15, 1.0
	v_fmac_f32_e32 v15, v17, v15
	v_div_scale_f32 v17, vcc, v2, v4, v2
	v_mul_f32_e32 v18, v17, v15
	v_fma_f32 v19, -v14, v18, v17
	v_fmac_f32_e32 v18, v19, v15
	v_fma_f32 v14, -v14, v18, v17
	v_div_fmas_f32 v14, v14, v15, v18
	v_div_fixup_f32 v2, v14, v4, v2
	s_waitcnt lgkmcnt(0)
	v_fma_f32 v3, -v11, v16, v3
	v_fma_f32 v3, -v2, v5, v3
	v_div_scale_f32 v4, s[18:19], v12, v12, v3
	v_rcp_f32_e32 v5, v4
	ds_write_b32 v7, v10
	ds_write_b32 v8, v11
	;; [unrolled: 1-line block ×3, first 2 shown]
	s_add_i32 s18, s15, 4
	s_add_i32 s15, s15, 7
	v_fma_f32 v2, -v4, v5, 1.0
	v_fmac_f32_e32 v5, v2, v5
	v_div_scale_f32 v2, vcc, v3, v12, v3
	v_mul_f32_e32 v7, v2, v5
	v_fma_f32 v8, -v4, v7, v2
	v_fmac_f32_e32 v7, v8, v5
	v_fma_f32 v2, -v4, v7, v2
	v_div_fmas_f32 v2, v2, v5, v7
	v_div_fixup_f32 v2, v2, v12, v3
	s_cmp_ge_i32 s15, s1
	ds_write_b32 v6, v2
	s_cbranch_scc1 .LBB10_36
; %bb.35:                               ;   in Loop: Header=BB10_31 Depth=1
	s_mov_b32 s15, s18
	s_branch .LBB10_31
.LBB10_36:
	s_cmp_ge_i32 s18, s1
	s_cbranch_scc1 .LBB10_47
; %bb.37:
	v_mov_b32_e32 v1, 0x100
	s_add_i32 s14, s18, -1
	v_lshl_or_b32 v1, v0, 2, v1
	s_lshl_b32 s15, s18, 2
	s_mov_b32 s19, 0
	v_lshlrev_b32_e32 v2, 2, v0
	s_mov_b32 s21, s18
	s_branch .LBB10_39
.LBB10_38:                              ;   in Loop: Header=BB10_39 Depth=1
	s_mul_i32 s22, s18, 36
	v_mov_b32_e32 v5, s22
	ds_read_b32 v5, v5
	v_add_u32_e32 v4, 0x100, v4
	s_add_i32 s18, s18, 1
	s_add_i32 s19, s19, 1
	;; [unrolled: 1-line block ×3, first 2 shown]
	s_waitcnt lgkmcnt(0)
	v_div_scale_f32 v6, s[22:23], v5, v5, v3
	v_rcp_f32_e32 v7, v6
	v_div_scale_f32 v8, vcc, v3, v5, v3
	s_cmp_ge_i32 s18, s1
	v_fma_f32 v9, -v6, v7, 1.0
	v_fmac_f32_e32 v7, v9, v7
	v_mul_f32_e32 v9, v8, v7
	v_fma_f32 v10, -v6, v9, v8
	v_fmac_f32_e32 v9, v10, v7
	v_fma_f32 v6, -v6, v9, v8
	v_div_fmas_f32 v6, v6, v7, v9
	v_div_fixup_f32 v3, v6, v5, v3
	ds_write_b32 v4, v3
	v_add_u16_e64 v3, s21, 1
	v_readfirstlane_b32 s21, v3
	s_cbranch_scc1 .LBB10_47
.LBB10_39:                              ; =>This Loop Header: Depth=1
                                        ;     Child Loop BB10_42 Depth 2
                                        ;     Child Loop BB10_46 Depth 2
	v_lshl_or_b32 v4, s18, 5, v2
	ds_read_b32 v3, v4 offset:256
	s_cmp_eq_u32 s18, 0
	s_cbranch_scc1 .LBB10_38
; %bb.40:                               ;   in Loop: Header=BB10_39 Depth=1
	s_add_i32 s22, s14, s19
	s_cmp_lt_u32 s22, 7
	s_cbranch_scc1 .LBB10_44
; %bb.41:                               ;   in Loop: Header=BB10_39 Depth=1
	s_and_b32 s22, s18, -8
	s_mov_b32 s23, 0
	s_mov_b32 s24, s15
	v_mov_b32_e32 v5, v1
.LBB10_42:                              ;   Parent Loop BB10_39 Depth=1
                                        ; =>  This Inner Loop Header: Depth=2
	ds_read2_b32 v[6:7], v5 offset1:8
	v_mov_b32_e32 v20, s24
	ds_read2_b32 v[8:9], v5 offset0:16 offset1:24
	ds_read2_b32 v[10:11], v5 offset0:32 offset1:40
	ds_read2_b32 v[12:13], v5 offset0:48 offset1:56
	ds_read2_b32 v[14:15], v20 offset1:8
	ds_read2_b32 v[16:17], v20 offset0:16 offset1:24
	ds_read2_b32 v[18:19], v20 offset0:32 offset1:40
	;; [unrolled: 1-line block ×3, first 2 shown]
	s_add_i32 s23, s23, 8
	s_waitcnt lgkmcnt(3)
	v_fma_f32 v3, -v6, v14, v3
	v_fma_f32 v3, -v7, v15, v3
	s_waitcnt lgkmcnt(2)
	v_fma_f32 v3, -v8, v16, v3
	v_fma_f32 v3, -v9, v17, v3
	;; [unrolled: 3-line block ×3, first 2 shown]
	s_addk_i32 s24, 0x100
	s_waitcnt lgkmcnt(0)
	v_fma_f32 v3, -v12, v20, v3
	v_add_u32_e32 v5, 0x100, v5
	s_cmp_eq_u32 s22, s23
	v_fma_f32 v3, -v13, v21, v3
	s_cbranch_scc0 .LBB10_42
; %bb.43:                               ;   in Loop: Header=BB10_39 Depth=1
	s_and_b32 s23, s18, 7
	s_cmp_eq_u32 s23, 0
	s_cbranch_scc0 .LBB10_45
	s_branch .LBB10_38
.LBB10_44:                              ;   in Loop: Header=BB10_39 Depth=1
	s_mov_b32 s22, 0
	s_and_b32 s23, s18, 7
	s_cmp_eq_u32 s23, 0
	s_cbranch_scc1 .LBB10_38
.LBB10_45:                              ;   in Loop: Header=BB10_39 Depth=1
	s_and_b32 s23, s21, 7
	s_lshl_b32 s22, s22, 5
.LBB10_46:                              ;   Parent Loop BB10_39 Depth=1
                                        ; =>  This Inner Loop Header: Depth=2
	s_add_i32 s24, s15, s22
	v_add_u32_e32 v5, s22, v1
	v_mov_b32_e32 v6, s24
	ds_read_b32 v5, v5
	ds_read_b32 v6, v6
	s_add_i32 s22, s22, 32
	s_add_i32 s23, s23, -1
	s_cmp_lg_u32 s23, 0
	s_waitcnt lgkmcnt(0)
	v_fma_f32 v3, -v5, v6, v3
	s_cbranch_scc1 .LBB10_46
	s_branch .LBB10_38
.LBB10_47:
	s_mov_b64 s[14:15], 0
.LBB10_48:
	s_and_b64 vcc, exec, s[14:15]
	s_cbranch_vccz .LBB10_74
; %bb.49:
	s_andn2_b64 vcc, exec, s[12:13]
	s_mov_b32 s23, s9
	s_cbranch_vccnz .LBB10_61
; %bb.50:
	s_mul_i32 s14, s1, 36
	v_lshlrev_b32_e32 v1, 2, v0
	s_sub_i32 s18, s14, 48
	v_lshl_or_b32 v2, s1, 5, v1
	s_lshl_b32 s14, s1, 2
	v_add_u32_e32 v6, 0xe0, v2
	v_or_b32_e32 v7, 32, v1
	s_add_i32 s19, s14, 0xffffff10
	s_mov_b32 s21, 0
	s_mov_b64 s[14:15], 0
	s_mov_b32 s22, s9
.LBB10_51:                              ; =>This Loop Header: Depth=1
                                        ;     Child Loop BB10_54 Depth 2
                                        ;     Child Loop BB10_58 Depth 2
	s_lshl_b32 s25, s22, 3
	s_add_i32 s27, s22, -1
	v_or_b32_e32 v2, s25, v0
	s_lshl_b32 s26, s27, 3
	v_lshlrev_b32_e32 v8, 2, v2
	v_or_b32_e32 v2, s26, v0
	s_add_i32 s23, s25, -16
	v_lshlrev_b32_e32 v9, 2, v2
	v_or_b32_e32 v2, s23, v0
	s_add_i32 s24, s22, -3
	v_lshlrev_b32_e32 v10, 2, v2
	v_lshl_or_b32 v11, s24, 5, v1
	ds_read_b32 v5, v8 offset:256
	ds_read_b32 v4, v9 offset:256
	;; [unrolled: 1-line block ×4, first 2 shown]
	s_cmp_le_i32 s9, s22
	s_cbranch_scc1 .LBB10_59
; %bb.52:                               ;   in Loop: Header=BB10_51 Depth=1
	s_lshl_b32 s29, s21, 2
	s_bitcmp0_b32 s29, 2
	s_cbranch_scc1 .LBB10_56
; %bb.53:                               ;   in Loop: Header=BB10_51 Depth=1
	v_cndmask_b32_e64 v12, 0, 1, s[14:15]
	v_readfirstlane_b32 s28, v12
	s_lshl_b32 s30, s28, 2
	v_mov_b32_e32 v12, v6
	s_mov_b32 s31, s18
	s_mov_b32 s28, s9
.LBB10_54:                              ;   Parent Loop BB10_51 Depth=1
                                        ; =>  This Inner Loop Header: Depth=2
	v_mov_b32_e32 v13, s31
	ds_read_b32 v14, v12
	ds_read2_b32 v[16:17], v13 offset0:2 offset1:3
	ds_read2_b32 v[18:19], v13 offset1:1
	s_add_i32 s28, s28, -1
	s_sub_i32 s31, s31, 32
	s_add_i32 s30, s30, -1
	v_subrev_u32_e32 v12, 32, v12
	s_cmp_lg_u32 s30, 0
	s_waitcnt lgkmcnt(1)
	v_pk_fma_f32 v[4:5], v[14:15], v[16:17], v[4:5] op_sel_hi:[0,1,1] neg_lo:[1,0,0] neg_hi:[1,0,0]
	s_waitcnt lgkmcnt(0)
	v_pk_fma_f32 v[2:3], v[14:15], v[18:19], v[2:3] op_sel_hi:[0,1,1] neg_lo:[1,0,0] neg_hi:[1,0,0]
	s_cbranch_scc1 .LBB10_54
; %bb.55:                               ;   in Loop: Header=BB10_51 Depth=1
	s_add_i32 s29, s29, -1
	s_cmp_lt_u32 s29, 7
	s_cbranch_scc0 .LBB10_57
	s_branch .LBB10_59
.LBB10_56:                              ;   in Loop: Header=BB10_51 Depth=1
	s_mov_b32 s28, s9
	s_add_i32 s29, s29, -1
	s_cmp_lt_u32 s29, 7
	s_cbranch_scc1 .LBB10_59
.LBB10_57:                              ;   in Loop: Header=BB10_51 Depth=1
	s_lshl_b32 s29, s28, 5
	v_add_u32_e32 v12, s29, v7
	s_add_i32 s29, s19, s29
.LBB10_58:                              ;   Parent Loop BB10_51 Depth=1
                                        ; =>  This Inner Loop Header: Depth=2
	ds_read2_b32 v[14:15], v12 offset0:48 offset1:56
	ds_read2_b32 v[16:17], v12 offset0:32 offset1:40
	ds_read2_b32 v[18:19], v12 offset0:16 offset1:24
	ds_read2_b32 v[20:21], v12 offset1:8
	v_mov_b32_e32 v13, s29
	ds_read2_b32 v[22:23], v13 offset0:58 offset1:59
	ds_read2_b32 v[24:25], v13 offset0:56 offset1:57
	;; [unrolled: 1-line block ×15, first 2 shown]
	ds_read2_b32 v[52:53], v13 offset1:1
	s_waitcnt lgkmcnt(14)
	v_mov_b32_e32 v56, v17
	v_mov_b32_e32 v54, v15
	v_pk_fma_f32 v[4:5], v[54:55], v[22:23], v[4:5] op_sel_hi:[0,1,1] neg_lo:[1,0,0] neg_hi:[1,0,0]
	v_pk_fma_f32 v[2:3], v[54:55], v[24:25], v[2:3] op_sel_hi:[0,1,1] neg_lo:[1,0,0] neg_hi:[1,0,0]
	s_waitcnt lgkmcnt(13)
	v_pk_fma_f32 v[4:5], v[14:15], v[26:27], v[4:5] op_sel_hi:[0,1,1] neg_lo:[1,0,0] neg_hi:[1,0,0]
	s_waitcnt lgkmcnt(12)
	;; [unrolled: 2-line block ×4, first 2 shown]
	v_pk_fma_f32 v[2:3], v[56:57], v[32:33], v[2:3] op_sel_hi:[0,1,1] neg_lo:[1,0,0] neg_hi:[1,0,0]
	v_mov_b32_e32 v58, v19
	s_waitcnt lgkmcnt(9)
	v_pk_fma_f32 v[4:5], v[16:17], v[34:35], v[4:5] op_sel_hi:[0,1,1] neg_lo:[1,0,0] neg_hi:[1,0,0]
	s_waitcnt lgkmcnt(8)
	v_pk_fma_f32 v[2:3], v[16:17], v[36:37], v[2:3] op_sel_hi:[0,1,1] neg_lo:[1,0,0] neg_hi:[1,0,0]
	;; [unrolled: 2-line block ×4, first 2 shown]
	v_mov_b32_e32 v60, v21
	s_waitcnt lgkmcnt(5)
	v_pk_fma_f32 v[4:5], v[18:19], v[42:43], v[4:5] op_sel_hi:[0,1,1] neg_lo:[1,0,0] neg_hi:[1,0,0]
	s_waitcnt lgkmcnt(4)
	v_pk_fma_f32 v[2:3], v[18:19], v[44:45], v[2:3] op_sel_hi:[0,1,1] neg_lo:[1,0,0] neg_hi:[1,0,0]
	s_add_i32 s28, s28, -8
	s_addk_i32 s29, 0xff00
	s_waitcnt lgkmcnt(3)
	v_pk_fma_f32 v[4:5], v[60:61], v[46:47], v[4:5] op_sel_hi:[0,1,1] neg_lo:[1,0,0] neg_hi:[1,0,0]
	s_waitcnt lgkmcnt(2)
	v_pk_fma_f32 v[2:3], v[60:61], v[48:49], v[2:3] op_sel_hi:[0,1,1] neg_lo:[1,0,0] neg_hi:[1,0,0]
	v_add_u32_e32 v12, 0xffffff00, v12
	s_cmp_le_i32 s28, s22
	s_waitcnt lgkmcnt(1)
	v_pk_fma_f32 v[4:5], v[20:21], v[50:51], v[4:5] op_sel_hi:[0,1,1] neg_lo:[1,0,0] neg_hi:[1,0,0]
	s_waitcnt lgkmcnt(0)
	v_pk_fma_f32 v[2:3], v[20:21], v[52:53], v[2:3] op_sel_hi:[0,1,1] neg_lo:[1,0,0] neg_hi:[1,0,0]
	s_cbranch_scc0 .LBB10_58
.LBB10_59:                              ;   in Loop: Header=BB10_51 Depth=1
	s_add_i32 s27, s25, s27
	s_add_i32 s25, s25, s24
	s_lshl_b32 s25, s25, 2
	s_add_i32 s26, s26, s24
	s_mul_i32 s28, s22, 36
	s_lshl_b32 s27, s27, 2
	v_mov_b32_e32 v16, s25
	s_lshl_b32 s25, s26, 2
	v_add_u32_e32 v12, 0x100, v8
	v_add_u32_e32 v8, 0x100, v11
	v_mov_b32_e32 v11, s27
	s_sub_i32 s27, s28, 36
	v_mov_b32_e32 v18, s25
	v_mov_b32_e32 v13, s27
	ds_read2_b32 v[14:15], v11 offset1:1
	ds_read_b32 v11, v13
	ds_read2_b32 v[16:17], v16 offset1:1
	ds_read2_b32 v[18:19], v18 offset1:1
	s_add_i32 s23, s23, s24
	s_waitcnt lgkmcnt(3)
	v_div_scale_f32 v13, s[26:27], v15, v15, v5
	v_rcp_f32_e32 v20, v13
	s_lshl_b32 s23, s23, 2
	v_add_u32_e32 v9, 0x100, v9
	v_add_u32_e32 v10, 0x100, v10
	v_fma_f32 v21, -v13, v20, 1.0
	v_fmac_f32_e32 v20, v21, v20
	v_div_scale_f32 v21, vcc, v5, v15, v5
	v_mul_f32_e32 v22, v21, v20
	v_fma_f32 v23, -v13, v22, v21
	v_fmac_f32_e32 v22, v23, v20
	v_fma_f32 v13, -v13, v22, v21
	v_div_fmas_f32 v13, v13, v20, v22
	v_div_fixup_f32 v13, v13, v15, v5
	v_fma_f32 v4, -v13, v14, v4
	s_waitcnt lgkmcnt(2)
	v_div_scale_f32 v5, s[26:27], v11, v11, v4
	v_rcp_f32_e32 v14, v5
	s_waitcnt lgkmcnt(1)
	v_fma_f32 v3, -v13, v17, v3
	v_fma_f32 v2, -v13, v16, v2
	s_add_i32 s21, s21, 1
	v_fma_f32 v15, -v5, v14, 1.0
	v_fmac_f32_e32 v14, v15, v14
	v_div_scale_f32 v15, vcc, v4, v11, v4
	v_mul_f32_e32 v20, v15, v14
	v_fma_f32 v21, -v5, v20, v15
	v_fmac_f32_e32 v20, v21, v14
	v_fma_f32 v5, -v5, v20, v15
	v_div_fmas_f32 v5, v5, v14, v20
	v_div_fixup_f32 v11, v5, v11, v4
	v_mov_b32_e32 v4, s23
	ds_read2_b32 v[4:5], v4 offset1:1
	s_add_i32 s23, s28, 0xffffff94
	s_waitcnt lgkmcnt(1)
	v_fma_f32 v3, -v11, v19, v3
	v_mov_b32_e32 v14, s23
	ds_read_b32 v14, v14
	s_waitcnt lgkmcnt(1)
	v_div_scale_f32 v15, s[24:25], v5, v5, v3
	v_rcp_f32_e32 v17, v15
	v_fma_f32 v2, -v11, v18, v2
	s_add_i32 s23, s22, -4
	s_add_i32 s18, s18, -16
	v_fma_f32 v19, -v15, v17, 1.0
	v_fmac_f32_e32 v17, v19, v17
	v_div_scale_f32 v19, vcc, v3, v5, v3
	v_mul_f32_e32 v20, v19, v17
	v_fma_f32 v21, -v15, v20, v19
	v_fmac_f32_e32 v20, v21, v17
	v_fma_f32 v15, -v15, v20, v19
	v_div_fmas_f32 v15, v15, v17, v20
	v_div_fixup_f32 v3, v15, v5, v3
	v_fma_f32 v2, -v3, v4, v2
	s_waitcnt lgkmcnt(0)
	v_div_scale_f32 v4, s[24:25], v14, v14, v2
	v_rcp_f32_e32 v5, v4
	ds_write_b32 v12, v13
	ds_write_b32 v9, v11
	ds_write_b32 v10, v3
	s_not_b64 s[14:15], s[14:15]
	s_add_i32 s19, s19, -16
	v_fma_f32 v3, -v4, v5, 1.0
	v_fmac_f32_e32 v5, v3, v5
	v_div_scale_f32 v3, vcc, v2, v14, v2
	v_mul_f32_e32 v9, v3, v5
	v_fma_f32 v10, -v4, v9, v3
	v_fmac_f32_e32 v9, v10, v5
	v_fma_f32 v3, -v4, v9, v3
	v_div_fmas_f32 v3, v3, v5, v9
	v_div_fixup_f32 v2, v3, v14, v2
	s_cmp_lt_i32 s22, 7
	ds_write_b32 v8, v2
	s_cbranch_scc1 .LBB10_61
; %bb.60:                               ;   in Loop: Header=BB10_51 Depth=1
	s_mov_b32 s22, s23
	s_branch .LBB10_51
.LBB10_61:
	s_cmp_lt_i32 s23, 0
	s_cbranch_scc1 .LBB10_74
; %bb.62:
	s_bitcmp1_b32 s23, 0
	s_cselect_b64 s[14:15], -1, 0
	s_and_b64 vcc, exec, s[14:15]
	s_mov_b32 s14, s23
	s_cbranch_vccnz .LBB10_67
; %bb.63:
	v_lshlrev_b32_e32 v1, 2, v0
	v_lshl_or_b32 v2, s23, 5, v1
	ds_read_b32 v1, v2 offset:256
	s_cmp_le_i32 s9, s23
	s_cbranch_scc1 .LBB10_66
; %bb.64:
	s_lshl_b32 s15, s1, 5
	s_lshl_b32 s14, s23, 2
	s_add_i32 s14, s15, s14
	v_lshl_or_b32 v3, v0, 2, s15
	s_sub_i32 s14, s14, 32
	v_add_u32_e32 v3, 0xe0, v3
	s_mov_b32 s15, s9
.LBB10_65:                              ; =>This Inner Loop Header: Depth=1
	v_mov_b32_e32 v5, s14
	ds_read_b32 v4, v3
	ds_read_b32 v5, v5
	s_add_i32 s15, s15, -1
	s_sub_i32 s14, s14, 32
	v_subrev_u32_e32 v3, 32, v3
	s_cmp_gt_i32 s15, s23
	s_waitcnt lgkmcnt(0)
	v_fma_f32 v1, -v4, v5, v1
	s_cbranch_scc1 .LBB10_65
.LBB10_66:
	s_mul_i32 s14, s23, 36
	v_mov_b32_e32 v3, s14
	ds_read_b32 v3, v3
	v_add_u32_e32 v2, 0x100, v2
	s_waitcnt lgkmcnt(0)
	v_div_scale_f32 v4, s[14:15], v3, v3, v1
	v_rcp_f32_e32 v5, v4
	v_div_scale_f32 v6, vcc, v1, v3, v1
	s_add_i32 s14, s23, -1
	v_fma_f32 v7, -v4, v5, 1.0
	v_fmac_f32_e32 v5, v7, v5
	v_mul_f32_e32 v7, v6, v5
	v_fma_f32 v8, -v4, v7, v6
	v_fmac_f32_e32 v7, v8, v5
	v_fma_f32 v4, -v4, v7, v6
	v_div_fmas_f32 v4, v4, v5, v7
	v_div_fixup_f32 v1, v4, v3, v1
	ds_write_b32 v2, v1
.LBB10_67:
	s_cmp_eq_u32 s23, 0
	s_cbranch_scc1 .LBB10_74
; %bb.68:
	s_lshl_b32 s15, s1, 5
	s_lshl_b32 s18, s14, 2
	v_lshl_or_b32 v1, v0, 2, s15
	s_add_i32 s18, s15, s18
	v_add_u32_e32 v1, 0xe0, v1
	s_sub_i32 s15, s18, 32
	s_sub_i32 s18, s18, 36
	v_lshlrev_b32_e32 v2, 2, v0
	s_branch .LBB10_70
.LBB10_69:                              ;   in Loop: Header=BB10_70 Depth=1
	s_sub_i32 s19, s19, 36
	v_add_u32_e32 v4, 0x100, v5
	v_mov_b32_e32 v5, s19
	ds_read_b32 v5, v5
	s_add_i32 s19, s14, -2
	s_add_i32 s15, s15, -8
	;; [unrolled: 1-line block ×3, first 2 shown]
	s_cmp_lt_i32 s14, 2
	s_waitcnt lgkmcnt(0)
	v_div_scale_f32 v6, s[22:23], v5, v5, v3
	v_rcp_f32_e32 v7, v6
	v_div_scale_f32 v8, vcc, v3, v5, v3
	s_mov_b32 s14, s19
	v_fma_f32 v9, -v6, v7, 1.0
	v_fmac_f32_e32 v7, v9, v7
	v_mul_f32_e32 v9, v8, v7
	v_fma_f32 v10, -v6, v9, v8
	v_fmac_f32_e32 v9, v10, v7
	v_fma_f32 v6, -v6, v9, v8
	v_div_fmas_f32 v6, v6, v7, v9
	v_div_fixup_f32 v3, v6, v5, v3
	ds_write_b32 v4, v3
	s_cbranch_scc1 .LBB10_74
.LBB10_70:                              ; =>This Loop Header: Depth=1
                                        ;     Child Loop BB10_71 Depth 2
                                        ;     Child Loop BB10_73 Depth 2
	v_lshl_or_b32 v3, s14, 5, v2
	ds_read_b32 v4, v3 offset:256
	s_cmp_le_i32 s9, s14
	s_mov_b32 s19, s15
	v_mov_b32_e32 v5, v1
	s_mov_b32 s21, s9
	s_cbranch_scc1 .LBB10_72
.LBB10_71:                              ;   Parent Loop BB10_70 Depth=1
                                        ; =>  This Inner Loop Header: Depth=2
	v_mov_b32_e32 v7, s19
	ds_read_b32 v6, v5
	ds_read_b32 v7, v7
	s_add_i32 s21, s21, -1
	s_sub_i32 s19, s19, 32
	v_subrev_u32_e32 v5, 32, v5
	s_cmp_le_i32 s21, s14
	s_waitcnt lgkmcnt(0)
	v_fma_f32 v4, -v6, v7, v4
	s_cbranch_scc0 .LBB10_71
.LBB10_72:                              ;   in Loop: Header=BB10_70 Depth=1
	s_mul_i32 s19, s14, 36
	v_add_u32_e32 v6, 0x100, v3
	v_mov_b32_e32 v3, s19
	ds_read_b32 v7, v3
	s_lshl_b32 s21, s14, 5
	s_sub_i32 s21, s21, 32
	v_lshl_or_b32 v5, v0, 2, s21
	ds_read_b32 v3, v5 offset:256
	s_waitcnt lgkmcnt(1)
	v_div_scale_f32 v8, s[22:23], v7, v7, v4
	v_rcp_f32_e32 v9, v8
	v_div_scale_f32 v10, vcc, v4, v7, v4
	s_cmp_le_i32 s1, s14
	v_fma_f32 v11, -v8, v9, 1.0
	v_fmac_f32_e32 v9, v11, v9
	v_mul_f32_e32 v11, v10, v9
	v_fma_f32 v12, -v8, v11, v10
	v_fmac_f32_e32 v11, v12, v9
	v_fma_f32 v8, -v8, v11, v10
	v_div_fmas_f32 v8, v8, v9, v11
	v_div_fixup_f32 v4, v8, v7, v4
	ds_write_b32 v6, v4
	v_mov_b32_e32 v4, v1
	s_mov_b32 s21, s18
	s_mov_b32 s22, s1
	s_cbranch_scc1 .LBB10_69
.LBB10_73:                              ;   Parent Loop BB10_70 Depth=1
                                        ; =>  This Inner Loop Header: Depth=2
	v_mov_b32_e32 v7, s21
	ds_read_b32 v6, v4
	ds_read_b32 v7, v7
	s_add_i32 s22, s22, -1
	s_sub_i32 s21, s21, 32
	v_subrev_u32_e32 v4, 32, v4
	s_cmp_gt_i32 s22, s14
	s_waitcnt lgkmcnt(0)
	v_fma_f32 v3, -v6, v7, v3
	s_cbranch_scc1 .LBB10_73
	s_branch .LBB10_69
.LBB10_74:
	s_mov_b64 s[22:23], 0
.LBB10_75:
	s_andn2_b64 vcc, exec, s[22:23]
	s_cbranch_vccnz .LBB10_95
; %bb.76:
	s_andn2_b64 vcc, exec, s[12:13]
	s_mov_b32 s14, s9
	s_cbranch_vccnz .LBB10_82
; %bb.77:
	v_lshlrev_b32_e32 v1, 2, v0
	s_mul_i32 s12, s1, 36
	v_lshl_or_b32 v2, s1, 5, v1
	s_addk_i32 s12, 0xff70
	v_add_u32_e32 v2, 0x80, v2
	s_mov_b32 s13, s9
.LBB10_78:                              ; =>This Loop Header: Depth=1
                                        ;     Child Loop BB10_79 Depth 2
	s_lshl_b32 s15, s13, 3
	v_or_b32_e32 v3, s15, v0
	s_add_i32 s18, s15, -16
	v_lshlrev_b32_e32 v7, 2, v3
	v_or_b32_e32 v3, s18, v0
	s_sub_i32 s15, s15, 24
	s_add_i32 s14, s13, -1
	v_lshlrev_b32_e32 v10, 2, v3
	v_or_b32_e32 v3, s15, v0
	v_lshl_or_b32 v9, s14, 5, v1
	v_lshlrev_b32_e32 v11, 2, v3
	ds_read_b32 v6, v7 offset:256
	ds_read_b32 v5, v9 offset:256
	;; [unrolled: 1-line block ×4, first 2 shown]
	s_cmp_le_i32 s9, s13
	v_mov_b32_e32 v8, v2
	s_mov_b32 s19, s12
	s_mov_b32 s21, s9
	s_cbranch_scc1 .LBB10_80
.LBB10_79:                              ;   Parent Loop BB10_78 Depth=1
                                        ; =>  This Inner Loop Header: Depth=2
	ds_read2_b32 v[12:13], v8 offset0:16 offset1:24
	v_mov_b32_e32 v30, s19
	ds_read2_b32 v[14:15], v8 offset1:8
	ds_read2_b32 v[16:17], v30 offset0:26 offset1:27
	ds_read2_b32 v[18:19], v30 offset0:24 offset1:25
	;; [unrolled: 1-line block ×7, first 2 shown]
	ds_read2_b32 v[30:31], v30 offset1:1
	s_add_i32 s21, s21, -4
	s_waitcnt lgkmcnt(7)
	v_fma_f32 v6, -v13, v17, v6
	s_waitcnt lgkmcnt(5)
	v_fma_f32 v5, -v13, v21, v5
	;; [unrolled: 2-line block ×4, first 2 shown]
	v_fma_f32 v6, -v12, v16, v6
	v_fma_f32 v5, -v12, v20, v5
	;; [unrolled: 1-line block ×4, first 2 shown]
	s_add_i32 s19, s19, -16
	v_fma_f32 v6, -v15, v19, v6
	v_fma_f32 v5, -v15, v23, v5
	;; [unrolled: 1-line block ×3, first 2 shown]
	s_waitcnt lgkmcnt(0)
	v_fma_f32 v3, -v15, v31, v3
	v_add_u32_e32 v8, 0xffffff80, v8
	s_cmp_le_i32 s21, s13
	v_fma_f32 v6, -v14, v18, v6
	v_fma_f32 v5, -v14, v22, v5
	;; [unrolled: 1-line block ×4, first 2 shown]
	s_cbranch_scc0 .LBB10_79
.LBB10_80:                              ;   in Loop: Header=BB10_78 Depth=1
	s_add_i32 s18, s18, s13
	s_mul_i32 s21, s13, 36
	s_lshl_b32 s18, s18, 2
	s_sub_i32 s19, s21, 36
	v_mov_b32_e32 v14, s18
	s_add_i32 s18, s21, 0xffffffb8
	v_add_u32_e32 v8, 0x100, v7
	v_add_u32_e32 v7, 0x100, v11
	v_mov_b32_e32 v11, s21
	v_mov_b32_e32 v12, s19
	;; [unrolled: 1-line block ×3, first 2 shown]
	ds_read_b32 v11, v11
	ds_read2_b32 v[12:13], v12 offset1:1
	ds_read_b32 v16, v14
	ds_read2_b32 v[14:15], v15 offset1:1
	s_add_i32 s15, s15, s14
	s_waitcnt lgkmcnt(3)
	v_div_scale_f32 v17, s[18:19], v11, v11, v6
	v_rcp_f32_e32 v18, v17
	s_lshl_b32 s14, s15, 2
	v_add_u32_e32 v9, 0x100, v9
	v_add_u32_e32 v10, 0x100, v10
	v_fma_f32 v19, -v17, v18, 1.0
	v_fmac_f32_e32 v18, v19, v18
	v_div_scale_f32 v19, vcc, v6, v11, v6
	v_mul_f32_e32 v20, v19, v18
	v_fma_f32 v21, -v17, v20, v19
	v_fmac_f32_e32 v20, v21, v18
	v_fma_f32 v17, -v17, v20, v19
	v_div_fmas_f32 v17, v17, v18, v20
	v_div_fixup_f32 v6, v17, v11, v6
	s_waitcnt lgkmcnt(2)
	v_fma_f32 v5, -v6, v13, v5
	v_div_scale_f32 v11, s[18:19], v12, v12, v5
	v_rcp_f32_e32 v13, v11
	s_waitcnt lgkmcnt(1)
	v_fma_f32 v4, -v6, v16, v4
	s_addk_i32 s12, 0xff80
	v_fma_f32 v17, -v11, v13, 1.0
	v_fmac_f32_e32 v13, v17, v13
	v_div_scale_f32 v17, vcc, v5, v12, v5
	v_mul_f32_e32 v18, v17, v13
	v_fma_f32 v19, -v11, v18, v17
	v_fmac_f32_e32 v18, v19, v13
	v_fma_f32 v11, -v11, v18, v17
	v_div_fmas_f32 v11, v11, v13, v18
	v_div_fixup_f32 v11, v11, v12, v5
	s_waitcnt lgkmcnt(0)
	v_fma_f32 v15, -v11, v15, v4
	v_div_scale_f32 v4, s[18:19], v14, v14, v15
	v_rcp_f32_e32 v16, v4
	v_fma_f32 v5, -v4, v16, 1.0
	v_fmac_f32_e32 v16, v5, v16
	v_div_scale_f32 v5, vcc, v15, v14, v15
	v_mul_f32_e32 v17, v5, v16
	v_fma_f32 v12, -v4, v17, v5
	v_fmac_f32_e32 v17, v12, v16
	v_fma_f32 v18, -v4, v17, v5
	v_mov_b32_e32 v4, s14
	s_add_i32 s14, s21, 0xffffff94
	v_mov_b32_e32 v12, s14
	ds_read2_b32 v[4:5], v4 offset1:1
	ds_read2_b32 v[12:13], v12 offset1:1
	v_div_fmas_f32 v16, v18, v16, v17
	v_div_fixup_f32 v14, v16, v14, v15
	ds_write_b32 v8, v6
	ds_write_b32 v9, v11
	;; [unrolled: 1-line block ×3, first 2 shown]
	s_waitcnt lgkmcnt(4)
	v_fma_f32 v3, -v6, v5, v3
	v_fma_f32 v3, -v11, v4, v3
	s_waitcnt lgkmcnt(3)
	v_fma_f32 v3, -v14, v13, v3
	v_div_scale_f32 v4, s[14:15], v12, v12, v3
	v_rcp_f32_e32 v5, v4
	s_add_i32 s14, s13, -4
	s_cmp_lt_i32 s13, 7
	v_fma_f32 v6, -v4, v5, 1.0
	v_fmac_f32_e32 v5, v6, v5
	v_div_scale_f32 v6, vcc, v3, v12, v3
	v_mul_f32_e32 v8, v6, v5
	v_fma_f32 v9, -v4, v8, v6
	v_fmac_f32_e32 v8, v9, v5
	v_fma_f32 v4, -v4, v8, v6
	v_div_fmas_f32 v4, v4, v5, v8
	v_div_fixup_f32 v3, v4, v12, v3
	ds_write_b32 v7, v3
	s_cbranch_scc1 .LBB10_82
; %bb.81:                               ;   in Loop: Header=BB10_78 Depth=1
	s_mov_b32 s13, s14
	s_branch .LBB10_78
.LBB10_82:
	s_cmp_lt_i32 s14, 0
	s_cbranch_scc1 .LBB10_95
; %bb.83:
	s_bitcmp1_b32 s14, 0
	s_cselect_b64 s[12:13], -1, 0
	s_and_b64 vcc, exec, s[12:13]
	s_mov_b32 s12, s14
	s_cbranch_vccnz .LBB10_88
; %bb.84:
	v_lshlrev_b32_e32 v3, 2, v0
	v_lshl_or_b32 v2, s14, 5, v3
	ds_read_b32 v1, v2 offset:256
	s_cmp_le_i32 s9, s14
	s_cbranch_scc1 .LBB10_87
; %bb.85:
	s_lshl_b32 s12, s14, 5
	s_lshl_b32 s13, s1, 2
	s_add_i32 s12, s12, s13
	v_lshl_or_b32 v3, s1, 5, v3
	s_add_i32 s12, s12, -4
	v_add_u32_e32 v3, 0xe0, v3
	s_mov_b32 s13, s9
.LBB10_86:                              ; =>This Inner Loop Header: Depth=1
	v_mov_b32_e32 v5, s12
	ds_read_b32 v4, v3
	ds_read_b32 v5, v5
	s_add_i32 s13, s13, -1
	s_add_i32 s12, s12, -4
	v_subrev_u32_e32 v3, 32, v3
	s_cmp_gt_i32 s13, s14
	s_waitcnt lgkmcnt(0)
	v_fma_f32 v1, -v4, v5, v1
	s_cbranch_scc1 .LBB10_86
.LBB10_87:
	s_mul_i32 s12, s14, 36
	v_mov_b32_e32 v3, s12
	ds_read_b32 v3, v3
	v_add_u32_e32 v2, 0x100, v2
	s_waitcnt lgkmcnt(0)
	v_div_scale_f32 v4, s[12:13], v3, v3, v1
	v_rcp_f32_e32 v5, v4
	v_div_scale_f32 v6, vcc, v1, v3, v1
	s_add_i32 s12, s14, -1
	v_fma_f32 v7, -v4, v5, 1.0
	v_fmac_f32_e32 v5, v7, v5
	v_mul_f32_e32 v7, v6, v5
	v_fma_f32 v8, -v4, v7, v6
	v_fmac_f32_e32 v7, v8, v5
	v_fma_f32 v4, -v4, v7, v6
	v_div_fmas_f32 v4, v4, v5, v7
	v_div_fixup_f32 v1, v4, v3, v1
	ds_write_b32 v2, v1
.LBB10_88:
	s_cmp_eq_u32 s14, 0
	s_cbranch_scc1 .LBB10_95
; %bb.89:
	v_lshlrev_b32_e32 v1, 2, v0
	s_lshl_b32 s13, s12, 5
	s_lshl_b32 s14, s1, 2
	v_lshl_or_b32 v2, s1, 5, v1
	s_add_i32 s14, s13, s14
	v_add_u32_e32 v2, 0xe0, v2
	s_add_i32 s13, s14, -4
	s_sub_i32 s14, s14, 36
	s_branch .LBB10_91
.LBB10_90:                              ;   in Loop: Header=BB10_91 Depth=1
	s_sub_i32 s15, s15, 36
	v_add_u32_e32 v4, 0x100, v5
	v_mov_b32_e32 v5, s15
	ds_read_b32 v5, v5
	s_add_i32 s15, s12, -2
	s_sub_i32 s13, s13, 64
	s_sub_i32 s14, s14, 64
	s_cmp_lt_i32 s12, 2
	s_waitcnt lgkmcnt(0)
	v_div_scale_f32 v6, s[18:19], v5, v5, v3
	v_rcp_f32_e32 v7, v6
	v_div_scale_f32 v8, vcc, v3, v5, v3
	s_mov_b32 s12, s15
	v_fma_f32 v9, -v6, v7, 1.0
	v_fmac_f32_e32 v7, v9, v7
	v_mul_f32_e32 v9, v8, v7
	v_fma_f32 v10, -v6, v9, v8
	v_fmac_f32_e32 v9, v10, v7
	v_fma_f32 v6, -v6, v9, v8
	v_div_fmas_f32 v6, v6, v7, v9
	v_div_fixup_f32 v3, v6, v5, v3
	ds_write_b32 v4, v3
	s_cbranch_scc1 .LBB10_95
.LBB10_91:                              ; =>This Loop Header: Depth=1
                                        ;     Child Loop BB10_92 Depth 2
                                        ;     Child Loop BB10_94 Depth 2
	v_lshl_or_b32 v3, s12, 5, v1
	ds_read_b32 v4, v3 offset:256
	s_cmp_le_i32 s9, s12
	s_mov_b32 s15, s13
	v_mov_b32_e32 v5, v2
	s_mov_b32 s18, s9
	s_cbranch_scc1 .LBB10_93
.LBB10_92:                              ;   Parent Loop BB10_91 Depth=1
                                        ; =>  This Inner Loop Header: Depth=2
	v_mov_b32_e32 v7, s15
	ds_read_b32 v6, v5
	ds_read_b32 v7, v7
	s_add_i32 s18, s18, -1
	s_add_i32 s15, s15, -4
	v_subrev_u32_e32 v5, 32, v5
	s_cmp_le_i32 s18, s12
	s_waitcnt lgkmcnt(0)
	v_fma_f32 v4, -v6, v7, v4
	s_cbranch_scc0 .LBB10_92
.LBB10_93:                              ;   in Loop: Header=BB10_91 Depth=1
	s_mul_i32 s15, s12, 36
	v_add_u32_e32 v6, 0x100, v3
	v_mov_b32_e32 v3, s15
	ds_read_b32 v7, v3
	s_lshl_b32 s18, s12, 5
	s_sub_i32 s18, s18, 32
	v_lshl_or_b32 v5, v0, 2, s18
	ds_read_b32 v3, v5 offset:256
	s_waitcnt lgkmcnt(1)
	v_div_scale_f32 v8, s[18:19], v7, v7, v4
	v_rcp_f32_e32 v9, v8
	v_div_scale_f32 v10, vcc, v4, v7, v4
	s_cmp_le_i32 s1, s12
	v_fma_f32 v11, -v8, v9, 1.0
	v_fmac_f32_e32 v9, v11, v9
	v_mul_f32_e32 v11, v10, v9
	v_fma_f32 v12, -v8, v11, v10
	v_fmac_f32_e32 v11, v12, v9
	v_fma_f32 v8, -v8, v11, v10
	v_div_fmas_f32 v8, v8, v9, v11
	v_div_fixup_f32 v4, v8, v7, v4
	ds_write_b32 v6, v4
	v_mov_b32_e32 v4, v2
	s_mov_b32 s18, s14
	s_mov_b32 s19, s1
	s_cbranch_scc1 .LBB10_90
.LBB10_94:                              ;   Parent Loop BB10_91 Depth=1
                                        ; =>  This Inner Loop Header: Depth=2
	v_mov_b32_e32 v7, s18
	ds_read_b32 v6, v4
	ds_read_b32 v7, v7
	s_add_i32 s19, s19, -1
	s_add_i32 s18, s18, -4
	v_subrev_u32_e32 v4, 32, v4
	s_cmp_gt_i32 s19, s12
	s_waitcnt lgkmcnt(0)
	v_fma_f32 v3, -v6, v7, v3
	s_cbranch_scc1 .LBB10_94
	s_branch .LBB10_90
.LBB10_95:
	s_mov_b64 s[22:23], 0
.LBB10_96:
	s_andn2_b64 vcc, exec, s[22:23]
	s_cbranch_vccnz .LBB10_115
; %bb.97:
	s_cmp_lt_i32 s20, 4
	s_mov_b32 s13, 0
	s_cbranch_scc1 .LBB10_104
; %bb.98:
	v_mov_b32_e32 v1, 0x100
	v_lshl_or_b32 v1, v0, 2, v1
	s_mov_b32 s9, 0
	s_mov_b32 s12, 0
.LBB10_99:                              ; =>This Loop Header: Depth=1
                                        ;     Child Loop BB10_101 Depth 2
	s_lshl_b32 s13, s12, 3
	v_or_b32_e32 v2, s13, v0
	s_or_b32 s15, s13, 8
	v_lshlrev_b32_e32 v6, 2, v2
	v_or_b32_e32 v2, s15, v0
	s_or_b32 s14, s13, 16
	v_lshlrev_b32_e32 v8, 2, v2
	;; [unrolled: 3-line block ×3, first 2 shown]
	v_or_b32_e32 v2, s13, v0
	v_lshlrev_b32_e32 v10, 2, v2
	ds_read_b32 v5, v6 offset:256
	ds_read_b32 v4, v8 offset:256
	;; [unrolled: 1-line block ×4, first 2 shown]
	s_cmp_eq_u32 s12, 0
	s_cbranch_scc1 .LBB10_102
; %bb.100:                              ;   in Loop: Header=BB10_99 Depth=1
	s_mov_b32 s18, 0
	s_mov_b32 s19, s9
	v_mov_b32_e32 v7, v1
.LBB10_101:                             ;   Parent Loop BB10_99 Depth=1
                                        ; =>  This Inner Loop Header: Depth=2
	v_mov_b32_e32 v14, s19
	ds_read_b32 v11, v7
	ds_read2_b32 v[12:13], v14 offset1:8
	ds_read2_b32 v[14:15], v14 offset0:16 offset1:24
	s_add_i32 s18, s18, 1
	s_add_i32 s19, s19, 4
	v_add_u32_e32 v7, 32, v7
	s_cmp_ge_u32 s18, s12
	s_waitcnt lgkmcnt(1)
	v_fma_f32 v5, -v11, v12, v5
	v_fma_f32 v4, -v11, v13, v4
	s_waitcnt lgkmcnt(0)
	v_fma_f32 v3, -v11, v14, v3
	v_fma_f32 v2, -v11, v15, v2
	s_cbranch_scc0 .LBB10_101
.LBB10_102:                             ;   in Loop: Header=BB10_99 Depth=1
	s_mul_i32 s18, s12, 36
	v_add_u32_e32 v7, 0x100, v6
	v_add_u32_e32 v6, 0x100, v10
	v_mov_b32_e32 v10, s18
	ds_read_b32 v15, v10
	s_add_i32 s15, s15, s12
	s_add_i32 s14, s14, s12
	s_lshl_b32 s15, s15, 2
	s_lshl_b32 s14, s14, 2
	v_mov_b32_e32 v11, s15
	v_mov_b32_e32 v12, s14
	s_waitcnt lgkmcnt(0)
	v_div_scale_f32 v16, s[14:15], v15, v15, v5
	v_rcp_f32_e32 v17, v16
	ds_read_b64 v[10:11], v11
	ds_read_b96 v[12:14], v12
	s_add_i32 s13, s13, s12
	s_lshl_b32 s13, s13, 2
	v_fma_f32 v18, -v16, v17, 1.0
	v_fmac_f32_e32 v17, v18, v17
	v_div_scale_f32 v18, vcc, v5, v15, v5
	v_mul_f32_e32 v19, v18, v17
	v_fma_f32 v20, -v16, v19, v18
	v_fmac_f32_e32 v19, v20, v17
	v_fma_f32 v16, -v16, v19, v18
	v_div_fmas_f32 v16, v16, v17, v19
	v_div_fixup_f32 v5, v16, v15, v5
	s_waitcnt lgkmcnt(1)
	v_fma_f32 v4, -v5, v10, v4
	v_div_scale_f32 v10, s[14:15], v11, v11, v4
	v_rcp_f32_e32 v15, v10
	s_waitcnt lgkmcnt(0)
	v_fma_f32 v3, -v5, v12, v3
	v_add_u32_e32 v8, 0x100, v8
	v_add_u32_e32 v9, 0x100, v9
	v_fma_f32 v16, -v10, v15, 1.0
	v_fmac_f32_e32 v15, v16, v15
	v_div_scale_f32 v16, vcc, v4, v11, v4
	v_mul_f32_e32 v17, v16, v15
	v_fma_f32 v18, -v10, v17, v16
	v_fmac_f32_e32 v17, v18, v15
	v_fma_f32 v10, -v10, v17, v16
	v_div_fmas_f32 v10, v10, v15, v17
	v_div_fixup_f32 v4, v10, v11, v4
	v_fma_f32 v3, -v4, v13, v3
	v_div_scale_f32 v15, s[14:15], v14, v14, v3
	v_rcp_f32_e32 v16, v15
	v_div_scale_f32 v17, vcc, v3, v14, v3
	s_addk_i32 s9, 0x80
	v_fma_f32 v10, -v15, v16, 1.0
	v_fmac_f32_e32 v16, v10, v16
	v_mul_f32_e32 v18, v17, v16
	v_fma_f32 v10, -v15, v18, v17
	v_fmac_f32_e32 v18, v10, v16
	v_mov_b32_e32 v10, s13
	ds_read_b128 v[10:13], v10
	v_fma_f32 v15, -v15, v18, v17
	v_div_fmas_f32 v15, v15, v16, v18
	v_div_fixup_f32 v3, v15, v14, v3
	ds_write_b32 v7, v5
	ds_write_b32 v8, v4
	;; [unrolled: 1-line block ×3, first 2 shown]
	s_waitcnt lgkmcnt(3)
	v_fma_f32 v2, -v5, v10, v2
	v_fma_f32 v2, -v4, v11, v2
	;; [unrolled: 1-line block ×3, first 2 shown]
	v_div_scale_f32 v10, s[14:15], v13, v13, v2
	v_rcp_f32_e32 v11, v10
	s_add_i32 s13, s12, 4
	s_add_i32 s12, s12, 7
	s_cmp_ge_i32 s12, s1
	v_fma_f32 v3, -v10, v11, 1.0
	v_fmac_f32_e32 v11, v3, v11
	v_div_scale_f32 v3, vcc, v2, v13, v2
	v_mul_f32_e32 v4, v3, v11
	v_fma_f32 v5, -v10, v4, v3
	v_fmac_f32_e32 v4, v5, v11
	v_fma_f32 v3, -v10, v4, v3
	v_div_fmas_f32 v3, v3, v11, v4
	v_div_fixup_f32 v2, v3, v13, v2
	ds_write_b32 v6, v2
	s_cbranch_scc1 .LBB10_104
; %bb.103:                              ;   in Loop: Header=BB10_99 Depth=1
	s_mov_b32 s12, s13
	s_branch .LBB10_99
.LBB10_104:
	s_cmp_ge_i32 s13, s1
	s_cbranch_scc1 .LBB10_115
; %bb.105:
	v_mov_b32_e32 v1, 0x100
	s_add_i32 s9, s13, -1
	v_lshl_or_b32 v1, v0, 2, v1
	s_lshl_b32 s12, s13, 5
	s_mov_b32 s14, 0
	v_lshlrev_b32_e32 v2, 2, v0
	s_mov_b32 s15, s13
	s_branch .LBB10_107
.LBB10_106:                             ;   in Loop: Header=BB10_107 Depth=1
	s_mul_i32 s18, s13, 36
	v_mov_b32_e32 v5, s18
	ds_read_b32 v5, v5
	v_add_u32_e32 v4, 0x100, v4
	s_add_i32 s13, s13, 1
	s_add_i32 s14, s14, 1
	;; [unrolled: 1-line block ×3, first 2 shown]
	s_waitcnt lgkmcnt(0)
	v_div_scale_f32 v6, s[18:19], v5, v5, v3
	v_rcp_f32_e32 v7, v6
	v_div_scale_f32 v8, vcc, v3, v5, v3
	s_cmp_ge_i32 s13, s1
	v_fma_f32 v9, -v6, v7, 1.0
	v_fmac_f32_e32 v7, v9, v7
	v_mul_f32_e32 v9, v8, v7
	v_fma_f32 v10, -v6, v9, v8
	v_fmac_f32_e32 v9, v10, v7
	v_fma_f32 v6, -v6, v9, v8
	v_div_fmas_f32 v6, v6, v7, v9
	v_div_fixup_f32 v3, v6, v5, v3
	ds_write_b32 v4, v3
	v_add_u16_e64 v3, s15, 1
	v_readfirstlane_b32 s15, v3
	s_cbranch_scc1 .LBB10_115
.LBB10_107:                             ; =>This Loop Header: Depth=1
                                        ;     Child Loop BB10_110 Depth 2
                                        ;     Child Loop BB10_114 Depth 2
	v_lshl_or_b32 v4, s13, 5, v2
	ds_read_b32 v3, v4 offset:256
	s_cmp_eq_u32 s13, 0
	s_cbranch_scc1 .LBB10_106
; %bb.108:                              ;   in Loop: Header=BB10_107 Depth=1
	s_add_i32 s18, s9, s14
	s_cmp_lt_u32 s18, 7
	s_cbranch_scc1 .LBB10_112
; %bb.109:                              ;   in Loop: Header=BB10_107 Depth=1
	s_and_b32 s18, s13, -8
	s_mov_b32 s19, 0
	s_mov_b32 s21, s12
	v_mov_b32_e32 v5, v1
.LBB10_110:                             ;   Parent Loop BB10_107 Depth=1
                                        ; =>  This Inner Loop Header: Depth=2
	v_mov_b32_e32 v10, s21
	ds_read2_b32 v[14:15], v5 offset1:8
	ds_read2_b32 v[16:17], v5 offset0:16 offset1:24
	ds_read2_b32 v[18:19], v5 offset0:32 offset1:40
	;; [unrolled: 1-line block ×3, first 2 shown]
	ds_read_b128 v[6:9], v10
	ds_read_b128 v[10:13], v10 offset:16
	s_add_i32 s19, s19, 8
	s_add_i32 s21, s21, 32
	v_add_u32_e32 v5, 0x100, v5
	s_waitcnt lgkmcnt(1)
	v_fma_f32 v3, -v14, v6, v3
	v_fma_f32 v3, -v15, v7, v3
	;; [unrolled: 1-line block ×4, first 2 shown]
	s_waitcnt lgkmcnt(0)
	v_fma_f32 v3, -v18, v10, v3
	v_fma_f32 v3, -v19, v11, v3
	;; [unrolled: 1-line block ×3, first 2 shown]
	s_cmp_eq_u32 s18, s19
	v_fma_f32 v3, -v21, v13, v3
	s_cbranch_scc0 .LBB10_110
; %bb.111:                              ;   in Loop: Header=BB10_107 Depth=1
	s_and_b32 s19, s13, 7
	s_cmp_eq_u32 s19, 0
	s_cbranch_scc0 .LBB10_113
	s_branch .LBB10_106
.LBB10_112:                             ;   in Loop: Header=BB10_107 Depth=1
	s_mov_b32 s18, 0
	s_and_b32 s19, s13, 7
	s_cmp_eq_u32 s19, 0
	s_cbranch_scc1 .LBB10_106
.LBB10_113:                             ;   in Loop: Header=BB10_107 Depth=1
	s_and_b32 s19, s15, 7
	s_lshl_b32 s21, s18, 2
	v_lshl_add_u32 v5, s18, 5, v1
.LBB10_114:                             ;   Parent Loop BB10_107 Depth=1
                                        ; =>  This Inner Loop Header: Depth=2
	s_add_i32 s18, s12, s21
	v_mov_b32_e32 v7, s18
	ds_read_b32 v6, v5
	ds_read_b32 v7, v7
	s_add_i32 s21, s21, 4
	s_add_i32 s19, s19, -1
	v_add_u32_e32 v5, 32, v5
	s_cmp_lg_u32 s19, 0
	s_waitcnt lgkmcnt(0)
	v_fma_f32 v3, -v6, v7, v3
	s_cbranch_scc1 .LBB10_114
	s_branch .LBB10_106
.LBB10_115:
	s_and_saveexec_b64 s[12:13], s[6:7]
	s_cbranch_execz .LBB10_127
; %bb.116:
	s_cmp_lt_u32 s20, 2
	s_cselect_b64 s[6:7], -1, 0
	s_cmp_lg_u32 s8, 1
	s_cselect_b64 s[12:13], -1, 0
	s_or_b64 s[6:7], s[6:7], s[12:13]
	s_mov_b32 s1, 1
	s_and_b64 vcc, exec, s[6:7]
	s_cbranch_vccnz .LBB10_124
; %bb.117:
	s_add_i32 s6, s20, -2
	s_lshr_b32 s7, s6, 1
	s_add_i32 s7, s7, 1
	s_mov_b32 s9, 0
	s_cmp_lt_u32 s6, 14
	s_mov_b32 s6, s9
	s_cbranch_scc1 .LBB10_120
; %bb.118:
	s_mul_i32 s1, s17, s0
	s_mul_hi_u32 s6, s16, s0
	s_add_i32 s15, s6, s1
	s_mul_i32 s14, s16, s0
	s_and_b32 s12, s7, -8
	s_lshl_b64 s[14:15], s[14:15], 2
	s_add_u32 s1, s14, s4
	s_addc_u32 s6, s15, s5
	s_lshl_b64 s[14:15], s[2:3], 2
	s_add_u32 s1, s1, s14
	s_addc_u32 s6, s6, s15
	s_add_u32 s1, s10, s1
	v_lshlrev_b32_e32 v1, 2, v0
	s_addc_u32 s6, s11, s6
	v_mov_b32_e32 v2, s6
	v_add_co_u32_e32 v1, vcc, s1, v1
	v_addc_co_u32_e32 v3, vcc, 0, v2, vcc
	v_add_co_u32_e32 v2, vcc, 56, v1
	v_addc_co_u32_e32 v3, vcc, 0, v3, vcc
	s_mov_b32 s1, 1
	s_mov_b32 s6, 0
.LBB10_119:                             ; =>This Inner Loop Header: Depth=1
	s_lshl_b32 s13, s9, 3
	s_lshl_b32 s14, s1, 3
	v_or_b32_e32 v4, s13, v0
	s_add_i32 s15, s13, 16
	s_add_i32 s18, s14, 16
	s_add_i32 s19, s13, 32
	s_add_i32 s22, s13, 48
	s_add_i32 s24, s13, 64
	s_add_i32 s26, s13, 0x50
	s_add_i32 s28, s13, 0x60
	s_addk_i32 s13, 0x70
	v_or_b32_e32 v1, s14, v0
	s_add_i32 s21, s14, 32
	s_add_i32 s23, s14, 48
	;; [unrolled: 1-line block ×5, first 2 shown]
	s_addk_i32 s14, 0x70
	v_or_b32_e32 v5, s18, v0
	v_or_b32_e32 v6, s15, v0
	;; [unrolled: 1-line block ×8, first 2 shown]
	v_lshlrev_b32_e32 v4, 2, v4
	v_or_b32_e32 v7, s21, v0
	v_or_b32_e32 v9, s23, v0
	;; [unrolled: 1-line block ×6, first 2 shown]
	v_lshlrev_b32_e32 v6, 2, v6
	v_lshlrev_b32_e32 v19, 2, v5
	;; [unrolled: 1-line block ×15, first 2 shown]
	ds_read_b32 v4, v4 offset:256
	ds_read_b32 v5, v1 offset:256
	;; [unrolled: 1-line block ×16, first 2 shown]
	s_add_i32 s6, s6, 16
	s_add_i32 s1, s1, 16
	s_add_i32 s9, s9, 16
	s_add_i32 s12, s12, -8
	s_waitcnt lgkmcnt(12)
	global_store_dwordx4 v[2:3], v[4:7], off offset:-56
	s_waitcnt lgkmcnt(8)
	global_store_dwordx4 v[2:3], v[8:11], off offset:-40
	s_waitcnt lgkmcnt(4)
	global_store_dwordx4 v[2:3], v[12:15], off offset:-24
	s_waitcnt lgkmcnt(0)
	global_store_dwordx4 v[2:3], v[16:19], off offset:-8
	v_add_co_u32_e32 v2, vcc, 64, v2
	s_cmp_lg_u32 s12, 0
	v_addc_co_u32_e32 v3, vcc, 0, v3, vcc
	s_cbranch_scc1 .LBB10_119
.LBB10_120:
	s_and_b32 s12, s7, 7
	s_cmp_eq_u32 s12, 0
	s_mov_b32 s7, 0
	s_cbranch_scc1 .LBB10_123
; %bb.121:
	s_mul_i32 s13, s17, s0
	s_mul_hi_u32 s14, s16, s0
	s_add_i32 s15, s14, s13
	s_mul_i32 s14, s16, s0
	s_lshl_b64 s[14:15], s[14:15], 2
	s_add_u32 s13, s14, s4
	s_addc_u32 s18, s15, s5
	s_lshl_b64 s[14:15], s[2:3], 2
	s_add_u32 s13, s13, s14
	s_addc_u32 s14, s18, s15
	;; [unrolled: 3-line block ×3, first 2 shown]
	s_add_u32 s6, s6, s13
	v_lshlrev_b32_e32 v1, 2, v0
	s_addc_u32 s7, s7, s14
	v_mov_b32_e32 v3, s7
	v_add_co_u32_e32 v2, vcc, s6, v1
	v_addc_co_u32_e32 v3, vcc, 0, v3, vcc
.LBB10_122:                             ; =>This Inner Loop Header: Depth=1
	v_lshl_or_b32 v4, s9, 5, v1
	v_lshl_or_b32 v5, s1, 5, v1
	ds_read_b32 v4, v4 offset:256
	ds_read_b32 v5, v5 offset:256
	s_add_i32 s1, s1, 2
	s_add_i32 s9, s9, 2
	s_add_i32 s12, s12, -1
	s_cmp_lg_u32 s12, 0
	s_waitcnt lgkmcnt(0)
	global_store_dwordx2 v[2:3], v[4:5], off
	v_add_co_u32_e32 v2, vcc, 8, v2
	v_addc_co_u32_e32 v3, vcc, 0, v3, vcc
	s_cbranch_scc1 .LBB10_122
.LBB10_123:
	s_and_b32 s1, s20, 0x7ffffffe
	s_cmp_lg_u32 s1, s20
	s_cselect_b64 s[6:7], -1, 0
	s_and_b64 vcc, exec, s[6:7]
	s_cbranch_vccnz .LBB10_125
	s_branch .LBB10_127
.LBB10_124:
	s_mov_b32 s1, 0
	s_cbranch_execz .LBB10_127
.LBB10_125:
	s_mul_i32 s7, s17, s0
	s_mul_hi_u32 s12, s16, s0
	v_lshlrev_b32_e32 v0, 2, v0
	s_add_i32 s13, s12, s7
	s_mul_i32 s12, s16, s0
	s_mul_hi_i32 s15, s8, s1
	s_mul_i32 s14, s8, s1
	s_ashr_i32 s9, s8, 31
	v_lshl_or_b32 v1, s1, 5, v0
	s_sub_i32 s6, s20, s1
	s_lshl_b64 s[12:13], s[12:13], 2
	s_lshl_b64 s[0:1], s[14:15], 2
	s_add_u32 s0, s12, s0
	s_addc_u32 s1, s13, s1
	s_add_u32 s4, s0, s4
	s_addc_u32 s5, s1, s5
	s_lshl_b64 s[0:1], s[2:3], 2
	s_add_u32 s0, s4, s0
	s_addc_u32 s1, s5, s1
	s_add_u32 s0, s10, s0
	s_addc_u32 s1, s11, s1
	v_add_u32_e32 v2, 0x100, v1
	v_mov_b32_e32 v1, s1
	v_add_co_u32_e32 v0, vcc, s0, v0
	s_lshl_b64 s[0:1], s[8:9], 2
	v_addc_co_u32_e32 v1, vcc, 0, v1, vcc
	v_mov_b32_e32 v3, s1
.LBB10_126:                             ; =>This Inner Loop Header: Depth=1
	ds_read_b32 v4, v2
	s_add_i32 s6, s6, -1
	v_add_u32_e32 v2, 32, v2
	s_cmp_lg_u32 s6, 0
	s_waitcnt lgkmcnt(0)
	global_store_dword v[0:1], v4, off
	v_add_co_u32_e32 v0, vcc, s0, v0
	v_addc_co_u32_e32 v1, vcc, v1, v3, vcc
	s_cbranch_scc1 .LBB10_126
.LBB10_127:
	s_endpgm
	.section	.rodata,"a",@progbits
	.p2align	6, 0x0
	.amdhsa_kernel _ZL31rocblas_trsm_small_right_deviceIffPKfPfLi8EEv13rocblas_fill_18rocblas_operation_17rocblas_diagonal_iiT0_T1_lilT2_lili
		.amdhsa_group_segment_fixed_size 512
		.amdhsa_private_segment_fixed_size 0
		.amdhsa_kernarg_size 352
		.amdhsa_user_sgpr_count 6
		.amdhsa_user_sgpr_private_segment_buffer 1
		.amdhsa_user_sgpr_dispatch_ptr 0
		.amdhsa_user_sgpr_queue_ptr 0
		.amdhsa_user_sgpr_kernarg_segment_ptr 1
		.amdhsa_user_sgpr_dispatch_id 0
		.amdhsa_user_sgpr_flat_scratch_init 0
		.amdhsa_user_sgpr_kernarg_preload_length 0
		.amdhsa_user_sgpr_kernarg_preload_offset 0
		.amdhsa_user_sgpr_private_segment_size 0
		.amdhsa_uses_dynamic_stack 0
		.amdhsa_system_sgpr_private_segment_wavefront_offset 0
		.amdhsa_system_sgpr_workgroup_id_x 1
		.amdhsa_system_sgpr_workgroup_id_y 0
		.amdhsa_system_sgpr_workgroup_id_z 1
		.amdhsa_system_sgpr_workgroup_info 0
		.amdhsa_system_vgpr_workitem_id 0
		.amdhsa_next_free_vgpr 62
		.amdhsa_next_free_sgpr 44
		.amdhsa_accum_offset 64
		.amdhsa_reserve_vcc 1
		.amdhsa_reserve_flat_scratch 0
		.amdhsa_float_round_mode_32 0
		.amdhsa_float_round_mode_16_64 0
		.amdhsa_float_denorm_mode_32 3
		.amdhsa_float_denorm_mode_16_64 3
		.amdhsa_dx10_clamp 1
		.amdhsa_ieee_mode 1
		.amdhsa_fp16_overflow 0
		.amdhsa_tg_split 0
		.amdhsa_exception_fp_ieee_invalid_op 0
		.amdhsa_exception_fp_denorm_src 0
		.amdhsa_exception_fp_ieee_div_zero 0
		.amdhsa_exception_fp_ieee_overflow 0
		.amdhsa_exception_fp_ieee_underflow 0
		.amdhsa_exception_fp_ieee_inexact 0
		.amdhsa_exception_int_div_zero 0
	.end_amdhsa_kernel
	.section	.text._ZL31rocblas_trsm_small_right_deviceIffPKfPfLi8EEv13rocblas_fill_18rocblas_operation_17rocblas_diagonal_iiT0_T1_lilT2_lili,"axG",@progbits,_ZL31rocblas_trsm_small_right_deviceIffPKfPfLi8EEv13rocblas_fill_18rocblas_operation_17rocblas_diagonal_iiT0_T1_lilT2_lili,comdat
.Lfunc_end10:
	.size	_ZL31rocblas_trsm_small_right_deviceIffPKfPfLi8EEv13rocblas_fill_18rocblas_operation_17rocblas_diagonal_iiT0_T1_lilT2_lili, .Lfunc_end10-_ZL31rocblas_trsm_small_right_deviceIffPKfPfLi8EEv13rocblas_fill_18rocblas_operation_17rocblas_diagonal_iiT0_T1_lilT2_lili
                                        ; -- End function
	.section	.AMDGPU.csdata,"",@progbits
; Kernel info:
; codeLenInByte = 9308
; NumSgprs: 48
; NumVgprs: 62
; NumAgprs: 0
; TotalNumVgprs: 62
; ScratchSize: 0
; MemoryBound: 0
; FloatMode: 240
; IeeeMode: 1
; LDSByteSize: 512 bytes/workgroup (compile time only)
; SGPRBlocks: 5
; VGPRBlocks: 7
; NumSGPRsForWavesPerEU: 48
; NumVGPRsForWavesPerEU: 62
; AccumOffset: 64
; Occupancy: 8
; WaveLimiterHint : 0
; COMPUTE_PGM_RSRC2:SCRATCH_EN: 0
; COMPUTE_PGM_RSRC2:USER_SGPR: 6
; COMPUTE_PGM_RSRC2:TRAP_HANDLER: 0
; COMPUTE_PGM_RSRC2:TGID_X_EN: 1
; COMPUTE_PGM_RSRC2:TGID_Y_EN: 0
; COMPUTE_PGM_RSRC2:TGID_Z_EN: 1
; COMPUTE_PGM_RSRC2:TIDIG_COMP_CNT: 0
; COMPUTE_PGM_RSRC3_GFX90A:ACCUM_OFFSET: 15
; COMPUTE_PGM_RSRC3_GFX90A:TG_SPLIT: 0
	.section	.text._ZL38rocblas_trsm_small_left_device_sharedBILi12ELi12ELb0EffPKfPfEv13rocblas_fill_18rocblas_operation_17rocblas_diagonal_iiT3_T4_lilT5_lili,"axG",@progbits,_ZL38rocblas_trsm_small_left_device_sharedBILi12ELi12ELb0EffPKfPfEv13rocblas_fill_18rocblas_operation_17rocblas_diagonal_iiT3_T4_lilT5_lili,comdat
	.globl	_ZL38rocblas_trsm_small_left_device_sharedBILi12ELi12ELb0EffPKfPfEv13rocblas_fill_18rocblas_operation_17rocblas_diagonal_iiT3_T4_lilT5_lili ; -- Begin function _ZL38rocblas_trsm_small_left_device_sharedBILi12ELi12ELb0EffPKfPfEv13rocblas_fill_18rocblas_operation_17rocblas_diagonal_iiT3_T4_lilT5_lili
	.p2align	8
	.type	_ZL38rocblas_trsm_small_left_device_sharedBILi12ELi12ELb0EffPKfPfEv13rocblas_fill_18rocblas_operation_17rocblas_diagonal_iiT3_T4_lilT5_lili,@function
_ZL38rocblas_trsm_small_left_device_sharedBILi12ELi12ELb0EffPKfPfEv13rocblas_fill_18rocblas_operation_17rocblas_diagonal_iiT3_T4_lilT5_lili: ; @_ZL38rocblas_trsm_small_left_device_sharedBILi12ELi12ELb0EffPKfPfEv13rocblas_fill_18rocblas_operation_17rocblas_diagonal_iiT3_T4_lilT5_lili
; %bb.0:
	s_load_dwordx4 s[8:11], s[4:5], 0x4
	s_load_dword s25, s[4:5], 0x14
	s_load_dwordx4 s[0:3], s[4:5], 0x30
	s_load_dwordx2 s[16:17], s[4:5], 0x40
	s_mov_b32 s26, 0
	s_waitcnt lgkmcnt(0)
	s_min_i32 s24, s10, 12
	v_cmp_gt_i32_e32 vcc, s24, v0
	s_and_saveexec_b64 s[18:19], vcc
	s_cbranch_execz .LBB11_15
; %bb.1:
	s_load_dword s20, s[4:5], 0x28
	s_load_dwordx4 s[12:15], s[4:5], 0x18
	s_cmp_gt_u32 s24, 1
	s_cselect_b64 s[22:23], -1, 0
	s_mov_b32 s21, 1
	s_waitcnt lgkmcnt(0)
	s_cmp_eq_u32 s20, 1
	s_cselect_b64 s[28:29], -1, 0
	s_and_b64 s[28:29], s[22:23], s[28:29]
	s_mov_b64 s[22:23], -1
	s_and_b64 vcc, exec, s[28:29]
	s_cbranch_vccz .LBB11_9
; %bb.2:
	s_add_i32 s22, s24, -2
	s_lshr_b32 s23, s22, 1
	s_add_i32 s23, s23, 1
	s_cmp_lt_u32 s22, 14
	s_mov_b32 s22, s26
	s_cbranch_scc1 .LBB11_5
; %bb.3:
	s_mul_i32 s21, s1, s7
	s_mul_hi_u32 s22, s0, s7
	s_add_i32 s29, s22, s21
	s_mul_i32 s28, s0, s7
	s_and_b32 s27, s23, -8
	s_lshl_b64 s[28:29], s[28:29], 2
	s_lshl_b64 s[30:31], s[14:15], 2
	s_add_u32 s21, s28, s30
	s_addc_u32 s22, s29, s31
	s_add_u32 s21, s12, s21
	v_lshlrev_b32_e32 v1, 2, v0
	s_addc_u32 s22, s13, s22
	v_mov_b32_e32 v2, s22
	v_add_co_u32_e32 v1, vcc, s21, v1
	v_addc_co_u32_e32 v3, vcc, 0, v2, vcc
	v_add_co_u32_e32 v2, vcc, 56, v1
	v_addc_co_u32_e32 v3, vcc, 0, v3, vcc
	s_mov_b32 s21, 1
	s_mov_b32 s22, 0
.LBB11_4:                               ; =>This Inner Loop Header: Depth=1
	global_load_dwordx4 v[4:7], v[2:3], off offset:-56
	global_load_dwordx4 v[8:11], v[2:3], off offset:-40
	global_load_dwordx4 v[12:15], v[2:3], off offset:-24
	global_load_dwordx4 v[16:19], v[2:3], off offset:-8
	s_mul_i32 s28, s21, 12
	s_mul_i32 s29, s26, 12
	s_add_i32 s22, s22, 16
	s_add_i32 s21, s21, 16
	;; [unrolled: 1-line block ×3, first 2 shown]
	s_add_i32 s27, s27, -8
	v_add_co_u32_e32 v2, vcc, 64, v2
	v_add_lshl_u32 v1, s29, v0, 2
	v_add_lshl_u32 v20, s28, v0, 2
	s_add_i32 s30, s28, 24
	s_add_i32 s31, s29, 24
	;; [unrolled: 1-line block ×12, first 2 shown]
	s_addk_i32 s28, 0xa8
	s_addk_i32 s29, 0xa8
	v_addc_co_u32_e32 v3, vcc, 0, v3, vcc
	s_cmp_lg_u32 s27, 0
	v_add_lshl_u32 v21, s31, v0, 2
	v_add_lshl_u32 v22, s30, v0, 2
	;; [unrolled: 1-line block ×14, first 2 shown]
	s_waitcnt vmcnt(3)
	ds_write_b32 v1, v4
	ds_write_b32 v20, v5
	ds_write_b32 v21, v6
	ds_write_b32 v22, v7
	s_waitcnt vmcnt(2)
	ds_write_b32 v23, v8
	ds_write_b32 v24, v9
	ds_write_b32 v25, v10
	ds_write_b32 v26, v11
	;; [unrolled: 5-line block ×4, first 2 shown]
	s_cbranch_scc1 .LBB11_4
.LBB11_5:
	s_and_b32 s27, s23, 7
	s_cmp_eq_u32 s27, 0
	s_mov_b32 s23, 0
	s_cbranch_scc1 .LBB11_8
; %bb.6:
	s_mul_i32 s28, s1, s7
	s_mul_hi_u32 s29, s0, s7
	s_add_i32 s29, s29, s28
	s_mul_i32 s28, s0, s7
	s_lshl_b64 s[28:29], s[28:29], 2
	s_lshl_b64 s[30:31], s[14:15], 2
	s_add_u32 s28, s28, s30
	s_addc_u32 s29, s29, s31
	s_lshl_b64 s[22:23], s[22:23], 2
	s_add_u32 s22, s12, s22
	s_addc_u32 s23, s13, s23
	s_add_u32 s22, s22, s28
	v_lshlrev_b32_e32 v1, 2, v0
	s_addc_u32 s23, s23, s29
	v_mov_b32_e32 v3, s23
	v_add_co_u32_e32 v2, vcc, s22, v1
	v_addc_co_u32_e32 v3, vcc, 0, v3, vcc
	s_lshl_b32 s22, s27, 3
.LBB11_7:                               ; =>This Inner Loop Header: Depth=1
	global_load_dwordx2 v[4:5], v[2:3], off
	s_mul_i32 s23, s21, 12
	s_mul_i32 s27, s26, 12
	s_add_i32 s21, s21, 2
	s_add_i32 s26, s26, 2
	v_add_co_u32_e32 v2, vcc, 8, v2
	s_add_i32 s22, s22, -8
	v_addc_co_u32_e32 v3, vcc, 0, v3, vcc
	v_add_lshl_u32 v1, s27, v0, 2
	s_cmp_lg_u32 s22, 0
	v_add_lshl_u32 v6, s23, v0, 2
	s_waitcnt vmcnt(0)
	ds_write_b32 v1, v4
	ds_write_b32 v6, v5
	s_cbranch_scc1 .LBB11_7
.LBB11_8:
	s_and_b32 s26, s24, -2
	s_cmp_lg_u32 s24, s26
	s_cselect_b64 s[22:23], -1, 0
.LBB11_9:
	s_and_b64 vcc, exec, s[22:23]
	s_cbranch_vccz .LBB11_12
; %bb.10:
	s_ashr_i32 s21, s20, 31
	s_mul_i32 s1, s1, s7
	s_mul_hi_u32 s22, s0, s7
	s_add_i32 s1, s22, s1
	s_mul_hi_u32 s22, s20, s26
	s_mul_i32 s23, s21, s26
	s_mul_i32 s0, s0, s7
	s_add_i32 s23, s22, s23
	s_mul_i32 s22, s20, s26
	s_lshl_b64 s[0:1], s[0:1], 2
	s_lshl_b64 s[22:23], s[22:23], 2
	s_add_u32 s22, s0, s22
	s_addc_u32 s23, s1, s23
	s_lshl_b64 s[0:1], s[14:15], 2
	s_add_u32 s0, s22, s0
	s_addc_u32 s1, s23, s1
	s_add_u32 s0, s12, s0
	v_lshlrev_b32_e32 v1, 2, v0
	s_addc_u32 s1, s13, s1
	v_mov_b32_e32 v3, s1
	v_add_co_u32_e32 v2, vcc, s0, v1
	s_lshl_b64 s[0:1], s[20:21], 2
	s_mul_i32 s13, s26, 48
	v_addc_co_u32_e32 v3, vcc, 0, v3, vcc
	s_sub_i32 s12, s24, s26
	v_lshl_add_u32 v1, v0, 2, s13
	v_mov_b32_e32 v4, s1
.LBB11_11:                              ; =>This Inner Loop Header: Depth=1
	global_load_dword v5, v[2:3], off
	v_add_co_u32_e32 v2, vcc, s0, v2
	s_add_i32 s12, s12, -1
	v_addc_co_u32_e32 v3, vcc, v3, v4, vcc
	s_cmp_eq_u32 s12, 0
	s_waitcnt vmcnt(0)
	ds_write_b32 v1, v5
	v_add_u32_e32 v1, 48, v1
	s_cbranch_scc0 .LBB11_11
.LBB11_12:
	v_mul_u32_u24_e32 v1, 13, v0
	s_cmpk_lg_i32 s9, 0x84
	v_lshlrev_b32_e32 v1, 2, v1
	v_mov_b32_e32 v2, 1.0
	s_cbranch_scc0 .LBB11_14
; %bb.13:
	ds_read_b32 v2, v1
	s_waitcnt lgkmcnt(0)
	v_div_scale_f32 v3, s[0:1], v2, v2, 1.0
	v_rcp_f32_e32 v4, v3
	v_div_scale_f32 v5, vcc, 1.0, v2, 1.0
	v_fma_f32 v6, -v3, v4, 1.0
	v_fmac_f32_e32 v4, v6, v4
	v_mul_f32_e32 v6, v5, v4
	v_fma_f32 v7, -v3, v6, v5
	v_fmac_f32_e32 v6, v7, v4
	v_fma_f32 v3, -v3, v6, v5
	v_div_fmas_f32 v3, v3, v4, v6
	v_div_fixup_f32 v2, v3, v2, 1.0
.LBB11_14:
	ds_write_b32 v1, v2
.LBB11_15:
	s_or_b64 exec, exec, s[18:19]
	s_load_dword s9, s[4:5], 0x60
	s_load_dword s18, s[4:5], 0x48
	s_load_dwordx2 s[0:1], s[4:5], 0x50
	s_waitcnt lgkmcnt(0)
	s_ashr_i32 s19, s18, 31
	s_mul_i32 s1, s7, s1
	s_mul_hi_u32 s4, s7, s0
	s_mul_i32 s0, s7, s0
	s_add_i32 s1, s4, s1
	s_lshl_b64 s[0:1], s[0:1], 2
	s_add_u32 s7, s2, s0
	s_addc_u32 s12, s3, s1
	s_lshl_b64 s[4:5], s[16:17], 2
	s_add_u32 s14, s7, s4
	s_mul_i32 s7, s6, -12
	s_addc_u32 s15, s12, s5
	s_add_i32 s9, s9, -1
	s_add_i32 s7, s7, s11
	s_cmp_ge_u32 s6, s9
	s_mul_i32 s6, s6, 12
	s_mul_hi_i32 s13, s18, s6
	s_mul_i32 s12, s18, s6
	s_cselect_b32 s9, s7, 12
	s_ashr_i32 s7, s6, 31
	s_lshl_b64 s[12:13], s[12:13], 2
	s_add_u32 s11, s14, s12
	s_addc_u32 s20, s15, s13
	s_cmp_gt_i32 s10, 0
	v_cmp_gt_i32_e32 vcc, s9, v0
	s_cselect_b64 s[12:13], -1, 0
	s_mov_b32 s16, 0
	s_and_b64 s[12:13], vcc, s[12:13]
	s_and_saveexec_b64 s[14:15], s[12:13]
	s_cbranch_execz .LBB11_23
; %bb.16:
	s_cmp_lt_i32 s10, 8
	s_cbranch_scc1 .LBB11_20
; %bb.17:
	v_mad_i64_i32 v[2:3], s[16:17], s18, v0, 0
	v_lshlrev_b64 v[2:3], 2, v[2:3]
	v_mov_b32_e32 v4, s20
	v_add_co_u32_e32 v1, vcc, s11, v2
	v_addc_co_u32_e32 v2, vcc, v4, v3, vcc
	v_mov_b32_e32 v3, 0x240
	s_lshl_b32 s9, s24, 2
	v_lshl_or_b32 v3, v0, 2, v3
	s_and_b32 s9, s9, 32
	s_mov_b64 s[16:17], 0
.LBB11_18:                              ; =>This Inner Loop Header: Depth=1
	v_mov_b32_e32 v4, s17
	v_add_co_u32_e32 v12, vcc, s16, v1
	v_addc_co_u32_e32 v13, vcc, v2, v4, vcc
	global_load_dwordx4 v[4:7], v[12:13], off
	global_load_dwordx4 v[8:11], v[12:13], off offset:16
	s_add_u32 s16, s16, 32
	s_addc_u32 s17, s17, 0
	s_cmp_lg_u32 s9, s16
	s_waitcnt vmcnt(1)
	v_mul_f32_e32 v4, s25, v4
	v_mul_f32_e32 v5, s25, v5
	;; [unrolled: 1-line block ×4, first 2 shown]
	s_waitcnt vmcnt(0)
	v_mul_f32_e32 v8, s25, v8
	v_mul_f32_e32 v9, s25, v9
	;; [unrolled: 1-line block ×4, first 2 shown]
	ds_write2_b32 v3, v4, v5 offset1:12
	ds_write2_b32 v3, v6, v7 offset0:24 offset1:36
	ds_write2_b32 v3, v8, v9 offset0:48 offset1:60
	ds_write2_b32 v3, v10, v11 offset0:72 offset1:84
	v_add_u32_e32 v3, 0x180, v3
	s_cbranch_scc1 .LBB11_18
; %bb.19:
	s_mov_b32 s16, 8
.LBB11_20:
	s_and_b32 s9, s24, 7
	s_cmp_eq_u32 s9, 0
	s_cbranch_scc1 .LBB11_23
; %bb.21:
	s_mul_i32 s17, s16, 48
	s_lshl_b64 s[22:23], s[6:7], 2
	s_lshl_b32 s16, s16, 2
	s_add_u32 s16, s2, s16
	v_lshl_add_u32 v1, v0, 2, s17
	s_addc_u32 s17, s3, 0
	s_add_u32 s16, s16, s4
	s_addc_u32 s17, s17, s5
	v_lshlrev_b32_e32 v2, 2, v0
	s_add_u32 s16, s16, s0
	v_mov_b32_e32 v3, s23
	v_add_co_u32_e32 v4, vcc, s22, v2
	s_addc_u32 s17, s17, s1
	v_addc_co_u32_e32 v5, vcc, 0, v3, vcc
	v_pk_mov_b32 v[2:3], s[16:17], s[16:17] op_sel:[0,1]
	v_mad_u64_u32 v[2:3], s[16:17], v4, s18, v[2:3]
	v_mul_lo_u32 v4, v4, s19
	v_mul_lo_u32 v5, v5, s18
	v_add_u32_e32 v1, 0x240, v1
	v_add3_u32 v3, v5, v3, v4
.LBB11_22:                              ; =>This Inner Loop Header: Depth=1
	global_load_dword v4, v[2:3], off
	v_add_co_u32_e32 v2, vcc, 4, v2
	s_add_i32 s9, s9, -1
	v_addc_co_u32_e32 v3, vcc, 0, v3, vcc
	s_cmp_lg_u32 s9, 0
	s_waitcnt vmcnt(0)
	v_mul_f32_e32 v4, s25, v4
	ds_write_b32 v1, v4
	v_add_u32_e32 v1, 48, v1
	s_cbranch_scc1 .LBB11_22
.LBB11_23:
	s_or_b64 exec, exec, s[14:15]
	s_cmpk_eq_i32 s8, 0x6f
	s_mov_b64 s[8:9], -1
	s_waitcnt lgkmcnt(0)
	; wave barrier
	s_waitcnt lgkmcnt(0)
	s_cbranch_scc1 .LBB11_48
; %bb.24:
	s_cmp_gt_i32 s10, 11
	s_cselect_b64 s[8:9], -1, 0
	s_and_b64 vcc, exec, s[8:9]
	s_cbranch_vccz .LBB11_26
; %bb.25:
	v_lshlrev_b32_e32 v1, 2, v0
	v_mov_b32_e32 v20, 0
	ds_read2_b32 v[2:3], v1 offset0:144 offset1:156
	ds_read2_b32 v[10:11], v1 offset0:168 offset1:180
	ds_read2_b32 v[12:13], v1 offset0:192 offset1:204
	ds_read2_b32 v[14:15], v1 offset0:216 offset1:228
	ds_read2_b32 v[16:17], v1 offset0:240 offset1:252
	ds_read_b32 v9, v20
	ds_read_b64 v[4:5], v20 offset:48
	v_add_u32_e32 v21, 0x400, v1
	ds_read2_b32 v[18:19], v21 offset0:8 offset1:20
	ds_read_b96 v[6:8], v20 offset:96
	s_mov_b32 s14, 12
	s_waitcnt lgkmcnt(3)
	v_mul_f32_e32 v22, v2, v9
	s_waitcnt lgkmcnt(2)
	v_fma_f32 v2, -v22, v4, v3
	v_mul_f32_e32 v23, v2, v5
	ds_read_b128 v[2:5], v20 offset:144
	s_waitcnt lgkmcnt(1)
	v_fma_f32 v6, -v22, v6, v10
	v_fma_f32 v6, -v23, v7, v6
	v_mul_f32_e32 v24, v6, v8
	ds_read_b128 v[6:9], v20 offset:192
	s_waitcnt lgkmcnt(1)
	v_fma_f32 v2, -v22, v2, v11
	v_fma_f32 v2, -v23, v3, v2
	v_fma_f32 v2, -v24, v4, v2
	v_mul_f32_e32 v25, v2, v5
	ds_write2_b32 v1, v22, v23 offset0:144 offset1:156
	ds_write2_b32 v1, v24, v25 offset0:168 offset1:180
	s_waitcnt lgkmcnt(2)
	v_fma_f32 v6, -v22, v6, v12
	ds_read_b32 v10, v20 offset:208
	ds_read_b128 v[2:5], v20 offset:240
	v_fma_f32 v6, -v23, v7, v6
	v_fma_f32 v6, -v24, v8, v6
	;; [unrolled: 1-line block ×3, first 2 shown]
	s_waitcnt lgkmcnt(1)
	v_mul_f32_e32 v26, v6, v10
	ds_read_b64 v[10:11], v20 offset:256
	ds_read_b128 v[6:9], v20 offset:288
	s_waitcnt lgkmcnt(2)
	v_fma_f32 v2, -v22, v2, v13
	v_fma_f32 v2, -v23, v3, v2
	;; [unrolled: 1-line block ×4, first 2 shown]
	s_waitcnt lgkmcnt(1)
	v_fma_f32 v2, -v26, v10, v2
	v_mul_f32_e32 v27, v2, v11
	ds_read_b96 v[10:12], v20 offset:304
	s_waitcnt lgkmcnt(1)
	v_fma_f32 v2, -v22, v6, v14
	v_fma_f32 v2, -v23, v7, v2
	;; [unrolled: 1-line block ×3, first 2 shown]
	ds_read_b128 v[2:5], v20 offset:336
	v_fma_f32 v6, -v25, v9, v6
	s_waitcnt lgkmcnt(1)
	v_fma_f32 v6, -v26, v10, v6
	v_fma_f32 v6, -v27, v11, v6
	v_mul_f32_e32 v14, v6, v12
	ds_read_b128 v[6:9], v20 offset:352
	s_waitcnt lgkmcnt(1)
	v_fma_f32 v2, -v22, v2, v15
	v_fma_f32 v2, -v23, v3, v2
	;; [unrolled: 1-line block ×4, first 2 shown]
	ds_read_b128 v[2:5], v20 offset:384
	s_waitcnt lgkmcnt(1)
	v_fma_f32 v6, -v26, v6, v10
	v_fma_f32 v6, -v27, v7, v6
	;; [unrolled: 1-line block ×3, first 2 shown]
	v_mul_f32_e32 v15, v6, v9
	ds_write2_b32 v1, v26, v27 offset0:192 offset1:204
	ds_write2_b32 v1, v14, v15 offset0:216 offset1:228
	ds_read_b128 v[6:9], v20 offset:400
	ds_read_b32 v10, v20 offset:416
	s_waitcnt lgkmcnt(4)
	v_fma_f32 v2, -v22, v2, v16
	v_fma_f32 v2, -v23, v3, v2
	;; [unrolled: 1-line block ×4, first 2 shown]
	s_waitcnt lgkmcnt(1)
	v_fma_f32 v2, -v26, v6, v2
	v_fma_f32 v6, -v27, v7, v2
	ds_read_b128 v[2:5], v20 offset:432
	v_fma_f32 v6, -v14, v8, v6
	v_fma_f32 v6, -v15, v9, v6
	s_waitcnt lgkmcnt(1)
	v_mul_f32_e32 v16, v6, v10
	ds_read_b128 v[6:9], v20 offset:448
	s_waitcnt lgkmcnt(1)
	v_fma_f32 v2, -v22, v2, v17
	v_fma_f32 v2, -v23, v3, v2
	;; [unrolled: 1-line block ×4, first 2 shown]
	s_waitcnt lgkmcnt(0)
	v_fma_f32 v2, -v26, v6, v2
	ds_read_b64 v[10:11], v20 offset:464
	v_fma_f32 v2, -v27, v7, v2
	v_fma_f32 v2, -v14, v8, v2
	;; [unrolled: 1-line block ×3, first 2 shown]
	ds_read_b128 v[2:5], v20 offset:480
	s_waitcnt lgkmcnt(1)
	v_fma_f32 v6, -v16, v10, v6
	v_mul_f32_e32 v17, v6, v11
	ds_write2_b32 v1, v16, v17 offset0:240 offset1:252
	ds_read_b128 v[6:9], v20 offset:496
	ds_read_b96 v[10:12], v20 offset:512
	s_waitcnt lgkmcnt(3)
	v_fma_f32 v1, -v22, v2, v18
	v_fma_f32 v1, -v23, v3, v1
	;; [unrolled: 1-line block ×4, first 2 shown]
	s_waitcnt lgkmcnt(1)
	v_fma_f32 v1, -v26, v6, v1
	v_fma_f32 v1, -v27, v7, v1
	ds_read_b128 v[2:5], v20 offset:528
	v_fma_f32 v1, -v14, v8, v1
	v_fma_f32 v1, -v15, v9, v1
	s_waitcnt lgkmcnt(1)
	v_fma_f32 v1, -v16, v10, v1
	v_fma_f32 v1, -v17, v11, v1
	v_mul_f32_e32 v1, v1, v12
	ds_read_b128 v[6:9], v20 offset:544
	ds_read_b128 v[10:13], v20 offset:560
	s_waitcnt lgkmcnt(2)
	v_fma_f32 v2, -v22, v2, v19
	v_fma_f32 v2, -v23, v3, v2
	;; [unrolled: 1-line block ×4, first 2 shown]
	s_waitcnt lgkmcnt(1)
	v_fma_f32 v2, -v26, v6, v2
	v_fma_f32 v2, -v27, v7, v2
	;; [unrolled: 1-line block ×4, first 2 shown]
	s_waitcnt lgkmcnt(0)
	v_fma_f32 v2, -v16, v10, v2
	v_fma_f32 v2, -v17, v11, v2
	;; [unrolled: 1-line block ×3, first 2 shown]
	v_mul_f32_e32 v2, v2, v13
	ds_write2_b32 v21, v1, v2 offset0:8 offset1:20
	s_cmp_lt_i32 s14, s24
	s_cbranch_scc1 .LBB11_27
	s_branch .LBB11_47
.LBB11_26:
	s_mov_b32 s14, 0
	s_cmp_lt_i32 s14, s24
	s_cbranch_scc0 .LBB11_47
.LBB11_27:
	s_add_i32 s15, s14, 7
	s_cmp_ge_u32 s15, s24
	s_cbranch_scc1 .LBB11_36
; %bb.28:
	s_mul_i32 s15, s14, 12
	v_add_lshl_u32 v10, s15, v0, 2
	ds_read2_b32 v[8:9], v10 offset0:144 offset1:156
	ds_read2_b32 v[2:3], v10 offset0:168 offset1:180
	;; [unrolled: 1-line block ×3, first 2 shown]
	s_add_i32 s16, s15, 0x54
	v_add_lshl_u32 v1, s16, v0, 2
	ds_read_b32 v6, v10 offset:864
	ds_read_b32 v7, v1 offset:576
	s_andn2_b64 vcc, exec, s[8:9]
	s_cbranch_vccnz .LBB11_35
; %bb.29:
	s_max_u32 s9, s14, 1
	s_cmp_eq_u32 s9, 1
	s_cbranch_scc1 .LBB11_32
; %bb.30:
	v_mov_b32_e32 v11, 0x240
	s_and_b32 s8, s9, 12
	s_mul_i32 s17, s14, 48
	v_lshl_or_b32 v11, v0, 2, v11
	s_mov_b32 s21, 0
.LBB11_31:                              ; =>This Inner Loop Header: Depth=1
	v_mov_b32_e32 v24, s17
	ds_read2_b32 v[28:29], v11 offset1:12
	ds_read2_b64 v[12:15], v24 offset1:6
	ds_read2_b64 v[16:19], v24 offset0:12 offset1:18
	ds_read2_b64 v[20:23], v24 offset0:24 offset1:30
	;; [unrolled: 1-line block ×3, first 2 shown]
	s_add_i32 s21, s21, 2
	s_add_i32 s17, s17, 8
	v_add_u32_e32 v11, 0x60, v11
	s_waitcnt lgkmcnt(3)
	v_fma_f32 v8, -v28, v12, v8
	v_fma_f32 v9, -v28, v14, v9
	s_waitcnt lgkmcnt(2)
	v_fma_f32 v2, -v28, v16, v2
	v_fma_f32 v3, -v28, v18, v3
	;; [unrolled: 3-line block ×4, first 2 shown]
	s_cmp_lg_u32 s8, s21
	v_fma_f32 v8, -v29, v13, v8
	v_fma_f32 v9, -v29, v15, v9
	;; [unrolled: 1-line block ×8, first 2 shown]
	s_cbranch_scc1 .LBB11_31
	s_branch .LBB11_33
.LBB11_32:
	s_mov_b32 s8, 0
.LBB11_33:
	s_bitcmp0_b32 s9, 0
	s_cbranch_scc1 .LBB11_35
; %bb.34:
	s_mul_i32 s9, s8, 12
	v_add_lshl_u32 v11, s9, v0, 2
	s_add_i32 s9, s15, s8
	s_add_i32 s8, s16, s8
	s_lshl_b32 s9, s9, 2
	s_lshl_b32 s8, s8, 2
	v_mov_b32_e32 v18, s9
	v_mov_b32_e32 v19, s8
	ds_read2_b32 v[12:13], v18 offset1:12
	ds_read2_b32 v[14:15], v18 offset0:24 offset1:36
	ds_read2_b32 v[16:17], v18 offset0:48 offset1:60
	ds_read_b32 v11, v11 offset:576
	ds_read_b32 v18, v18 offset:288
	ds_read_b32 v19, v19
	s_waitcnt lgkmcnt(2)
	v_fma_f32 v8, -v11, v12, v8
	v_fma_f32 v9, -v11, v13, v9
	;; [unrolled: 1-line block ×6, first 2 shown]
	s_waitcnt lgkmcnt(1)
	v_fma_f32 v6, -v11, v18, v6
	s_waitcnt lgkmcnt(0)
	v_fma_f32 v7, -v11, v19, v7
.LBB11_35:
	s_mul_i32 s8, s14, 52
	v_mov_b32_e32 v23, s8
	s_add_i32 s8, s15, 12
	s_add_i32 s9, s8, s14
	s_lshl_b32 s9, s9, 2
	v_add_lshl_u32 v42, s8, v0, 2
	s_add_i32 s8, s15, 24
	v_mov_b32_e32 v11, s9
	s_add_i32 s9, s8, s14
	s_lshl_b32 s9, s9, 2
	v_add_lshl_u32 v43, s8, v0, 2
	s_add_i32 s8, s15, 36
	v_mov_b32_e32 v12, s9
	s_add_i32 s9, s8, s14
	s_lshl_b32 s9, s9, 2
	ds_read2_b32 v[28:29], v23 offset1:52
	ds_read_b64 v[30:31], v11
	ds_read_b96 v[20:22], v12
	v_mov_b32_e32 v11, s9
	s_add_i32 s9, s15, 60
	s_add_i32 s17, s9, s14
	s_lshl_b32 s17, s17, 2
	v_mov_b32_e32 v19, s17
	ds_read_b128 v[12:15], v11
	ds_read_b96 v[24:26], v19
	s_add_i32 s16, s16, s14
	s_lshl_b32 s16, s16, 2
	v_mov_b32_e32 v44, s16
	ds_read_b96 v[16:18], v44
	ds_read2_b32 v[34:35], v19 offset0:3 offset1:4
	s_waitcnt lgkmcnt(3)
	v_mov_b32_e32 v33, v14
	v_add_lshl_u32 v14, s8, v0, 2
	s_add_i32 s8, s15, 48
	v_mul_f32_e32 v36, v8, v28
	s_or_b32 s16, s8, s14
	v_add_lshl_u32 v28, s8, v0, 2
	s_add_i32 s8, s15, 0x48
	s_waitcnt lgkmcnt(2)
	v_mov_b32_e32 v38, v25
	v_add_lshl_u32 v25, s9, v0, 2
	s_add_i32 s9, s8, s14
	s_lshl_b32 s9, s9, 2
	v_mov_b32_e32 v32, v13
	s_waitcnt lgkmcnt(1)
	v_fma_f32 v13, -v36, v16, v7
	v_mov_b32_e32 v7, s9
	v_mov_b32_e32 v40, v17
	;; [unrolled: 1-line block ×3, first 2 shown]
	ds_read_b128 v[16:19], v7
	v_fma_f32 v8, -v36, v30, v9
	v_mul_f32_e32 v37, v8, v31
	ds_read_b64 v[30:31], v7 offset:16
	s_lshl_b32 s16, s16, 2
	s_waitcnt lgkmcnt(1)
	v_pk_mul_f32 v[16:17], v[36:37], v[16:17]
	v_sub_f32_e32 v16, v6, v16
	v_mov_b32_e32 v6, s16
	ds_read_b128 v[6:9], v6
	v_add_u32_e32 v10, 0x240, v10
	ds_write_b32 v10, v36
	v_pk_mul_f32 v[10:11], v[36:37], v[20:21]
	v_sub_f32_e32 v10, v2, v10
	v_fma_f32 v12, -v36, v12, v3
	s_waitcnt lgkmcnt(1)
	v_pk_mul_f32 v[2:3], v[36:37], v[6:7]
	v_sub_f32_e32 v2, v4, v2
	v_sub_f32_e32 v4, v10, v11
	v_fma_f32 v20, -v36, v24, v5
	v_mul_f32_e32 v5, v4, v22
	v_mov_b32_e32 v4, v37
	v_pk_mul_f32 v[6:7], v[4:5], v[32:33]
	v_sub_f32_e32 v6, v12, v6
	v_sub_f32_e32 v6, v6, v7
	v_mov_b32_e32 v39, v26
	v_mul_f32_e32 v7, v6, v15
	v_mov_b32_e32 v6, v5
	v_sub_f32_e32 v10, v2, v3
	v_pk_mul_f32 v[2:3], v[4:5], v[38:39]
	ds_write_b32 v43, v5 offset:576
	v_pk_mul_f32 v[8:9], v[6:7], v[8:9]
	v_pk_mul_f32 v[4:5], v[4:5], v[40:41]
	v_sub_f32_e32 v8, v10, v8
	v_sub_f32_e32 v4, v13, v4
	ds_read2_b32 v[26:27], v23 offset0:65 offset1:78
	v_sub_f32_e32 v12, v4, v5
	v_sub_f32_e32 v4, v8, v9
	;; [unrolled: 1-line block ×3, first 2 shown]
	v_mul_f32_e32 v5, v4, v29
	v_mov_b32_e32 v4, v7
	ds_write_b32 v42, v37 offset:576
	v_sub_f32_e32 v11, v16, v17
	v_sub_f32_e32 v10, v2, v3
	v_pk_mul_f32 v[2:3], v[6:7], v[18:19]
	ds_write_b32 v14, v7 offset:576
	v_pk_mul_f32 v[6:7], v[4:5], v[34:35]
	v_sub_f32_e32 v2, v11, v2
	v_sub_f32_e32 v6, v10, v6
	;; [unrolled: 1-line block ×4, first 2 shown]
	ds_read2_b32 v[6:7], v44 offset0:3 offset1:4
	s_waitcnt lgkmcnt(3)
	v_mul_f32_e32 v3, v2, v26
	v_mov_b32_e32 v2, v5
	v_pk_mul_f32 v[8:9], v[2:3], v[30:31]
	v_sub_f32_e32 v2, v10, v8
	ds_read2_b32 v[10:11], v44 offset0:5 offset1:6
	ds_write_b32 v28, v5 offset:576
	s_waitcnt lgkmcnt(2)
	v_pk_mul_f32 v[4:5], v[4:5], v[6:7]
	v_sub_f32_e32 v4, v12, v4
	v_sub_f32_e32 v2, v2, v9
	ds_read_b32 v7, v23 offset:364
	v_sub_f32_e32 v6, v4, v5
	v_mul_f32_e32 v5, v2, v27
	v_mov_b32_e32 v4, v3
	ds_write_b32 v25, v3 offset:576
	s_waitcnt lgkmcnt(3)
	v_pk_mul_f32 v[2:3], v[4:5], v[10:11]
	v_sub_f32_e32 v2, v6, v2
	v_sub_f32_e32 v2, v2, v3
	v_add_lshl_u32 v45, s8, v0, 2
	s_waitcnt lgkmcnt(1)
	v_mul_f32_e32 v2, v2, v7
	s_add_i32 s14, s14, 8
	ds_write_b32 v45, v5 offset:576
	ds_write_b32 v1, v2 offset:576
.LBB11_36:
	s_cmp_ge_i32 s14, s24
	s_cbranch_scc1 .LBB11_47
; %bb.37:
	v_mov_b32_e32 v1, 0x240
	s_add_i32 s8, s14, -1
	s_mul_i32 s9, s14, 48
	v_lshl_or_b32 v4, v0, 2, v1
	s_mov_b32 s15, 0
	s_mov_b32 s16, s14
	s_branch .LBB11_39
.LBB11_38:                              ;   in Loop: Header=BB11_39 Depth=1
	s_mul_i32 s17, s14, 52
	v_mov_b32_e32 v3, s17
	ds_read_b32 v3, v3
	s_add_i32 s14, s14, 1
	s_add_i32 s15, s15, 1
	;; [unrolled: 1-line block ×3, first 2 shown]
	v_add_u16_e64 v5, s16, 1
	v_add_u32_e32 v1, 0x240, v1
	s_waitcnt lgkmcnt(0)
	v_mul_f32_e32 v2, v2, v3
	s_cmp_ge_i32 s14, s24
	v_readfirstlane_b32 s16, v5
	ds_write_b32 v1, v2
	s_cbranch_scc1 .LBB11_47
.LBB11_39:                              ; =>This Loop Header: Depth=1
                                        ;     Child Loop BB11_42 Depth 2
                                        ;     Child Loop BB11_46 Depth 2
	s_mul_i32 s17, s14, 12
	v_add_lshl_u32 v1, s17, v0, 2
	ds_read_b32 v2, v1 offset:576
	s_cmp_eq_u32 s14, 0
	s_cbranch_scc1 .LBB11_38
; %bb.40:                               ;   in Loop: Header=BB11_39 Depth=1
	s_add_i32 s17, s8, s15
	s_cmp_lt_u32 s17, 7
	s_cbranch_scc1 .LBB11_44
; %bb.41:                               ;   in Loop: Header=BB11_39 Depth=1
	s_and_b32 s17, s14, -8
	s_mov_b32 s21, 0
	v_mov_b32_e32 v3, v4
	s_mov_b32 s22, s9
.LBB11_42:                              ;   Parent Loop BB11_39 Depth=1
                                        ; =>  This Inner Loop Header: Depth=2
	v_mov_b32_e32 v5, s22
	ds_read2_b32 v[14:15], v3 offset1:12
	ds_read2_b32 v[16:17], v3 offset0:24 offset1:36
	ds_read2_b32 v[18:19], v3 offset0:48 offset1:60
	;; [unrolled: 1-line block ×3, first 2 shown]
	ds_read_b128 v[6:9], v5
	ds_read_b128 v[10:13], v5 offset:16
	s_add_i32 s21, s21, 8
	s_add_i32 s22, s22, 32
	v_add_u32_e32 v3, 0x180, v3
	s_waitcnt lgkmcnt(1)
	v_fma_f32 v2, -v14, v6, v2
	v_fma_f32 v2, -v15, v7, v2
	;; [unrolled: 1-line block ×4, first 2 shown]
	s_waitcnt lgkmcnt(0)
	v_fma_f32 v2, -v18, v10, v2
	v_fma_f32 v2, -v19, v11, v2
	;; [unrolled: 1-line block ×3, first 2 shown]
	s_cmp_lg_u32 s17, s21
	v_fma_f32 v2, -v21, v13, v2
	s_cbranch_scc1 .LBB11_42
; %bb.43:                               ;   in Loop: Header=BB11_39 Depth=1
	s_and_b32 s21, s14, 7
	s_cmp_eq_u32 s21, 0
	s_cbranch_scc0 .LBB11_45
	s_branch .LBB11_38
.LBB11_44:                              ;   in Loop: Header=BB11_39 Depth=1
	s_mov_b32 s17, 0
	s_and_b32 s21, s14, 7
	s_cmp_eq_u32 s21, 0
	s_cbranch_scc1 .LBB11_38
.LBB11_45:                              ;   in Loop: Header=BB11_39 Depth=1
	s_and_b32 s21, s16, 7
	s_lshl_b32 s22, s17, 2
	v_mad_u64_u32 v[6:7], s[26:27], s17, 48, v[4:5]
.LBB11_46:                              ;   Parent Loop BB11_39 Depth=1
                                        ; =>  This Inner Loop Header: Depth=2
	s_add_i32 s17, s9, s22
	v_mov_b32_e32 v5, s17
	ds_read_b32 v3, v6
	ds_read_b32 v5, v5
	s_add_i32 s22, s22, 4
	s_add_i32 s21, s21, -1
	v_add_u32_e32 v6, 48, v6
	s_cmp_lg_u32 s21, 0
	s_waitcnt lgkmcnt(0)
	v_fma_f32 v2, -v3, v5, v2
	s_cbranch_scc1 .LBB11_46
	s_branch .LBB11_38
.LBB11_47:
	s_mov_b64 s[8:9], 0
.LBB11_48:
	s_and_b64 vcc, exec, s[8:9]
	s_cbranch_vccz .LBB11_70
; %bb.49:
	s_add_i32 s8, s24, -1
	s_cmp_gt_i32 s10, 11
	s_cbranch_scc0 .LBB11_51
; %bb.50:
	s_mul_i32 s9, s8, 12
	s_mul_i32 s27, s24, 12
	v_add_lshl_u32 v1, s9, v0, 2
	s_sub_i32 s26, s27, 24
	s_sub_i32 s25, s27, 36
	;; [unrolled: 1-line block ×4, first 2 shown]
	s_add_i32 s21, s27, 0xffffffb8
	s_add_i32 s17, s27, 0xffffffac
	;; [unrolled: 1-line block ×7, first 2 shown]
	s_add_i32 s27, s27, -12
	v_add_lshl_u32 v26, s28, v0, 2
	s_add_i32 s28, s24, s27
	s_lshl_b32 s28, s28, 2
	s_add_i32 s28, s28, -8
	v_add_lshl_u32 v23, s15, v0, 2
	v_mov_b32_e32 v2, s28
	s_mul_i32 s28, s8, 52
	v_add_lshl_u32 v4, s26, v0, 2
	v_add_lshl_u32 v8, s25, v0, 2
	;; [unrolled: 1-line block ×7, first 2 shown]
	ds_read_b32 v1, v1 offset:576
	ds_read_b32 v5, v4 offset:576
	ds_read_b32 v9, v8 offset:576
	ds_read_b32 v11, v10 offset:576
	ds_read_b32 v12, v16 offset:576
	ds_read_b32 v20, v17 offset:576
	ds_read_b32 v21, v18 offset:576
	ds_read_b32 v22, v19 offset:576
	v_add_lshl_u32 v24, s14, v0, 2
	v_add_lshl_u32 v25, s9, v0, 2
	ds_read_b32 v27, v23 offset:576
	ds_read_b32 v28, v24 offset:576
	;; [unrolled: 1-line block ×4, first 2 shown]
	ds_read2_b32 v[2:3], v2 offset1:1
	s_sub_i32 s29, s28, 52
	v_mov_b32_e32 v6, s29
	ds_read_b32 v6, v6
	s_add_i32 s29, s24, -4
	s_waitcnt lgkmcnt(1)
	v_mul_f32_e32 v1, v1, v3
	s_add_i32 s30, s29, s27
	v_fma_f32 v2, -v1, v2, v5
	s_lshl_b32 s30, s30, 2
	s_waitcnt lgkmcnt(0)
	v_mul_f32_e32 v31, v2, v6
	v_mov_b32_e32 v2, s30
	s_add_i32 s30, s29, s26
	s_add_i32 s29, s29, s25
	v_add_lshl_u32 v3, s27, v0, 2
	s_lshl_b32 s30, s30, 2
	s_lshl_b32 s29, s29, 2
	ds_write_b32 v3, v1 offset:576
	ds_write_b32 v4, v31 offset:576
	v_mov_b32_e32 v4, s30
	v_mov_b32_e32 v6, s29
	s_add_i32 s29, s28, 0xffffff64
	ds_read2_b32 v[2:3], v2 offset1:1
	ds_read2_b32 v[4:5], v4 offset1:1
	;; [unrolled: 1-line block ×3, first 2 shown]
	v_mov_b32_e32 v13, s29
	ds_read_b32 v13, v13
	s_waitcnt lgkmcnt(3)
	v_fma_f32 v3, -v1, v3, v9
	s_waitcnt lgkmcnt(2)
	v_fma_f32 v3, -v31, v5, v3
	v_fma_f32 v2, -v1, v2, v11
	s_add_i32 s29, s24, -6
	s_waitcnt lgkmcnt(1)
	v_mul_f32_e32 v32, v3, v7
	v_fma_f32 v2, -v31, v4, v2
	s_add_i32 s30, s29, s27
	v_fma_f32 v2, -v32, v6, v2
	s_lshl_b32 s30, s30, 2
	s_waitcnt lgkmcnt(0)
	v_mul_f32_e32 v33, v2, v13
	v_mov_b32_e32 v2, s30
	s_add_i32 s30, s29, s26
	s_lshl_b32 s30, s30, 2
	v_mov_b32_e32 v4, s30
	s_add_i32 s30, s29, s25
	s_lshl_b32 s30, s30, 2
	;; [unrolled: 3-line block ×3, first 2 shown]
	ds_write_b32 v8, v32 offset:576
	v_mov_b32_e32 v8, s30
	ds_read2_b32 v[2:3], v2 offset1:1
	ds_read2_b32 v[4:5], v4 offset1:1
	;; [unrolled: 1-line block ×4, first 2 shown]
	s_add_i32 s29, s29, s22
	s_waitcnt lgkmcnt(3)
	v_fma_f32 v3, -v1, v3, v12
	s_lshl_b32 s29, s29, 2
	s_waitcnt lgkmcnt(2)
	v_fma_f32 v3, -v31, v5, v3
	v_mov_b32_e32 v5, s29
	s_add_i32 s29, s28, 0xfffffefc
	s_waitcnt lgkmcnt(1)
	v_fma_f32 v3, -v32, v7, v3
	v_mov_b32_e32 v7, s29
	s_add_i32 s29, s24, -8
	s_add_i32 s30, s29, s27
	ds_write_b32 v10, v33 offset:576
	s_lshl_b32 s30, s30, 2
	ds_read2_b32 v[10:11], v5 offset1:1
	s_waitcnt lgkmcnt(2)
	v_fma_f32 v3, -v33, v9, v3
	v_mov_b32_e32 v9, s30
	s_add_i32 s30, s29, s26
	s_lshl_b32 s30, s30, 2
	v_fma_f32 v2, -v1, v2, v20
	v_mov_b32_e32 v5, s30
	ds_read_b32 v7, v7
	ds_read2_b32 v[12:13], v9 offset1:1
	ds_read2_b32 v[14:15], v5 offset1:1
	v_fma_f32 v2, -v31, v4, v2
	v_fma_f32 v2, -v32, v6, v2
	s_waitcnt lgkmcnt(3)
	v_mul_f32_e32 v34, v3, v11
	v_fma_f32 v2, -v33, v8, v2
	v_fma_f32 v2, -v34, v10, v2
	s_add_i32 s30, s29, s25
	s_waitcnt lgkmcnt(2)
	v_mul_f32_e32 v35, v2, v7
	s_waitcnt lgkmcnt(1)
	v_fma_f32 v2, -v1, v13, v21
	s_lshl_b32 s30, s30, 2
	s_waitcnt lgkmcnt(0)
	v_fma_f32 v10, -v31, v15, v2
	v_mov_b32_e32 v2, s30
	s_add_i32 s30, s29, s23
	s_lshl_b32 s30, s30, 2
	v_mov_b32_e32 v4, s30
	s_add_i32 s30, s29, s22
	s_lshl_b32 s30, s30, 2
	v_mov_b32_e32 v6, s30
	s_add_i32 s30, s29, s21
	s_lshl_b32 s30, s30, 2
	ds_write_b32 v16, v34 offset:576
	ds_write_b32 v17, v35 offset:576
	v_mov_b32_e32 v8, s30
	s_add_i32 s30, s28, 0xfffffec8
	ds_read2_b32 v[2:3], v2 offset1:1
	ds_read2_b32 v[4:5], v4 offset1:1
	;; [unrolled: 1-line block ×4, first 2 shown]
	v_mov_b32_e32 v11, s30
	ds_read_b32 v11, v11
	s_waitcnt lgkmcnt(4)
	v_fma_f32 v3, -v32, v3, v10
	s_waitcnt lgkmcnt(3)
	v_fma_f32 v3, -v33, v5, v3
	;; [unrolled: 2-line block ×4, first 2 shown]
	s_waitcnt lgkmcnt(0)
	v_mul_f32_e32 v36, v3, v11
	v_fma_f32 v3, -v1, v12, v22
	s_add_i32 s29, s29, s17
	v_fma_f32 v3, -v31, v14, v3
	s_lshl_b32 s29, s29, 2
	v_fma_f32 v2, -v32, v2, v3
	v_mov_b32_e32 v3, s29
	s_add_i32 s29, s28, 0xfffffe94
	ds_read_b32 v3, v3
	v_mov_b32_e32 v5, s29
	ds_read_b32 v5, v5
	v_fma_f32 v2, -v33, v4, v2
	v_fma_f32 v2, -v34, v6, v2
	s_add_i32 s29, s24, -10
	v_fma_f32 v2, -v35, v8, v2
	s_add_i32 s30, s29, s27
	s_waitcnt lgkmcnt(1)
	v_fma_f32 v2, -v36, v3, v2
	s_lshl_b32 s30, s30, 2
	s_waitcnt lgkmcnt(0)
	v_mul_f32_e32 v37, v2, v5
	v_mov_b32_e32 v2, s30
	s_add_i32 s30, s29, s26
	s_lshl_b32 s30, s30, 2
	v_mov_b32_e32 v4, s30
	s_add_i32 s30, s29, s25
	s_lshl_b32 s30, s30, 2
	;; [unrolled: 3-line block ×3, first 2 shown]
	ds_write_b32 v18, v36 offset:576
	v_mov_b32_e32 v8, s30
	ds_read2_b32 v[2:3], v2 offset1:1
	ds_read2_b32 v[4:5], v4 offset1:1
	;; [unrolled: 1-line block ×4, first 2 shown]
	s_add_i32 s30, s29, s22
	s_waitcnt lgkmcnt(3)
	v_fma_f32 v3, -v1, v3, v27
	s_lshl_b32 s30, s30, 2
	s_waitcnt lgkmcnt(2)
	v_fma_f32 v3, -v31, v5, v3
	v_mov_b32_e32 v5, s30
	s_add_i32 s30, s29, s21
	s_lshl_b32 s30, s30, 2
	s_waitcnt lgkmcnt(1)
	v_fma_f32 v3, -v32, v7, v3
	v_mov_b32_e32 v7, s30
	s_add_i32 s30, s29, s17
	;; [unrolled: 5-line block ×3, first 2 shown]
	s_lshl_b32 s30, s30, 2
	ds_write_b32 v19, v37 offset:576
	v_mov_b32_e32 v16, s30
	s_add_i32 s30, s28, 0xfffffe60
	ds_read2_b32 v[10:11], v5 offset1:1
	ds_read2_b32 v[12:13], v7 offset1:1
	;; [unrolled: 1-line block ×4, first 2 shown]
	v_mov_b32_e32 v5, s30
	ds_read_b32 v5, v5
	s_waitcnt lgkmcnt(4)
	v_fma_f32 v3, -v34, v11, v3
	s_waitcnt lgkmcnt(3)
	v_fma_f32 v3, -v35, v13, v3
	;; [unrolled: 2-line block ×3, first 2 shown]
	v_fma_f32 v2, -v1, v2, v28
	s_add_i32 s29, s29, s15
	s_waitcnt lgkmcnt(1)
	v_fma_f32 v3, -v37, v17, v3
	v_fma_f32 v2, -v31, v4, v2
	s_lshl_b32 s29, s29, 2
	s_waitcnt lgkmcnt(0)
	v_mul_f32_e32 v27, v3, v5
	v_fma_f32 v2, -v32, v6, v2
	v_mov_b32_e32 v3, s29
	s_addk_i32 s28, 0xfe2c
	v_fma_f32 v2, -v33, v8, v2
	ds_read_b32 v3, v3
	v_mov_b32_e32 v4, s28
	v_fma_f32 v2, -v34, v10, v2
	ds_read_b32 v4, v4
	v_fma_f32 v2, -v35, v12, v2
	v_fma_f32 v2, -v36, v14, v2
	;; [unrolled: 1-line block ×3, first 2 shown]
	s_add_i32 s28, s24, -12
	s_waitcnt lgkmcnt(1)
	v_fma_f32 v2, -v27, v3, v2
	s_add_i32 s27, s28, s27
	s_add_i32 s26, s28, s26
	;; [unrolled: 1-line block ×3, first 2 shown]
	s_waitcnt lgkmcnt(0)
	v_mul_f32_e32 v28, v2, v4
	s_lshl_b32 s27, s27, 2
	s_lshl_b32 s26, s26, 2
	;; [unrolled: 1-line block ×3, first 2 shown]
	s_add_i32 s23, s28, s23
	ds_write_b32 v23, v27 offset:576
	ds_write_b32 v24, v28 offset:576
	v_mov_b32_e32 v2, s27
	v_mov_b32_e32 v4, s26
	;; [unrolled: 1-line block ×3, first 2 shown]
	s_lshl_b32 s23, s23, 2
	ds_read2_b32 v[2:3], v2 offset1:1
	ds_read2_b32 v[4:5], v4 offset1:1
	;; [unrolled: 1-line block ×3, first 2 shown]
	v_mov_b32_e32 v8, s23
	ds_read2_b32 v[8:9], v8 offset1:1
	s_add_i32 s22, s28, s22
	s_add_i32 s17, s28, s17
	;; [unrolled: 1-line block ×3, first 2 shown]
	s_waitcnt lgkmcnt(3)
	v_fma_f32 v3, -v1, v3, v29
	s_lshl_b32 s22, s22, 2
	s_add_i32 s21, s28, s21
	s_lshl_b32 s17, s17, 2
	s_lshl_b32 s16, s16, 2
	s_waitcnt lgkmcnt(2)
	v_fma_f32 v3, -v31, v5, v3
	v_mov_b32_e32 v5, s22
	s_lshl_b32 s21, s21, 2
	v_mov_b32_e32 v14, s17
	v_mov_b32_e32 v16, s16
	v_fma_f32 v1, -v1, v2, v30
	s_waitcnt lgkmcnt(1)
	v_fma_f32 v3, -v32, v7, v3
	v_mov_b32_e32 v7, s21
	ds_read2_b32 v[10:11], v5 offset1:1
	ds_read2_b32 v[12:13], v7 offset1:1
	;; [unrolled: 1-line block ×4, first 2 shown]
	s_add_i32 s15, s28, s15
	v_fma_f32 v1, -v31, v4, v1
	s_waitcnt lgkmcnt(4)
	v_fma_f32 v3, -v33, v9, v3
	s_lshl_b32 s15, s15, 2
	s_add_i32 s14, s28, s14
	s_add_i32 s9, s28, s9
	v_fma_f32 v1, -v32, v6, v1
	s_waitcnt lgkmcnt(3)
	v_fma_f32 v3, -v34, v11, v3
	v_mov_b32_e32 v5, s15
	s_lshl_b32 s14, s14, 2
	s_lshl_b32 s9, s9, 2
	v_fma_f32 v1, -v33, v8, v1
	s_waitcnt lgkmcnt(2)
	v_fma_f32 v3, -v35, v13, v3
	v_mov_b32_e32 v7, s14
	v_mov_b32_e32 v9, s9
	s_mul_i32 s9, s28, 52
	ds_read2_b32 v[18:19], v5 offset1:1
	ds_read2_b32 v[20:21], v7 offset1:1
	;; [unrolled: 1-line block ×3, first 2 shown]
	v_fma_f32 v1, -v34, v10, v1
	s_waitcnt lgkmcnt(4)
	v_fma_f32 v3, -v36, v15, v3
	v_mov_b32_e32 v5, s9
	v_fma_f32 v1, -v35, v12, v1
	s_waitcnt lgkmcnt(3)
	v_fma_f32 v3, -v37, v17, v3
	ds_read_b32 v5, v5
	v_fma_f32 v1, -v36, v14, v1
	s_waitcnt lgkmcnt(3)
	v_fma_f32 v3, -v27, v19, v3
	v_fma_f32 v1, -v37, v16, v1
	s_waitcnt lgkmcnt(2)
	v_fma_f32 v3, -v28, v21, v3
	v_fma_f32 v1, -v27, v18, v1
	s_waitcnt lgkmcnt(1)
	v_mul_f32_e32 v3, v3, v23
	v_fma_f32 v1, -v28, v20, v1
	v_fma_f32 v1, -v3, v22, v1
	s_waitcnt lgkmcnt(0)
	v_mul_f32_e32 v1, v1, v5
	s_add_i32 s9, s24, -13
	ds_write_b32 v25, v3 offset:576
	ds_write_b32 v26, v1 offset:576
	s_cmp_gt_i32 s9, -1
	s_cbranch_scc1 .LBB11_52
	s_branch .LBB11_70
.LBB11_51:
	s_mov_b32 s9, s8
	s_cmp_gt_i32 s9, -1
	s_cbranch_scc0 .LBB11_70
.LBB11_52:
	s_cmp_lt_u32 s9, 7
	s_cbranch_scc1 .LBB11_57
; %bb.53:
	s_mul_i32 s15, s9, 12
	v_add_lshl_u32 v1, s15, v0, 2
	s_add_i32 s14, s15, -12
	v_add_lshl_u32 v10, s14, v0, 2
	ds_read2_b32 v[2:3], v1 offset0:108 offset1:120
	ds_read2_b32 v[12:13], v1 offset0:84 offset1:96
	ds_read_b32 v8, v1 offset:576
	ds_read_b32 v9, v10 offset:576
	ds_read2_b32 v[14:15], v1 offset0:60 offset1:72
	s_waitcnt lgkmcnt(4)
	v_mov_b32_e32 v6, v3
	v_mov_b32_e32 v7, v2
	s_waitcnt lgkmcnt(3)
	v_mov_b32_e32 v4, v13
	v_mov_b32_e32 v5, v12
	s_waitcnt lgkmcnt(0)
	v_mov_b32_e32 v3, v14
	s_cmp_le_i32 s8, s9
	v_mov_b32_e32 v2, v15
	s_cbranch_scc1 .LBB11_56
; %bb.54:
	s_mul_i32 s17, s24, 48
	s_lshl_b32 s16, s9, 2
	s_add_i32 s16, s17, s16
	v_lshl_add_u32 v11, v0, 2, s17
	s_addk_i32 s16, 0xffb4
	v_add_u32_e32 v11, 0x210, v11
	s_mov_b32 s17, s8
.LBB11_55:                              ; =>This Inner Loop Header: Depth=1
	v_mov_b32_e32 v13, s16
	ds_read_b32 v12, v11
	ds_read2_b32 v[14:15], v13 offset0:6 offset1:7
	ds_read2_b32 v[16:17], v13 offset0:4 offset1:5
	;; [unrolled: 1-line block ×3, first 2 shown]
	ds_read2_b32 v[20:21], v13 offset1:1
	s_add_i32 s17, s17, -1
	s_sub_i32 s16, s16, 48
	v_subrev_u32_e32 v11, 48, v11
	s_waitcnt lgkmcnt(3)
	v_pk_mul_f32 v[14:15], v[12:13], v[14:15] op_sel_hi:[0,1]
	s_waitcnt lgkmcnt(2)
	v_pk_mul_f32 v[16:17], v[12:13], v[16:17] op_sel_hi:[0,1]
	;; [unrolled: 2-line block ×4, first 2 shown]
	s_cmp_gt_i32 s17, s9
	v_pk_add_f32 v[8:9], v[8:9], v[14:15] op_sel:[0,1] op_sel_hi:[1,0] neg_lo:[0,1] neg_hi:[0,1]
	v_pk_add_f32 v[6:7], v[6:7], v[16:17] op_sel:[0,1] op_sel_hi:[1,0] neg_lo:[0,1] neg_hi:[0,1]
	;; [unrolled: 1-line block ×4, first 2 shown]
	s_cbranch_scc1 .LBB11_55
.LBB11_56:
	s_mul_i32 s16, s9, 52
	s_add_i32 s17, s16, -4
	v_add_u32_e32 v11, 0x240, v1
	v_add_u32_e32 v1, 0x240, v10
	v_mov_b32_e32 v10, s17
	s_sub_i32 s17, s16, 52
	v_mov_b32_e32 v14, s17
	s_add_i32 s17, s9, -3
	s_add_i32 s21, s17, s15
	ds_read2_b32 v[12:13], v10 offset1:1
	s_lshl_b32 s21, s21, 2
	v_mov_b32_e32 v15, s21
	s_add_i32 s21, s17, s14
	s_lshl_b32 s21, s21, 2
	v_mov_b32_e32 v10, s21
	ds_read_b32 v18, v14
	ds_read2_b32 v[14:15], v15 offset1:1
	ds_read2_b32 v[16:17], v10 offset1:1
	s_waitcnt lgkmcnt(3)
	v_mul_f32_e32 v19, v8, v13
	s_add_i32 s21, s14, -12
	v_fma_f32 v8, -v19, v12, v9
	s_add_i32 s17, s17, s21
	s_waitcnt lgkmcnt(2)
	v_mul_f32_e32 v18, v8, v18
	s_lshl_b32 s17, s17, 2
	ds_write_b32 v1, v18
	s_waitcnt lgkmcnt(2)
	v_fma_f32 v1, -v19, v15, v6
	v_mov_b32_e32 v6, s17
	s_add_i32 s17, s16, 0xffffff64
	v_mov_b32_e32 v10, s17
	s_add_i32 s17, s9, -5
	s_add_i32 s22, s17, s15
	ds_read2_b32 v[8:9], v6 offset1:1
	s_lshl_b32 s22, s22, 2
	ds_write_b32 v11, v19
	v_mov_b32_e32 v11, s22
	s_add_i32 s22, s17, s14
	s_lshl_b32 s22, s22, 2
	s_waitcnt lgkmcnt(3)
	v_fma_f32 v1, -v18, v17, v1
	v_mov_b32_e32 v6, s22
	ds_read_b32 v15, v10
	ds_read2_b32 v[10:11], v11 offset1:1
	ds_read2_b32 v[12:13], v6 offset1:1
	s_waitcnt lgkmcnt(4)
	v_mul_f32_e32 v1, v1, v9
	v_add_lshl_u32 v6, s21, v0, 2
	ds_write_b32 v6, v1 offset:576
	v_fma_f32 v6, -v19, v14, v7
	v_fma_f32 v6, -v18, v16, v6
	;; [unrolled: 1-line block ×3, first 2 shown]
	s_sub_i32 s22, s14, 24
	s_add_i32 s23, s17, s21
	s_waitcnt lgkmcnt(3)
	v_mul_f32_e32 v16, v6, v15
	v_add_lshl_u32 v6, s22, v0, 2
	s_lshl_b32 s23, s23, 2
	ds_write_b32 v6, v16 offset:576
	v_mov_b32_e32 v6, s23
	s_add_i32 s23, s17, s22
	s_lshl_b32 s23, s23, 2
	v_mov_b32_e32 v8, s23
	s_sub_i32 s23, s14, 36
	s_add_i32 s17, s17, s23
	s_lshl_b32 s17, s17, 2
	s_waitcnt lgkmcnt(3)
	v_fma_f32 v4, -v19, v11, v4
	v_mov_b32_e32 v11, s17
	ds_read2_b32 v[6:7], v6 offset1:1
	ds_read2_b32 v[8:9], v8 offset1:1
	;; [unrolled: 1-line block ×3, first 2 shown]
	s_waitcnt lgkmcnt(5)
	v_fma_f32 v4, -v18, v13, v4
	s_add_i32 s17, s16, 0xfffffefc
	s_waitcnt lgkmcnt(2)
	v_fma_f32 v4, -v1, v7, v4
	s_waitcnt lgkmcnt(1)
	v_fma_f32 v4, -v16, v9, v4
	v_mov_b32_e32 v11, s17
	s_waitcnt lgkmcnt(0)
	v_mul_f32_e32 v17, v4, v15
	v_add_lshl_u32 v4, s23, v0, 2
	ds_read_b32 v11, v11
	ds_write_b32 v4, v17 offset:576
	v_fma_f32 v4, -v19, v10, v5
	v_fma_f32 v4, -v18, v12, v4
	;; [unrolled: 1-line block ×4, first 2 shown]
	s_add_i32 s25, s9, -7
	v_fma_f32 v4, -v17, v14, v4
	s_sub_i32 s17, s14, 48
	s_add_i32 s15, s25, s15
	s_waitcnt lgkmcnt(1)
	v_mul_f32_e32 v20, v4, v11
	v_add_lshl_u32 v4, s17, v0, 2
	s_lshl_b32 s15, s15, 2
	ds_write_b32 v4, v20 offset:576
	v_mov_b32_e32 v4, s15
	s_add_i32 s15, s25, s14
	s_lshl_b32 s15, s15, 2
	v_mov_b32_e32 v6, s15
	s_add_i32 s15, s25, s21
	s_lshl_b32 s15, s15, 2
	v_mov_b32_e32 v8, s15
	s_add_i32 s15, s25, s22
	s_lshl_b32 s15, s15, 2
	ds_read2_b32 v[4:5], v4 offset1:1
	ds_read2_b32 v[6:7], v6 offset1:1
	;; [unrolled: 1-line block ×3, first 2 shown]
	v_mov_b32_e32 v10, s15
	s_add_i32 s15, s25, s23
	s_lshl_b32 s15, s15, 2
	s_waitcnt lgkmcnt(2)
	v_fma_f32 v2, -v19, v5, v2
	v_mov_b32_e32 v5, s15
	s_add_i32 s15, s25, s17
	ds_read2_b32 v[10:11], v10 offset1:1
	s_lshl_b32 s15, s15, 2
	s_waitcnt lgkmcnt(2)
	v_fma_f32 v2, -v18, v7, v2
	v_mov_b32_e32 v7, s15
	s_add_i32 s15, s16, 0xfffffec8
	ds_read2_b32 v[12:13], v5 offset1:1
	ds_read2_b32 v[14:15], v7 offset1:1
	v_mov_b32_e32 v5, s15
	ds_read_b32 v5, v5
	s_waitcnt lgkmcnt(4)
	v_fma_f32 v2, -v1, v9, v2
	s_waitcnt lgkmcnt(3)
	v_fma_f32 v2, -v16, v11, v2
	;; [unrolled: 2-line block ×3, first 2 shown]
	s_sub_i32 s14, s14, 60
	s_waitcnt lgkmcnt(1)
	v_fma_f32 v2, -v20, v15, v2
	v_fma_f32 v3, -v19, v4, v3
	s_add_i32 s25, s25, s14
	s_waitcnt lgkmcnt(0)
	v_mul_f32_e32 v2, v2, v5
	v_add_lshl_u32 v5, s14, v0, 2
	v_fma_f32 v3, -v18, v6, v3
	s_lshl_b32 s14, s25, 2
	v_fma_f32 v1, -v1, v8, v3
	v_mov_b32_e32 v3, s14
	s_add_i32 s14, s16, 0xfffffe94
	ds_read_b32 v3, v3
	v_mov_b32_e32 v4, s14
	ds_read_b32 v4, v4
	v_fma_f32 v1, -v16, v10, v1
	v_fma_f32 v1, -v17, v12, v1
	v_fma_f32 v1, -v20, v14, v1
	s_waitcnt lgkmcnt(1)
	v_fma_f32 v1, -v2, v3, v1
	s_waitcnt lgkmcnt(0)
	v_mul_f32_e32 v1, v1, v4
	s_add_i32 s9, s9, -8
	ds_write2_b32 v5, v1, v2 offset0:132 offset1:144
.LBB11_57:
	s_cmp_lt_i32 s9, 0
	s_cbranch_scc1 .LBB11_70
; %bb.58:
	s_bitcmp1_b32 s9, 0
	s_cselect_b64 s[14:15], -1, 0
	s_and_b64 vcc, exec, s[14:15]
	s_mov_b32 s14, s9
	s_cbranch_vccnz .LBB11_63
; %bb.59:
	s_mul_i32 s14, s9, 12
	v_add_lshl_u32 v1, s14, v0, 2
	ds_read_b32 v2, v1 offset:576
	s_cmp_le_i32 s8, s9
	s_cbranch_scc1 .LBB11_62
; %bb.60:
	s_mul_i32 s15, s24, 48
	s_lshl_b32 s14, s9, 2
	s_add_i32 s14, s15, s14
	v_lshl_add_u32 v3, v0, 2, s15
	s_sub_i32 s14, s14, 48
	v_add_u32_e32 v3, 0x210, v3
	s_mov_b32 s15, s8
.LBB11_61:                              ; =>This Inner Loop Header: Depth=1
	v_mov_b32_e32 v5, s14
	ds_read_b32 v4, v3
	ds_read_b32 v5, v5
	s_add_i32 s15, s15, -1
	s_sub_i32 s14, s14, 48
	v_subrev_u32_e32 v3, 48, v3
	s_cmp_gt_i32 s15, s9
	s_waitcnt lgkmcnt(0)
	v_fma_f32 v2, -v4, v5, v2
	s_cbranch_scc1 .LBB11_61
.LBB11_62:
	s_mul_i32 s14, s9, 52
	v_mov_b32_e32 v3, s14
	ds_read_b32 v3, v3
	v_add_u32_e32 v1, 0x240, v1
	s_add_i32 s14, s9, -1
	s_waitcnt lgkmcnt(0)
	v_mul_f32_e32 v2, v2, v3
	ds_write_b32 v1, v2
.LBB11_63:
	s_cmp_eq_u32 s9, 0
	s_cbranch_scc1 .LBB11_70
; %bb.64:
	s_mul_i32 s15, s24, 48
	s_lshl_b32 s9, s14, 2
	s_add_i32 s16, s15, s9
	v_lshl_add_u32 v1, v0, 2, s15
	s_sub_i32 s9, s16, 48
	v_add_u32_e32 v1, 0x210, v1
	s_sub_i32 s15, s16, 52
	s_branch .LBB11_66
.LBB11_65:                              ;   in Loop: Header=BB11_66 Depth=1
	s_sub_i32 s16, s16, 52
	v_mov_b32_e32 v2, s16
	ds_read_b32 v2, v2
	s_add_i32 s16, s14, -2
	s_add_i32 s9, s9, -8
	;; [unrolled: 1-line block ×3, first 2 shown]
	s_cmp_lt_i32 s14, 2
	s_waitcnt lgkmcnt(0)
	v_mul_f32_e32 v2, v4, v2
	s_mov_b32 s14, s16
	ds_write_b32 v3, v2
	s_cbranch_scc1 .LBB11_70
.LBB11_66:                              ; =>This Loop Header: Depth=1
                                        ;     Child Loop BB11_67 Depth 2
                                        ;     Child Loop BB11_69 Depth 2
	s_mul_i32 s16, s14, 12
	v_add_lshl_u32 v3, s16, v0, 2
	ds_read_b32 v2, v3 offset:576
	s_cmp_le_i32 s8, s14
	v_mov_b32_e32 v4, v1
	s_mov_b32 s16, s9
	s_mov_b32 s17, s8
	s_cbranch_scc1 .LBB11_68
.LBB11_67:                              ;   Parent Loop BB11_66 Depth=1
                                        ; =>  This Inner Loop Header: Depth=2
	v_mov_b32_e32 v6, s16
	ds_read_b32 v5, v4
	ds_read_b32 v6, v6
	s_add_i32 s17, s17, -1
	s_sub_i32 s16, s16, 48
	v_subrev_u32_e32 v4, 48, v4
	s_cmp_gt_i32 s17, s14
	s_waitcnt lgkmcnt(0)
	v_fma_f32 v2, -v5, v6, v2
	s_cbranch_scc1 .LBB11_67
.LBB11_68:                              ;   in Loop: Header=BB11_66 Depth=1
	s_mul_i32 s16, s14, 52
	v_add_u32_e32 v6, 0x240, v3
	v_mov_b32_e32 v3, s16
	ds_read_b32 v7, v3
	v_subrev_u32_e32 v3, 48, v6
	ds_read_b32 v4, v3
	s_cmp_lt_i32 s8, s14
	v_mov_b32_e32 v5, v1
	s_waitcnt lgkmcnt(1)
	v_mul_f32_e32 v2, v2, v7
	s_mov_b32 s17, s15
	s_mov_b32 s21, s24
	ds_write_b32 v6, v2
	s_cbranch_scc1 .LBB11_65
.LBB11_69:                              ;   Parent Loop BB11_66 Depth=1
                                        ; =>  This Inner Loop Header: Depth=2
	v_mov_b32_e32 v6, s17
	ds_read_b32 v2, v5
	ds_read_b32 v6, v6
	s_add_i32 s21, s21, -1
	s_sub_i32 s17, s17, 48
	v_subrev_u32_e32 v5, 48, v5
	s_cmp_gt_i32 s21, s14
	s_waitcnt lgkmcnt(0)
	v_fma_f32 v4, -v2, v6, v4
	s_cbranch_scc1 .LBB11_69
	s_branch .LBB11_65
.LBB11_70:
	s_waitcnt lgkmcnt(0)
	; wave barrier
	s_waitcnt lgkmcnt(0)
	s_and_saveexec_b64 s[8:9], s[12:13]
	s_cbranch_execz .LBB11_78
; %bb.71:
	s_cmp_lt_i32 s10, 8
	s_mov_b32 s9, 0
	s_cbranch_scc1 .LBB11_75
; %bb.72:
	v_mad_i64_i32 v[2:3], s[8:9], s18, v0, 0
	v_lshlrev_b64 v[2:3], 2, v[2:3]
	v_mov_b32_e32 v4, s20
	v_add_co_u32_e32 v1, vcc, s11, v2
	v_addc_co_u32_e32 v2, vcc, v4, v3, vcc
	v_mov_b32_e32 v3, 0x240
	s_lshl_b32 s8, s24, 2
	v_lshl_or_b32 v3, v0, 2, v3
	s_and_b32 s10, s8, 32
	s_mov_b64 s[8:9], 0
.LBB11_73:                              ; =>This Inner Loop Header: Depth=1
	ds_read2_b32 v[4:5], v3 offset1:12
	ds_read2_b32 v[6:7], v3 offset0:24 offset1:36
	ds_read2_b32 v[8:9], v3 offset0:48 offset1:60
	ds_read2_b32 v[10:11], v3 offset0:72 offset1:84
	v_add_co_u32_e32 v12, vcc, s8, v1
	s_add_u32 s8, s8, 32
	v_mov_b32_e32 v13, s9
	s_addc_u32 s9, s9, 0
	v_add_u32_e32 v3, 0x180, v3
	v_addc_co_u32_e32 v13, vcc, v2, v13, vcc
	s_cmp_lg_u32 s10, s8
	s_waitcnt lgkmcnt(2)
	global_store_dwordx4 v[12:13], v[4:7], off
	s_waitcnt lgkmcnt(0)
	global_store_dwordx4 v[12:13], v[8:11], off offset:16
	s_cbranch_scc1 .LBB11_73
; %bb.74:
	s_mov_b32 s9, 8
.LBB11_75:
	s_and_b32 s8, s24, 7
	s_cmp_eq_u32 s8, 0
	s_cbranch_scc1 .LBB11_78
; %bb.76:
	s_lshl_b64 s[6:7], s[6:7], 2
	v_lshlrev_b32_e32 v1, 2, v0
	v_add_co_u32_e32 v1, vcc, s6, v1
	s_lshl_b32 s6, s9, 2
	s_add_u32 s2, s2, s6
	s_addc_u32 s3, s3, 0
	s_add_u32 s2, s2, s4
	s_addc_u32 s3, s3, s5
	s_add_u32 s0, s2, s0
	v_mov_b32_e32 v2, s7
	s_addc_u32 s1, s3, s1
	v_addc_co_u32_e32 v4, vcc, 0, v2, vcc
	v_pk_mov_b32 v[2:3], s[0:1], s[0:1] op_sel:[0,1]
	v_mad_u64_u32 v[2:3], s[0:1], v1, s18, v[2:3]
	s_mul_i32 s0, s9, 48
	v_mul_lo_u32 v1, v1, s19
	v_mul_lo_u32 v4, v4, s18
	v_lshl_add_u32 v0, v0, 2, s0
	v_add3_u32 v3, v4, v3, v1
	v_add_u32_e32 v0, 0x240, v0
.LBB11_77:                              ; =>This Inner Loop Header: Depth=1
	ds_read_b32 v1, v0
	s_add_i32 s8, s8, -1
	v_add_u32_e32 v0, 48, v0
	s_cmp_lg_u32 s8, 0
	s_waitcnt lgkmcnt(0)
	global_store_dword v[2:3], v1, off
	v_add_co_u32_e32 v2, vcc, 4, v2
	v_addc_co_u32_e32 v3, vcc, 0, v3, vcc
	s_cbranch_scc1 .LBB11_77
.LBB11_78:
	s_endpgm
	.section	.rodata,"a",@progbits
	.p2align	6, 0x0
	.amdhsa_kernel _ZL38rocblas_trsm_small_left_device_sharedBILi12ELi12ELb0EffPKfPfEv13rocblas_fill_18rocblas_operation_17rocblas_diagonal_iiT3_T4_lilT5_lili
		.amdhsa_group_segment_fixed_size 1152
		.amdhsa_private_segment_fixed_size 0
		.amdhsa_kernarg_size 352
		.amdhsa_user_sgpr_count 6
		.amdhsa_user_sgpr_private_segment_buffer 1
		.amdhsa_user_sgpr_dispatch_ptr 0
		.amdhsa_user_sgpr_queue_ptr 0
		.amdhsa_user_sgpr_kernarg_segment_ptr 1
		.amdhsa_user_sgpr_dispatch_id 0
		.amdhsa_user_sgpr_flat_scratch_init 0
		.amdhsa_user_sgpr_kernarg_preload_length 0
		.amdhsa_user_sgpr_kernarg_preload_offset 0
		.amdhsa_user_sgpr_private_segment_size 0
		.amdhsa_uses_dynamic_stack 0
		.amdhsa_system_sgpr_private_segment_wavefront_offset 0
		.amdhsa_system_sgpr_workgroup_id_x 1
		.amdhsa_system_sgpr_workgroup_id_y 0
		.amdhsa_system_sgpr_workgroup_id_z 1
		.amdhsa_system_sgpr_workgroup_info 0
		.amdhsa_system_vgpr_workitem_id 0
		.amdhsa_next_free_vgpr 46
		.amdhsa_next_free_sgpr 43
		.amdhsa_accum_offset 48
		.amdhsa_reserve_vcc 1
		.amdhsa_reserve_flat_scratch 0
		.amdhsa_float_round_mode_32 0
		.amdhsa_float_round_mode_16_64 0
		.amdhsa_float_denorm_mode_32 3
		.amdhsa_float_denorm_mode_16_64 3
		.amdhsa_dx10_clamp 1
		.amdhsa_ieee_mode 1
		.amdhsa_fp16_overflow 0
		.amdhsa_tg_split 0
		.amdhsa_exception_fp_ieee_invalid_op 0
		.amdhsa_exception_fp_denorm_src 0
		.amdhsa_exception_fp_ieee_div_zero 0
		.amdhsa_exception_fp_ieee_overflow 0
		.amdhsa_exception_fp_ieee_underflow 0
		.amdhsa_exception_fp_ieee_inexact 0
		.amdhsa_exception_int_div_zero 0
	.end_amdhsa_kernel
	.section	.text._ZL38rocblas_trsm_small_left_device_sharedBILi12ELi12ELb0EffPKfPfEv13rocblas_fill_18rocblas_operation_17rocblas_diagonal_iiT3_T4_lilT5_lili,"axG",@progbits,_ZL38rocblas_trsm_small_left_device_sharedBILi12ELi12ELb0EffPKfPfEv13rocblas_fill_18rocblas_operation_17rocblas_diagonal_iiT3_T4_lilT5_lili,comdat
.Lfunc_end11:
	.size	_ZL38rocblas_trsm_small_left_device_sharedBILi12ELi12ELb0EffPKfPfEv13rocblas_fill_18rocblas_operation_17rocblas_diagonal_iiT3_T4_lilT5_lili, .Lfunc_end11-_ZL38rocblas_trsm_small_left_device_sharedBILi12ELi12ELb0EffPKfPfEv13rocblas_fill_18rocblas_operation_17rocblas_diagonal_iiT3_T4_lilT5_lili
                                        ; -- End function
	.section	.AMDGPU.csdata,"",@progbits
; Kernel info:
; codeLenInByte = 8432
; NumSgprs: 47
; NumVgprs: 46
; NumAgprs: 0
; TotalNumVgprs: 46
; ScratchSize: 0
; MemoryBound: 0
; FloatMode: 240
; IeeeMode: 1
; LDSByteSize: 1152 bytes/workgroup (compile time only)
; SGPRBlocks: 5
; VGPRBlocks: 5
; NumSGPRsForWavesPerEU: 47
; NumVGPRsForWavesPerEU: 46
; AccumOffset: 48
; Occupancy: 8
; WaveLimiterHint : 0
; COMPUTE_PGM_RSRC2:SCRATCH_EN: 0
; COMPUTE_PGM_RSRC2:USER_SGPR: 6
; COMPUTE_PGM_RSRC2:TRAP_HANDLER: 0
; COMPUTE_PGM_RSRC2:TGID_X_EN: 1
; COMPUTE_PGM_RSRC2:TGID_Y_EN: 0
; COMPUTE_PGM_RSRC2:TGID_Z_EN: 1
; COMPUTE_PGM_RSRC2:TIDIG_COMP_CNT: 0
; COMPUTE_PGM_RSRC3_GFX90A:ACCUM_OFFSET: 11
; COMPUTE_PGM_RSRC3_GFX90A:TG_SPLIT: 0
	.section	.text._ZL30rocblas_trsm_small_left_deviceILi12ELi12ELb0EffPKfPfEv13rocblas_fill_18rocblas_operation_17rocblas_diagonal_iiT3_T4_lilT5_lili,"axG",@progbits,_ZL30rocblas_trsm_small_left_deviceILi12ELi12ELb0EffPKfPfEv13rocblas_fill_18rocblas_operation_17rocblas_diagonal_iiT3_T4_lilT5_lili,comdat
	.globl	_ZL30rocblas_trsm_small_left_deviceILi12ELi12ELb0EffPKfPfEv13rocblas_fill_18rocblas_operation_17rocblas_diagonal_iiT3_T4_lilT5_lili ; -- Begin function _ZL30rocblas_trsm_small_left_deviceILi12ELi12ELb0EffPKfPfEv13rocblas_fill_18rocblas_operation_17rocblas_diagonal_iiT3_T4_lilT5_lili
	.p2align	8
	.type	_ZL30rocblas_trsm_small_left_deviceILi12ELi12ELb0EffPKfPfEv13rocblas_fill_18rocblas_operation_17rocblas_diagonal_iiT3_T4_lilT5_lili,@function
_ZL30rocblas_trsm_small_left_deviceILi12ELi12ELb0EffPKfPfEv13rocblas_fill_18rocblas_operation_17rocblas_diagonal_iiT3_T4_lilT5_lili: ; @_ZL30rocblas_trsm_small_left_deviceILi12ELi12ELb0EffPKfPfEv13rocblas_fill_18rocblas_operation_17rocblas_diagonal_iiT3_T4_lilT5_lili
; %bb.0:
	s_load_dwordx4 s[8:11], s[4:5], 0x4
	s_load_dword s16, s[4:5], 0x14
	s_load_dwordx4 s[0:3], s[4:5], 0x30
	s_load_dwordx2 s[20:21], s[4:5], 0x40
	s_mov_b32 s19, 0
	s_waitcnt lgkmcnt(0)
	s_min_i32 s18, s10, 12
	v_cmp_gt_i32_e32 vcc, s18, v0
	s_and_saveexec_b64 s[22:23], vcc
	s_cbranch_execz .LBB12_15
; %bb.1:
	s_load_dword s24, s[4:5], 0x28
	s_load_dwordx4 s[12:15], s[4:5], 0x18
	s_cmp_gt_u32 s18, 1
	s_cselect_b64 s[26:27], -1, 0
	s_mov_b32 s17, 1
	s_waitcnt lgkmcnt(0)
	s_cmp_eq_u32 s24, 1
	s_cselect_b64 s[28:29], -1, 0
	s_and_b64 s[28:29], s[26:27], s[28:29]
	s_mov_b64 s[26:27], -1
	s_and_b64 vcc, exec, s[28:29]
	s_cbranch_vccz .LBB12_9
; %bb.2:
	s_add_i32 s26, s18, -2
	s_lshr_b32 s25, s26, 1
	s_add_i32 s25, s25, 1
	s_cmp_lt_u32 s26, 14
	s_mov_b32 s26, s19
	s_cbranch_scc1 .LBB12_5
; %bb.3:
	s_mul_i32 s17, s1, s7
	s_mul_hi_u32 s19, s0, s7
	s_add_i32 s29, s19, s17
	s_mul_i32 s28, s0, s7
	s_and_b32 s27, s25, -8
	s_lshl_b64 s[28:29], s[28:29], 2
	s_lshl_b64 s[30:31], s[14:15], 2
	s_add_u32 s17, s28, s30
	s_addc_u32 s19, s29, s31
	s_add_u32 s17, s12, s17
	v_lshlrev_b32_e32 v1, 2, v0
	s_addc_u32 s19, s13, s19
	v_mov_b32_e32 v2, s19
	v_add_co_u32_e32 v1, vcc, s17, v1
	v_addc_co_u32_e32 v3, vcc, 0, v2, vcc
	v_add_co_u32_e32 v2, vcc, 56, v1
	v_addc_co_u32_e32 v3, vcc, 0, v3, vcc
	s_mov_b32 s17, 1
	s_mov_b32 s26, 0
	;; [unrolled: 1-line block ×3, first 2 shown]
.LBB12_4:                               ; =>This Inner Loop Header: Depth=1
	global_load_dwordx4 v[4:7], v[2:3], off offset:-56
	global_load_dwordx4 v[8:11], v[2:3], off offset:-40
	;; [unrolled: 1-line block ×4, first 2 shown]
	s_mul_i32 s28, s17, 12
	s_mul_i32 s29, s19, 12
	s_add_i32 s26, s26, 16
	s_add_i32 s17, s17, 16
	;; [unrolled: 1-line block ×3, first 2 shown]
	s_add_i32 s27, s27, -8
	v_add_co_u32_e32 v2, vcc, 64, v2
	v_add_lshl_u32 v1, s29, v0, 2
	v_add_lshl_u32 v20, s28, v0, 2
	s_add_i32 s30, s28, 24
	s_add_i32 s31, s29, 24
	;; [unrolled: 1-line block ×12, first 2 shown]
	s_addk_i32 s28, 0xa8
	s_addk_i32 s29, 0xa8
	v_addc_co_u32_e32 v3, vcc, 0, v3, vcc
	s_cmp_lg_u32 s27, 0
	v_add_lshl_u32 v21, s31, v0, 2
	v_add_lshl_u32 v22, s30, v0, 2
	;; [unrolled: 1-line block ×14, first 2 shown]
	s_waitcnt vmcnt(3)
	ds_write_b32 v1, v4
	ds_write_b32 v20, v5
	ds_write_b32 v21, v6
	ds_write_b32 v22, v7
	s_waitcnt vmcnt(2)
	ds_write_b32 v23, v8
	ds_write_b32 v24, v9
	ds_write_b32 v25, v10
	ds_write_b32 v26, v11
	;; [unrolled: 5-line block ×4, first 2 shown]
	s_cbranch_scc1 .LBB12_4
.LBB12_5:
	s_and_b32 s25, s25, 7
	s_cmp_eq_u32 s25, 0
	s_mov_b32 s27, 0
	s_cbranch_scc1 .LBB12_8
; %bb.6:
	s_mul_i32 s28, s1, s7
	s_mul_hi_u32 s29, s0, s7
	s_add_i32 s29, s29, s28
	s_mul_i32 s28, s0, s7
	s_lshl_b64 s[28:29], s[28:29], 2
	s_lshl_b64 s[30:31], s[14:15], 2
	s_add_u32 s28, s28, s30
	s_addc_u32 s29, s29, s31
	s_lshl_b64 s[26:27], s[26:27], 2
	s_add_u32 s26, s12, s26
	s_addc_u32 s27, s13, s27
	s_add_u32 s26, s26, s28
	v_lshlrev_b32_e32 v1, 2, v0
	s_addc_u32 s27, s27, s29
	v_mov_b32_e32 v3, s27
	v_add_co_u32_e32 v2, vcc, s26, v1
	v_addc_co_u32_e32 v3, vcc, 0, v3, vcc
	s_lshl_b32 s25, s25, 3
.LBB12_7:                               ; =>This Inner Loop Header: Depth=1
	global_load_dwordx2 v[4:5], v[2:3], off
	s_mul_i32 s26, s17, 12
	s_mul_i32 s27, s19, 12
	s_add_i32 s17, s17, 2
	s_add_i32 s19, s19, 2
	v_add_co_u32_e32 v2, vcc, 8, v2
	s_add_i32 s25, s25, -8
	v_addc_co_u32_e32 v3, vcc, 0, v3, vcc
	v_add_lshl_u32 v1, s27, v0, 2
	s_cmp_lg_u32 s25, 0
	v_add_lshl_u32 v6, s26, v0, 2
	s_waitcnt vmcnt(0)
	ds_write_b32 v1, v4
	ds_write_b32 v6, v5
	s_cbranch_scc1 .LBB12_7
.LBB12_8:
	s_and_b32 s19, s18, -2
	s_cmp_lg_u32 s18, s19
	s_cselect_b64 s[26:27], -1, 0
.LBB12_9:
	s_and_b64 vcc, exec, s[26:27]
	s_cbranch_vccz .LBB12_12
; %bb.10:
	s_ashr_i32 s25, s24, 31
	s_mul_i32 s1, s1, s7
	s_mul_hi_u32 s17, s0, s7
	s_add_i32 s1, s17, s1
	s_mul_hi_u32 s17, s24, s19
	s_mul_i32 s26, s25, s19
	s_mul_i32 s0, s0, s7
	s_add_i32 s27, s17, s26
	s_mul_i32 s26, s24, s19
	s_lshl_b64 s[0:1], s[0:1], 2
	s_lshl_b64 s[26:27], s[26:27], 2
	s_add_u32 s17, s0, s26
	s_addc_u32 s26, s1, s27
	s_lshl_b64 s[0:1], s[14:15], 2
	s_add_u32 s0, s17, s0
	s_addc_u32 s1, s26, s1
	s_add_u32 s0, s12, s0
	v_lshlrev_b32_e32 v1, 2, v0
	s_addc_u32 s1, s13, s1
	v_mov_b32_e32 v3, s1
	v_add_co_u32_e32 v2, vcc, s0, v1
	s_lshl_b64 s[0:1], s[24:25], 2
	s_mul_i32 s13, s19, 48
	v_addc_co_u32_e32 v3, vcc, 0, v3, vcc
	s_sub_i32 s12, s18, s19
	v_lshl_add_u32 v1, v0, 2, s13
	v_mov_b32_e32 v4, s1
.LBB12_11:                              ; =>This Inner Loop Header: Depth=1
	global_load_dword v5, v[2:3], off
	v_add_co_u32_e32 v2, vcc, s0, v2
	s_add_i32 s12, s12, -1
	v_addc_co_u32_e32 v3, vcc, v3, v4, vcc
	s_cmp_eq_u32 s12, 0
	s_waitcnt vmcnt(0)
	ds_write_b32 v1, v5
	v_add_u32_e32 v1, 48, v1
	s_cbranch_scc0 .LBB12_11
.LBB12_12:
	v_mul_u32_u24_e32 v1, 13, v0
	s_cmpk_lg_i32 s9, 0x84
	v_lshlrev_b32_e32 v1, 2, v1
	v_mov_b32_e32 v2, 1.0
	s_cbranch_scc0 .LBB12_14
; %bb.13:
	ds_read_b32 v2, v1
	s_waitcnt lgkmcnt(0)
	v_div_scale_f32 v3, s[0:1], v2, v2, 1.0
	v_rcp_f32_e32 v4, v3
	v_div_scale_f32 v5, vcc, 1.0, v2, 1.0
	v_fma_f32 v6, -v3, v4, 1.0
	v_fmac_f32_e32 v4, v6, v4
	v_mul_f32_e32 v6, v5, v4
	v_fma_f32 v7, -v3, v6, v5
	v_fmac_f32_e32 v6, v7, v4
	v_fma_f32 v3, -v3, v6, v5
	v_div_fmas_f32 v3, v3, v4, v6
	v_div_fixup_f32 v2, v3, v2, 1.0
.LBB12_14:
	ds_write_b32 v1, v2
.LBB12_15:
	s_or_b64 exec, exec, s[22:23]
	s_load_dword s0, s[4:5], 0x60
	s_mul_i32 s1, s6, -12
	s_add_i32 s1, s1, s11
	s_waitcnt lgkmcnt(0)
	; wave barrier
	s_waitcnt lgkmcnt(0)
	s_add_i32 s0, s0, -1
	s_cmp_ge_u32 s6, s0
	s_cselect_b32 s0, s1, 12
	v_cmp_gt_i32_e32 vcc, s0, v0
	s_and_saveexec_b64 s[0:1], vcc
	s_cbranch_execz .LBB12_61
; %bb.16:
	s_load_dwordx2 s[0:1], s[4:5], 0x50
	s_load_dword s9, s[4:5], 0x48
	s_waitcnt lgkmcnt(0)
	s_mul_i32 s1, s7, s1
	s_mul_hi_u32 s4, s7, s0
	s_mul_i32 s0, s7, s0
	s_add_i32 s1, s4, s1
	s_lshl_b64 s[0:1], s[0:1], 2
	s_add_u32 s7, s2, s0
	s_addc_u32 s11, s3, s1
	s_lshl_b64 s[4:5], s[20:21], 2
	s_add_u32 s12, s7, s4
	v_mad_u64_u32 v[0:1], s[6:7], s6, 12, v[0:1]
	v_mad_i64_i32 v[0:1], s[6:7], s9, v0, 0
	s_addc_u32 s11, s11, s5
	v_lshlrev_b64 v[4:5], 2, v[0:1]
	v_mov_b32_e32 v0, s11
	v_add_co_u32_e32 v2, vcc, s12, v4
	v_addc_co_u32_e32 v3, vcc, v0, v5, vcc
	s_cmpk_eq_i32 s8, 0x6f
	s_mov_b64 s[6:7], -1
	s_cbranch_scc1 .LBB12_39
; %bb.17:
	s_cmp_gt_i32 s10, 11
	s_cselect_b64 s[8:9], -1, 0
	s_and_b64 vcc, exec, s[8:9]
	s_cbranch_vccz .LBB12_19
; %bb.18:
	global_load_dwordx4 v[6:9], v[2:3], off
	global_load_dwordx4 v[10:13], v[2:3], off offset:16
	global_load_dwordx4 v[14:17], v[2:3], off offset:32
	v_mov_b32_e32 v53, 0
	ds_read_b32 v38, v53
	ds_read_b64 v[0:1], v53 offset:48
	ds_read_b96 v[46:48], v53 offset:96
	ds_read_b128 v[18:21], v53 offset:144
	ds_read_b128 v[22:25], v53 offset:192
	ds_read_b32 v56, v53 offset:208
	ds_read_b128 v[26:29], v53 offset:240
	ds_read_b64 v[54:55], v53 offset:256
	ds_read_b128 v[30:33], v53 offset:288
	ds_read_b96 v[50:52], v53 offset:304
	ds_read_b128 v[34:37], v53 offset:336
	s_mov_b32 s6, 12
	s_waitcnt vmcnt(2)
	v_mul_f32_e32 v6, s16, v6
	s_waitcnt lgkmcnt(10)
	v_mul_f32_e32 v6, v6, v38
	s_waitcnt lgkmcnt(9)
	;; [unrolled: 2-line block ×3, first 2 shown]
	v_mul_f32_e32 v38, v6, v46
	v_fma_f32 v0, v7, s16, -v0
	s_waitcnt lgkmcnt(7)
	v_mul_f32_e32 v18, v6, v18
	v_fma_f32 v8, v8, s16, -v38
	v_mul_f32_e32 v7, v0, v1
	v_fma_f32 v9, v9, s16, -v18
	v_fma_f32 v0, -v7, v47, v8
	s_waitcnt lgkmcnt(6)
	v_mul_f32_e32 v22, v6, v22
	v_fma_f32 v1, -v7, v19, v9
	v_mul_f32_e32 v8, v0, v48
	s_waitcnt vmcnt(1)
	v_fma_f32 v22, v10, s16, -v22
	v_fma_f32 v0, -v8, v20, v1
	s_waitcnt lgkmcnt(4)
	v_mul_f32_e32 v26, v6, v26
	s_waitcnt lgkmcnt(2)
	v_mul_f32_e32 v30, v6, v30
	;; [unrolled: 2-line block ×3, first 2 shown]
	v_mul_f32_e32 v9, v0, v21
	v_fma_f32 v0, -v7, v23, v22
	v_fma_f32 v26, v11, s16, -v26
	v_fma_f32 v30, v12, s16, -v30
	;; [unrolled: 1-line block ×3, first 2 shown]
	ds_read_b128 v[10:13], v53 offset:352
	ds_read_b128 v[38:41], v53 offset:384
	v_fma_f32 v0, -v8, v24, v0
	ds_read_b128 v[42:45], v53 offset:400
	ds_read_b32 v57, v53 offset:416
	ds_read_b128 v[18:21], v53 offset:432
	ds_read_b128 v[46:49], v53 offset:448
	v_fma_f32 v58, -v9, v25, v0
	ds_read_b64 v[0:1], v53 offset:464
	ds_read_b128 v[22:25], v53 offset:480
	v_fma_f32 v26, -v7, v27, v26
	v_fma_f32 v27, -v7, v31, v30
	;; [unrolled: 1-line block ×3, first 2 shown]
	s_waitcnt lgkmcnt(6)
	v_mul_f32_e32 v38, v6, v38
	s_waitcnt lgkmcnt(3)
	v_mul_f32_e32 v18, v6, v18
	v_fma_f32 v27, -v8, v32, v27
	v_fma_f32 v59, -v9, v29, v26
	;; [unrolled: 1-line block ×3, first 2 shown]
	s_waitcnt lgkmcnt(0)
	v_mul_f32_e32 v22, v6, v22
	s_waitcnt vmcnt(0)
	v_fma_f32 v14, v14, s16, -v38
	v_fma_f32 v15, v15, s16, -v18
	v_mul_f32_e32 v18, v58, v56
	v_fma_f32 v33, -v9, v33, v27
	ds_read_b128 v[26:29], v53 offset:496
	ds_read_b96 v[30:32], v53 offset:512
	v_fma_f32 v34, -v8, v36, v34
	v_fma_f32 v16, v16, s16, -v22
	v_fma_f32 v14, -v7, v39, v14
	v_fma_f32 v15, -v7, v19, v15
	;; [unrolled: 1-line block ×8, first 2 shown]
	v_mul_f32_e32 v19, v19, v55
	v_fma_f32 v16, -v8, v24, v16
	v_fma_f32 v14, -v9, v41, v14
	;; [unrolled: 1-line block ×9, first 2 shown]
	v_mul_f32_e32 v20, v20, v52
	s_waitcnt lgkmcnt(1)
	v_fma_f32 v16, -v18, v26, v16
	v_fma_f32 v11, -v19, v43, v14
	;; [unrolled: 1-line block ×7, first 2 shown]
	v_mul_f32_e32 v21, v10, v13
	v_fma_f32 v16, -v20, v28, v15
	v_fma_f32 v10, -v21, v45, v11
	;; [unrolled: 1-line block ×3, first 2 shown]
	ds_read_b128 v[12:15], v53 offset:528
	ds_read_b128 v[22:25], v53 offset:544
	v_mul_f32_e32 v10, v10, v57
	v_fma_f32 v0, -v10, v0, v11
	v_mul_f32_e32 v11, v0, v1
	s_waitcnt lgkmcnt(1)
	v_mul_f32_e32 v1, v6, v12
	v_fma_f32 v1, v17, s16, -v1
	v_fma_f32 v1, -v7, v13, v1
	v_fma_f32 v1, -v8, v14, v1
	global_store_dwordx4 v[2:3], v[6:9], off
	v_fma_f32 v1, -v9, v15, v1
	ds_read_b128 v[6:9], v53 offset:560
	s_waitcnt lgkmcnt(1)
	v_fma_f32 v1, -v18, v22, v1
	v_fma_f32 v1, -v19, v23, v1
	;; [unrolled: 1-line block ×7, first 2 shown]
	s_waitcnt lgkmcnt(0)
	v_fma_f32 v1, -v10, v6, v1
	v_fma_f32 v1, -v11, v7, v1
	v_mul_f32_e32 v12, v0, v32
	v_fma_f32 v0, -v12, v8, v1
	v_mul_f32_e32 v13, v0, v9
	global_store_dwordx4 v[2:3], v[18:21], off offset:16
	global_store_dwordx4 v[2:3], v[10:13], off offset:32
	s_cmp_lt_i32 s6, s18
	s_cbranch_scc1 .LBB12_20
	s_branch .LBB12_38
.LBB12_19:
	s_mov_b32 s6, 0
	s_cmp_lt_i32 s6, s18
	s_cbranch_scc0 .LBB12_38
.LBB12_20:
	s_add_i32 s7, s6, 7
	s_cmp_ge_u32 s7, s18
	s_cbranch_scc1 .LBB12_27
; %bb.21:
	s_lshl_b32 s7, s6, 2
	v_add_co_u32_e32 v0, vcc, s7, v2
	v_addc_co_u32_e32 v1, vcc, 0, v3, vcc
	global_load_dwordx4 v[6:9], v[0:1], off
	global_load_dwordx4 v[14:17], v[0:1], off offset:16
	s_andn2_b64 vcc, exec, s[8:9]
	s_waitcnt vmcnt(1)
	v_pk_mul_f32 v[12:13], v[6:7], s[16:17] op_sel_hi:[1,0]
	v_pk_mul_f32 v[10:11], v[8:9], s[16:17] op_sel_hi:[1,0]
	s_waitcnt vmcnt(0)
	v_pk_mul_f32 v[8:9], v[14:15], s[16:17] op_sel_hi:[1,0]
	v_pk_mul_f32 v[6:7], v[16:17], s[16:17] op_sel_hi:[1,0]
	s_cbranch_vccnz .LBB12_26
; %bb.22:
	s_max_u32 s8, s6, 1
	s_and_b32 s9, s8, 12
	s_mul_i32 s7, s6, 48
	v_pk_mov_b32 v[14:15], v[2:3], v[2:3] op_sel:[0,1]
.LBB12_23:                              ; =>This Inner Loop Header: Depth=1
	global_load_dwordx4 v[16:19], v[14:15], off
	v_mov_b32_e32 v48, s7
	ds_read_b128 v[20:23], v48
	ds_read_b128 v[24:27], v48 offset:48
	ds_read_b128 v[28:31], v48 offset:96
	;; [unrolled: 1-line block ×7, first 2 shown]
	v_add_co_u32_e32 v14, vcc, 16, v14
	s_add_i32 s7, s7, 16
	s_add_i32 s9, s9, -4
	v_addc_co_u32_e32 v15, vcc, 0, v15, vcc
	s_cmp_lg_u32 s9, 0
	s_waitcnt vmcnt(0) lgkmcnt(7)
	v_fma_f32 v12, -v16, v20, v12
	s_waitcnt lgkmcnt(6)
	v_fma_f32 v13, -v16, v24, v13
	s_waitcnt lgkmcnt(5)
	;; [unrolled: 2-line block ×7, first 2 shown]
	v_fma_f32 v7, -v16, v48, v7
	v_fma_f32 v12, -v17, v21, v12
	;; [unrolled: 1-line block ×25, first 2 shown]
	s_cbranch_scc1 .LBB12_23
; %bb.24:
	s_and_b32 s8, s8, 1
	s_cmp_eq_u32 s8, 0
	s_cbranch_scc1 .LBB12_26
.LBB12_25:                              ; =>This Inner Loop Header: Depth=1
	global_load_dword v24, v[14:15], off
	v_mov_b32_e32 v22, s7
	ds_read2_b32 v[16:17], v22 offset1:12
	ds_read2_b32 v[18:19], v22 offset0:24 offset1:36
	ds_read2_b32 v[20:21], v22 offset0:48 offset1:60
	;; [unrolled: 1-line block ×3, first 2 shown]
	s_add_i32 s7, s7, 4
	v_add_co_u32_e32 v14, vcc, 4, v14
	s_add_i32 s8, s8, -1
	v_addc_co_u32_e32 v15, vcc, 0, v15, vcc
	s_cmp_lg_u32 s8, 0
	s_waitcnt vmcnt(0) lgkmcnt(3)
	v_fma_f32 v12, -v24, v16, v12
	v_fma_f32 v13, -v24, v17, v13
	s_waitcnt lgkmcnt(2)
	v_fma_f32 v10, -v24, v18, v10
	v_fma_f32 v11, -v24, v19, v11
	s_waitcnt lgkmcnt(1)
	;; [unrolled: 3-line block ×3, first 2 shown]
	v_fma_f32 v6, -v24, v22, v6
	v_fma_f32 v7, -v24, v23, v7
	s_cbranch_scc1 .LBB12_25
.LBB12_26:
	s_mul_i32 s7, s6, 52
	v_mov_b32_e32 v29, s7
	s_or_b32 s7, s6, 1
	s_mul_i32 s7, s7, 12
	s_add_i32 s8, s7, s6
	s_lshl_b32 s8, s8, 2
	s_add_i32 s7, s7, 36
	v_mov_b32_e32 v14, s8
	s_add_i32 s8, s7, s6
	s_lshl_b32 s8, s8, 2
	ds_read2_b32 v[38:39], v29 offset1:52
	ds_read_b64 v[40:41], v14
	ds_read_b96 v[26:28], v14 offset:48
	ds_read_b128 v[14:17], v14 offset:96
	v_mov_b32_e32 v50, s8
	ds_read_b96 v[30:32], v50 offset:48
	ds_read_b96 v[34:36], v50 offset:144
	s_or_b32 s7, s7, s6
	s_lshl_b32 s7, s7, 2
	s_waitcnt lgkmcnt(2)
	v_mov_b32_e32 v42, v15
	v_mov_b32_e32 v15, s7
	s_waitcnt lgkmcnt(1)
	v_mov_b32_e32 v45, v32
	ds_read2_b32 v[32:33], v29 offset0:65 offset1:78
	ds_read_b64 v[46:47], v50 offset:112
	s_waitcnt lgkmcnt(2)
	v_mov_b32_e32 v49, v36
	ds_read_b128 v[18:21], v50 offset:96
	ds_read2_b32 v[36:37], v50 offset0:15 offset1:16
	ds_read_b128 v[22:25], v15
	v_mul_f32_e32 v12, v12, v38
	v_fma_f32 v13, -v12, v40, v13
	v_mul_f32_e32 v13, v13, v41
	v_pk_mul_f32 v[26:27], v[12:13], v[26:27]
	v_sub_f32_e32 v15, v10, v26
	v_fma_f32 v14, -v12, v14, v11
	s_waitcnt lgkmcnt(0)
	v_pk_mul_f32 v[10:11], v[12:13], v[22:23]
	v_mov_b32_e32 v43, v16
	v_sub_f32_e32 v10, v8, v10
	v_fma_f32 v16, -v12, v30, v9
	v_pk_mul_f32 v[8:9], v[12:13], v[18:19]
	v_sub_f32_e32 v6, v6, v8
	v_fma_f32 v18, -v12, v34, v7
	v_sub_f32_e32 v7, v15, v27
	v_sub_f32_e32 v22, v6, v9
	v_mul_f32_e32 v7, v7, v28
	v_mov_b32_e32 v6, v13
	v_pk_mul_f32 v[8:9], v[6:7], v[42:43]
	v_sub_f32_e32 v8, v14, v8
	v_mov_b32_e32 v44, v31
	v_sub_f32_e32 v8, v8, v9
	v_mov_b32_e32 v48, v35
	v_sub_f32_e32 v19, v10, v11
	v_pk_mul_f32 v[10:11], v[6:7], v[44:45]
	v_mul_f32_e32 v15, v8, v17
	v_mov_b32_e32 v14, v7
	v_sub_f32_e32 v10, v16, v10
	v_pk_mul_f32 v[8:9], v[14:15], v[24:25]
	v_pk_mul_f32 v[16:17], v[6:7], v[48:49]
	v_sub_f32_e32 v8, v19, v8
	v_sub_f32_e32 v19, v10, v11
	v_pk_mul_f32 v[10:11], v[14:15], v[20:21]
	v_sub_f32_e32 v6, v18, v16
	v_sub_f32_e32 v10, v22, v10
	;; [unrolled: 1-line block ×4, first 2 shown]
	global_store_dwordx4 v[0:1], v[12:15], off
	ds_read2_b32 v[8:9], v50 offset0:39 offset1:40
	v_sub_f32_e32 v14, v10, v11
	v_mul_f32_e32 v11, v6, v39
	v_mov_b32_e32 v10, v15
	v_pk_mul_f32 v[6:7], v[10:11], v[36:37]
	v_sub_f32_e32 v6, v19, v6
	v_sub_f32_e32 v6, v6, v7
	v_mul_f32_e32 v7, v6, v32
	v_mov_b32_e32 v6, v11
	v_pk_mul_f32 v[12:13], v[6:7], v[46:47]
	v_sub_f32_e32 v6, v14, v12
	ds_read2_b32 v[14:15], v50 offset0:41 offset1:42
	s_waitcnt lgkmcnt(1)
	v_pk_mul_f32 v[8:9], v[10:11], v[8:9]
	v_sub_f32_e32 v8, v16, v8
	v_sub_f32_e32 v6, v6, v13
	ds_read_b32 v16, v29 offset:364
	v_mul_f32_e32 v13, v6, v33
	v_mov_b32_e32 v12, v7
	v_sub_f32_e32 v10, v8, v9
	s_waitcnt lgkmcnt(1)
	v_pk_mul_f32 v[8:9], v[12:13], v[14:15]
	v_sub_f32_e32 v6, v10, v8
	v_sub_f32_e32 v6, v6, v9
	s_waitcnt lgkmcnt(0)
	v_mul_f32_e32 v9, v6, v16
	v_mov_b32_e32 v6, v11
	v_mov_b32_e32 v8, v13
	s_add_i32 s6, s6, 8
	global_store_dwordx4 v[0:1], v[6:9], off offset:16
.LBB12_27:
	s_cmp_ge_i32 s6, s18
	s_cbranch_scc1 .LBB12_38
; %bb.28:
	s_add_i32 s11, s6, -1
	s_add_u32 s7, s2, s4
	s_addc_u32 s8, s3, s5
	s_add_u32 s7, s7, s0
	s_addc_u32 s8, s8, s1
	v_mov_b32_e32 v0, s8
	v_add_co_u32_e32 v1, vcc, s7, v4
	v_addc_co_u32_e32 v12, vcc, v0, v5, vcc
	v_add_co_u32_e32 v6, vcc, 28, v1
	s_mul_i32 s12, s6, 48
	v_addc_co_u32_e32 v7, vcc, 0, v12, vcc
	s_mov_b32 s9, 0
	s_mov_b32 s14, s6
	;; [unrolled: 1-line block ×3, first 2 shown]
	s_branch .LBB12_30
.LBB12_29:                              ;   in Loop: Header=BB12_30 Depth=1
	s_mul_i32 s7, s6, 52
	v_mov_b32_e32 v10, s7
	ds_read_b32 v10, v10
	s_add_i32 s6, s6, 1
	s_add_i32 s13, s13, 1
	s_add_i32 s12, s12, 48
	v_add_u16_e64 v11, s14, 1
	s_waitcnt lgkmcnt(0)
	v_mul_f32_e32 v0, v0, v10
	s_cmp_ge_i32 s6, s18
	v_readfirstlane_b32 s14, v11
	global_store_dword v[8:9], v0, off
	s_cbranch_scc1 .LBB12_38
.LBB12_30:                              ; =>This Loop Header: Depth=1
                                        ;     Child Loop BB12_33 Depth 2
                                        ;     Child Loop BB12_37 Depth 2
	s_ashr_i32 s7, s6, 31
	s_lshl_b64 s[20:21], s[6:7], 2
	v_mov_b32_e32 v0, s21
	v_add_co_u32_e32 v8, vcc, s20, v2
	v_addc_co_u32_e32 v9, vcc, v3, v0, vcc
	global_load_dword v0, v[8:9], off
	s_cmp_eq_u32 s6, 0
	s_waitcnt vmcnt(0)
	v_mul_f32_e32 v0, s16, v0
	s_cbranch_scc1 .LBB12_29
; %bb.31:                               ;   in Loop: Header=BB12_30 Depth=1
	s_add_i32 s7, s11, s13
	s_cmp_lt_u32 s7, 7
	s_cbranch_scc1 .LBB12_35
; %bb.32:                               ;   in Loop: Header=BB12_30 Depth=1
	s_and_b32 s8, s6, -8
	s_mov_b32 s7, 0
	v_pk_mov_b32 v[10:11], v[6:7], v[6:7] op_sel:[0,1]
	s_mov_b32 s15, s12
.LBB12_33:                              ;   Parent Loop BB12_30 Depth=1
                                        ; =>  This Inner Loop Header: Depth=2
	global_load_dwordx4 v[14:17], v[10:11], off offset:-28
	global_load_dwordx4 v[18:21], v[10:11], off offset:-12
	v_mov_b32_e32 v13, s15
	ds_read_b128 v[22:25], v13
	ds_read_b128 v[26:29], v13 offset:16
	s_add_i32 s7, s7, 8
	s_add_i32 s15, s15, 32
	v_add_co_u32_e32 v10, vcc, 32, v10
	v_addc_co_u32_e32 v11, vcc, 0, v11, vcc
	s_cmp_lg_u32 s8, s7
	s_waitcnt vmcnt(1) lgkmcnt(1)
	v_fma_f32 v0, -v14, v22, v0
	v_fma_f32 v0, -v15, v23, v0
	v_fma_f32 v0, -v16, v24, v0
	v_fma_f32 v0, -v17, v25, v0
	s_waitcnt vmcnt(0) lgkmcnt(0)
	v_fma_f32 v0, -v18, v26, v0
	v_fma_f32 v0, -v19, v27, v0
	;; [unrolled: 1-line block ×4, first 2 shown]
	s_cbranch_scc1 .LBB12_33
; %bb.34:                               ;   in Loop: Header=BB12_30 Depth=1
	s_and_b32 s7, s6, 7
	s_cmp_eq_u32 s7, 0
	s_cbranch_scc0 .LBB12_36
	s_branch .LBB12_29
.LBB12_35:                              ;   in Loop: Header=BB12_30 Depth=1
	s_mov_b32 s8, 0
	s_and_b32 s7, s6, 7
	s_cmp_eq_u32 s7, 0
	s_cbranch_scc1 .LBB12_29
.LBB12_36:                              ;   in Loop: Header=BB12_30 Depth=1
	s_lshl_b64 s[20:21], s[8:9], 2
	v_mov_b32_e32 v11, s21
	v_add_co_u32_e32 v10, vcc, s20, v1
	s_and_b32 s7, s14, 7
	s_lshl_b32 s15, s8, 2
	v_addc_co_u32_e32 v11, vcc, v12, v11, vcc
.LBB12_37:                              ;   Parent Loop BB12_30 Depth=1
                                        ; =>  This Inner Loop Header: Depth=2
	global_load_dword v13, v[10:11], off
	s_add_i32 s8, s12, s15
	v_mov_b32_e32 v14, s8
	ds_read_b32 v14, v14
	s_add_i32 s15, s15, 4
	v_add_co_u32_e32 v10, vcc, 4, v10
	s_add_i32 s7, s7, -1
	v_addc_co_u32_e32 v11, vcc, 0, v11, vcc
	s_cmp_lg_u32 s7, 0
	s_waitcnt vmcnt(0) lgkmcnt(0)
	v_fma_f32 v0, -v13, v14, v0
	s_cbranch_scc1 .LBB12_37
	s_branch .LBB12_29
.LBB12_38:
	s_mov_b64 s[6:7], 0
.LBB12_39:
	s_and_b64 vcc, exec, s[6:7]
	s_cbranch_vccz .LBB12_61
; %bb.40:
	s_add_i32 s6, s18, -1
	s_cmp_gt_i32 s10, 11
	s_cbranch_scc0 .LBB12_42
; %bb.41:
	s_ashr_i32 s19, s18, 31
	s_lshl_b64 s[8:9], s[18:19], 2
	v_mov_b32_e32 v1, s9
	v_add_co_u32_e32 v0, vcc, s8, v2
	v_addc_co_u32_e32 v1, vcc, v3, v1, vcc
	global_load_dword v17, v[0:1], off offset:-4
	s_mov_b32 s19, 0
	s_lshl_b64 s[8:9], s[18:19], 2
	v_mov_b32_e32 v6, s9
	v_add_co_u32_e32 v10, vcc, s8, v2
	v_addc_co_u32_e32 v11, vcc, v3, v6, vcc
	global_load_dwordx3 v[14:16], v[10:11], off offset:-16
	global_load_dwordx4 v[6:9], v[10:11], off offset:-32
	s_mul_i32 s8, s6, 52
	global_load_dwordx4 v[10:13], v[10:11], off offset:-48
	s_mul_i32 s7, s6, 12
	s_add_i32 s9, s18, -4
	s_add_i32 s11, s18, -6
	s_add_i32 s12, s18, s7
	s_sub_i32 s13, s8, 52
	s_add_i32 s14, s9, s7
	s_add_i32 s15, s7, -12
	s_sub_i32 s17, s7, 24
	s_add_i32 s19, s8, 0xffffff64
	s_add_i32 s20, s11, s7
	s_lshl_b32 s12, s12, 2
	v_mov_b32_e32 v20, s13
	s_lshl_b32 s13, s14, 2
	s_add_i32 s14, s9, s15
	s_add_i32 s9, s9, s17
	;; [unrolled: 1-line block ×3, first 2 shown]
	v_mov_b32_e32 v26, s19
	s_lshl_b32 s19, s20, 2
	s_add_i32 s12, s12, -8
	v_mov_b32_e32 v21, s13
	s_lshl_b32 s13, s14, 2
	s_lshl_b32 s9, s9, 2
	;; [unrolled: 1-line block ×3, first 2 shown]
	v_mov_b32_e32 v27, s19
	v_mov_b32_e32 v18, s12
	;; [unrolled: 1-line block ×5, first 2 shown]
	ds_read2_b32 v[18:19], v18 offset1:1
	ds_read_b32 v37, v20
	ds_read2_b32 v[20:21], v21 offset1:1
	ds_read2_b32 v[22:23], v22 offset1:1
	;; [unrolled: 1-line block ×3, first 2 shown]
	ds_read_b32 v38, v26
	ds_read2_b32 v[26:27], v27 offset1:1
	ds_read2_b32 v[28:29], v28 offset1:1
	s_add_i32 s11, s11, s17
	s_lshl_b32 s11, s11, 2
	s_sub_i32 s22, s7, 60
	s_sub_i32 s9, s11, 48
	s_add_i32 s21, s8, 0xfffffefc
	v_mov_b32_e32 v30, s11
	s_addk_i32 s11, 0xffa0
	v_mov_b32_e32 v32, s9
	s_add_i32 s9, s18, s22
	v_mov_b32_e32 v36, s21
	v_mov_b32_e32 v34, s11
	s_lshl_b32 s9, s9, 2
	ds_read2_b32 v[30:31], v30 offset1:1
	ds_read2_b32 v[32:33], v32 offset1:1
	;; [unrolled: 1-line block ×3, first 2 shown]
	ds_read_b32 v36, v36
	s_addk_i32 s8, 0xfec8
	s_waitcnt vmcnt(3)
	v_mul_f32_e32 v17, s16, v17
	s_waitcnt lgkmcnt(11)
	v_mul_f32_e32 v17, v17, v19
	v_mul_f32_e32 v18, v17, v18
	s_waitcnt lgkmcnt(9)
	v_mul_f32_e32 v19, v17, v21
	;; [unrolled: 3-line block ×3, first 2 shown]
	v_mul_f32_e32 v21, v17, v27
	s_waitcnt vmcnt(2)
	v_fma_f32 v16, v16, s16, -v18
	v_fma_f32 v15, v15, s16, -v19
	v_mul_f32_e32 v16, v16, v37
	v_fma_f32 v14, v14, s16, -v20
	v_fma_f32 v15, -v16, v23, v15
	v_fma_f32 v14, -v16, v22, v14
	v_mul_f32_e32 v15, v15, v25
	v_fma_f32 v14, -v15, v24, v14
	s_waitcnt vmcnt(1)
	v_fma_f32 v8, v8, s16, -v26
	v_mul_f32_e32 v14, v14, v38
	s_waitcnt lgkmcnt(4)
	v_fma_f32 v8, -v16, v28, v8
	global_store_dwordx4 v[0:1], v[14:17], off offset:-16
	v_mov_b32_e32 v28, s9
	v_fma_f32 v9, v9, s16, -v21
	ds_read2_b32 v[18:19], v28 offset0:52 offset1:53
	ds_read2_b32 v[20:21], v28 offset0:40 offset1:41
	s_sub_i32 s9, s9, 32
	v_mov_b32_e32 v22, s9
	ds_read2_b32 v[22:23], v22 offset1:1
	ds_read2_b32 v[24:25], v28 offset0:28 offset1:29
	s_waitcnt lgkmcnt(3)
	v_mul_f32_e32 v19, v17, v19
	v_fma_f32 v7, v7, s16, -v19
	v_mov_b32_e32 v19, s8
	s_add_i32 s8, s18, -9
	v_fma_f32 v9, -v16, v29, v9
	ds_read2_b32 v[26:27], v28 offset0:16 offset1:17
	ds_read2_b32 v[28:29], v28 offset0:4 offset1:5
	s_add_i32 s9, s22, s8
	v_fma_f32 v9, -v15, v31, v9
	s_lshl_b32 s9, s9, 2
	v_fma_f32 v8, -v15, v30, v8
	v_fma_f32 v9, -v14, v33, v9
	s_waitcnt lgkmcnt(4)
	v_fma_f32 v7, -v16, v21, v7
	ds_read_b32 v19, v19
	v_mul_f32_e32 v18, v17, v18
	s_sub_i32 s9, s9, 48
	v_fma_f32 v8, -v14, v32, v8
	v_mul_f32_e32 v9, v9, v35
	s_waitcnt lgkmcnt(3)
	v_fma_f32 v7, -v15, v25, v7
	v_fma_f32 v6, v6, s16, -v18
	v_mov_b32_e32 v18, s9
	s_add_i32 s9, s7, 0xffffffac
	v_fma_f32 v8, -v9, v34, v8
	s_waitcnt lgkmcnt(2)
	v_fma_f32 v7, -v14, v27, v7
	s_add_i32 s8, s8, s9
	v_mul_f32_e32 v8, v8, v36
	s_waitcnt lgkmcnt(1)
	v_fma_f32 v7, -v9, v29, v7
	s_lshl_b32 s8, s8, 2
	v_fma_f32 v7, -v8, v23, v7
	v_fma_f32 v6, -v16, v20, v6
	v_mov_b32_e32 v20, s8
	s_waitcnt lgkmcnt(0)
	v_mul_f32_e32 v7, v7, v19
	v_fma_f32 v6, -v15, v24, v6
	ds_read2_b32 v[18:19], v18 offset1:1
	ds_read2_b32 v[20:21], v20 offset1:1
	s_add_i32 s8, s18, -10
	v_fma_f32 v6, -v14, v26, v6
	s_add_i32 s9, s9, s8
	v_fma_f32 v6, -v9, v28, v6
	s_lshl_b32 s9, s9, 2
	s_add_i32 s8, s8, s22
	v_fma_f32 v6, -v8, v22, v6
	v_mov_b32_e32 v32, s9
	s_lshl_b32 s8, s8, 2
	ds_read2_b32 v[22:23], v32 offset0:48 offset1:49
	ds_read2_b32 v[24:25], v32 offset0:36 offset1:37
	s_waitcnt lgkmcnt(3)
	v_fma_f32 v6, -v7, v19, v6
	v_mov_b32_e32 v19, s8
	ds_read2_b32 v[26:27], v32 offset0:84 offset1:85
	ds_read2_b32 v[28:29], v19 offset1:1
	ds_read2_b32 v[30:31], v32 offset0:72 offset1:73
	ds_read2_b32 v[32:33], v32 offset0:60 offset1:61
	s_mul_i32 s8, s18, 52
	s_waitcnt lgkmcnt(3)
	v_mul_f32_e32 v19, v17, v27
	s_waitcnt vmcnt(1)
	v_fma_f32 v13, v13, s16, -v19
	s_waitcnt lgkmcnt(1)
	v_fma_f32 v13, -v16, v31, v13
	s_waitcnt lgkmcnt(0)
	v_fma_f32 v13, -v15, v33, v13
	v_fma_f32 v13, -v14, v23, v13
	;; [unrolled: 1-line block ×4, first 2 shown]
	s_add_i32 s9, s8, 0xfffffe2c
	v_fma_f32 v13, -v7, v18, v13
	v_mov_b32_e32 v18, s9
	ds_read_b32 v23, v18
	v_mul_f32_e32 v6, v6, v21
	s_add_i32 s9, s18, -11
	v_fma_f32 v13, -v6, v20, v13
	s_add_i32 s22, s22, s9
	s_lshl_b32 s11, s22, 2
	s_waitcnt lgkmcnt(0)
	v_mul_f32_e32 v13, v13, v23
	v_mul_f32_e32 v23, v17, v26
	s_sub_i32 s12, s11, 48
	v_fma_f32 v12, v12, s16, -v23
	v_mov_b32_e32 v19, s12
	s_add_i32 s12, s11, 0xffffffa0
	v_fma_f32 v12, -v16, v30, v12
	global_store_dwordx4 v[0:1], v[6:9], off offset:-32
	v_mov_b32_e32 v20, s12
	s_addk_i32 s11, 0xff70
	v_fma_f32 v12, -v15, v32, v12
	v_mov_b32_e32 v25, s11
	ds_read2_b32 v[18:19], v19 offset1:1
	ds_read2_b32 v[20:21], v20 offset1:1
	;; [unrolled: 1-line block ×3, first 2 shown]
	v_fma_f32 v12, -v14, v22, v12
	s_addk_i32 s7, 0xff94
	v_fma_f32 v12, -v9, v24, v12
	s_add_i32 s9, s9, s7
	v_fma_f32 v12, -v8, v28, v12
	s_lshl_b32 s9, s9, 2
	s_waitcnt lgkmcnt(2)
	v_fma_f32 v12, -v7, v19, v12
	v_mov_b32_e32 v19, s9
	ds_read2_b32 v[22:23], v19 offset1:1
	s_add_i32 s9, s18, -12
	s_waitcnt lgkmcnt(2)
	v_fma_f32 v12, -v6, v21, v12
	s_add_i32 s7, s7, s9
	s_add_i32 s9, s8, 0xfffffdc4
	s_waitcnt lgkmcnt(1)
	v_fma_f32 v12, -v13, v35, v12
	s_lshl_b32 s7, s7, 2
	v_mov_b32_e32 v21, s9
	v_mov_b32_e32 v19, s7
	ds_read_b32 v21, v21
	ds_read2_b32 v[24:25], v19 offset0:108 offset1:109
	ds_read2_b32 v[26:27], v19 offset0:96 offset1:97
	;; [unrolled: 1-line block ×6, first 2 shown]
	s_waitcnt lgkmcnt(7)
	v_mul_f32_e32 v12, v12, v23
	s_waitcnt lgkmcnt(5)
	v_mul_f32_e32 v23, v17, v25
	v_mul_f32_e32 v17, v17, v24
	v_fma_f32 v11, v11, s16, -v23
	v_fma_f32 v10, v10, s16, -v17
	s_waitcnt lgkmcnt(4)
	v_fma_f32 v11, -v16, v27, v11
	v_fma_f32 v10, -v16, v26, v10
	ds_read2_b32 v[16:17], v19 offset0:24 offset1:36
	s_waitcnt lgkmcnt(4)
	v_fma_f32 v11, -v15, v29, v11
	v_fma_f32 v10, -v15, v28, v10
	s_waitcnt lgkmcnt(3)
	v_fma_f32 v11, -v14, v31, v11
	v_fma_f32 v10, -v14, v30, v10
	;; [unrolled: 3-line block ×4, first 2 shown]
	v_fma_f32 v11, -v7, v18, v11
	s_waitcnt lgkmcnt(0)
	v_fma_f32 v7, -v7, v17, v8
	ds_read2_b32 v[8:9], v19 offset1:12
	s_sub_i32 s7, s7, 48
	v_mov_b32_e32 v10, s7
	s_add_i32 s7, s8, 0xfffffd90
	ds_read_b32 v10, v10
	v_mov_b32_e32 v14, s7
	v_fma_f32 v11, -v6, v20, v11
	ds_read_b32 v14, v14
	v_fma_f32 v11, -v13, v34, v11
	v_fma_f32 v6, -v6, v16, v7
	;; [unrolled: 1-line block ×3, first 2 shown]
	s_waitcnt lgkmcnt(2)
	v_fma_f32 v6, -v13, v9, v6
	v_mul_f32_e32 v11, v11, v21
	v_fma_f32 v6, -v12, v8, v6
	s_waitcnt lgkmcnt(1)
	v_fma_f32 v6, -v11, v10, v6
	s_waitcnt lgkmcnt(0)
	v_mul_f32_e32 v10, v6, v14
	s_add_i32 s8, s18, -13
	global_store_dwordx4 v[0:1], v[10:13], off offset:-48
	s_cmp_gt_i32 s8, -1
	s_cbranch_scc1 .LBB12_43
	s_branch .LBB12_61
.LBB12_42:
	s_mov_b32 s8, s6
	s_cmp_gt_i32 s8, -1
	s_cbranch_scc0 .LBB12_61
.LBB12_43:
	s_cmp_lt_u32 s8, 7
	s_cbranch_scc1 .LBB12_48
; %bb.44:
	s_mov_b32 s9, 0
	s_lshl_b64 s[12:13], s[8:9], 2
	v_mov_b32_e32 v0, s13
	v_add_co_u32_e32 v10, vcc, s12, v2
	v_addc_co_u32_e32 v11, vcc, v3, v0, vcc
	global_load_dwordx4 v[6:9], v[10:11], off offset:-12
	global_load_dwordx4 v[12:15], v[10:11], off offset:-28
	s_cmp_le_i32 s6, s8
	s_waitcnt vmcnt(1)
	v_pk_mul_f32 v[0:1], v[8:9], s[16:17] op_sel_hi:[1,0]
	v_pk_mul_f32 v[6:7], v[6:7], s[16:17] op_sel_hi:[1,0]
	s_waitcnt vmcnt(0)
	v_pk_mul_f32 v[14:15], v[14:15], s[16:17] op_sel_hi:[1,0]
	v_pk_mul_f32 v[16:17], v[12:13], s[16:17] op_sel_hi:[1,0]
	v_mov_b32_e32 v12, v1
	v_mov_b32_e32 v13, v0
	;; [unrolled: 1-line block ×8, first 2 shown]
	s_cbranch_scc1 .LBB12_47
; %bb.45:
	s_mul_i32 s7, s18, 48
	s_lshl_b32 s9, s8, 2
	s_add_i32 s7, s7, s9
	s_add_i32 s9, s7, 0xffffffb4
	s_ashr_i32 s7, s6, 31
	s_lshl_b64 s[12:13], s[6:7], 2
	s_add_u32 s7, s2, s12
	s_addc_u32 s11, s3, s13
	s_add_u32 s7, s7, s4
	s_addc_u32 s11, s11, s5
	;; [unrolled: 2-line block ×3, first 2 shown]
	v_mov_b32_e32 v15, s11
	v_add_co_u32_e32 v14, vcc, s7, v4
	v_addc_co_u32_e32 v15, vcc, v15, v5, vcc
	s_mov_b32 s7, s6
.LBB12_46:                              ; =>This Inner Loop Header: Depth=1
	global_load_dword v16, v[14:15], off
	v_mov_b32_e32 v17, s9
	ds_read2_b32 v[18:19], v17 offset0:6 offset1:7
	ds_read2_b32 v[20:21], v17 offset0:4 offset1:5
	ds_read2_b32 v[22:23], v17 offset0:2 offset1:3
	ds_read2_b32 v[24:25], v17 offset1:1
	s_add_i32 s7, s7, -1
	s_sub_i32 s9, s9, 48
	v_add_co_u32_e32 v14, vcc, -4, v14
	v_addc_co_u32_e32 v15, vcc, -1, v15, vcc
	s_cmp_gt_i32 s7, s8
	s_waitcnt vmcnt(0) lgkmcnt(3)
	v_pk_mul_f32 v[18:19], v[16:17], v[18:19] op_sel_hi:[0,1]
	s_waitcnt lgkmcnt(2)
	v_pk_mul_f32 v[20:21], v[16:17], v[20:21] op_sel_hi:[0,1]
	s_waitcnt lgkmcnt(1)
	;; [unrolled: 2-line block ×3, first 2 shown]
	v_pk_mul_f32 v[16:17], v[16:17], v[24:25] op_sel_hi:[0,1]
	v_pk_add_f32 v[12:13], v[12:13], v[18:19] op_sel:[0,1] op_sel_hi:[1,0] neg_lo:[0,1] neg_hi:[0,1]
	v_pk_add_f32 v[8:9], v[8:9], v[20:21] op_sel:[0,1] op_sel_hi:[1,0] neg_lo:[0,1] neg_hi:[0,1]
	;; [unrolled: 1-line block ×4, first 2 shown]
	s_cbranch_scc1 .LBB12_46
.LBB12_47:
	s_mul_i32 s7, s8, 52
	s_add_i32 s9, s7, -4
	v_mov_b32_e32 v14, s9
	s_mul_i32 s11, s8, 12
	s_sub_i32 s9, s7, 52
	s_add_i32 s14, s8, -3
	v_mov_b32_e32 v16, s9
	s_add_i32 s9, s14, s11
	s_lshl_b32 s9, s9, 2
	s_add_i32 s15, s11, -12
	ds_read2_b32 v[14:15], v14 offset1:1
	v_mov_b32_e32 v17, s9
	s_add_i32 s9, s14, s15
	s_lshl_b32 s9, s9, 2
	v_mov_b32_e32 v18, s9
	ds_read_b32 v20, v16
	ds_read2_b32 v[16:17], v17 offset1:1
	ds_read2_b32 v[18:19], v18 offset1:1
	s_ashr_i32 s9, s8, 31
	s_waitcnt lgkmcnt(3)
	v_mul_f32_e32 v26, v12, v15
	s_lshl_b64 s[12:13], s[8:9], 2
	s_sub_i32 s9, s11, 24
	global_store_dword v[10:11], v26, off
	v_fma_f32 v10, -v26, v14, v13
	s_add_i32 s14, s14, s9
	s_waitcnt lgkmcnt(2)
	v_mul_f32_e32 v12, v10, v20
	v_mov_b32_e32 v10, s13
	v_add_co_u32_e32 v14, vcc, s12, v2
	s_lshl_b32 s12, s14, 2
	v_addc_co_u32_e32 v15, vcc, v3, v10, vcc
	v_mov_b32_e32 v10, s12
	s_add_i32 s12, s7, 0xffffff64
	v_mov_b32_e32 v13, s12
	s_add_i32 s12, s8, -5
	ds_read2_b32 v[10:11], v10 offset1:1
	s_add_i32 s13, s12, s11
	s_lshl_b32 s13, s13, 2
	s_waitcnt lgkmcnt(2)
	v_fma_f32 v8, -v26, v17, v8
	v_mov_b32_e32 v17, s13
	s_add_i32 s13, s12, s15
	s_waitcnt lgkmcnt(1)
	v_fma_f32 v8, -v12, v19, v8
	s_lshl_b32 s13, s13, 2
	v_mov_b32_e32 v19, s13
	ds_read_b32 v13, v13
	ds_read2_b32 v[20:21], v17 offset1:1
	ds_read2_b32 v[22:23], v19 offset1:1
	s_waitcnt lgkmcnt(3)
	v_mul_f32_e32 v11, v8, v11
	v_fma_f32 v8, -v26, v16, v9
	v_fma_f32 v8, -v12, v18, v8
	s_add_i32 s13, s12, s9
	v_fma_f32 v8, -v11, v10, v8
	s_lshl_b32 s13, s13, 2
	s_waitcnt lgkmcnt(2)
	v_mul_f32_e32 v10, v8, v13
	v_mov_b32_e32 v8, s13
	s_sub_i32 s13, s11, 36
	s_add_i32 s14, s12, s13
	s_lshl_b32 s14, s14, 2
	v_mov_b32_e32 v13, s14
	s_sub_i32 s14, s11, 48
	s_add_i32 s12, s12, s14
	s_lshl_b32 s12, s12, 2
	global_store_dwordx3 v[14:15], v[10:12], off offset:-12
	v_mov_b32_e32 v18, s12
	ds_read2_b32 v[8:9], v8 offset1:1
	ds_read2_b32 v[16:17], v13 offset1:1
	;; [unrolled: 1-line block ×3, first 2 shown]
	s_waitcnt lgkmcnt(4)
	v_fma_f32 v6, -v26, v21, v6
	s_waitcnt lgkmcnt(3)
	v_fma_f32 v6, -v12, v23, v6
	s_add_i32 s12, s7, 0xfffffefc
	s_waitcnt lgkmcnt(2)
	v_fma_f32 v6, -v11, v9, v6
	v_mov_b32_e32 v13, s12
	s_waitcnt lgkmcnt(1)
	v_fma_f32 v6, -v10, v17, v6
	ds_read_b32 v13, v13
	s_waitcnt lgkmcnt(1)
	v_mul_f32_e32 v9, v6, v19
	v_fma_f32 v6, -v26, v20, v7
	v_fma_f32 v6, -v12, v22, v6
	;; [unrolled: 1-line block ×3, first 2 shown]
	s_add_i32 s12, s8, -7
	v_fma_f32 v6, -v10, v16, v6
	s_add_i32 s11, s12, s11
	v_fma_f32 v6, -v9, v18, v6
	s_lshl_b32 s11, s11, 2
	s_waitcnt lgkmcnt(0)
	v_mul_f32_e32 v8, v6, v13
	v_mov_b32_e32 v6, s11
	s_add_i32 s11, s12, s15
	s_add_i32 s9, s12, s9
	s_lshl_b32 s11, s11, 2
	s_lshl_b32 s9, s9, 2
	v_mov_b32_e32 v13, s11
	v_mov_b32_e32 v18, s9
	s_add_i32 s9, s12, s13
	ds_read2_b32 v[6:7], v6 offset1:1
	ds_read2_b32 v[16:17], v13 offset1:1
	s_lshl_b32 s9, s9, 2
	s_add_i32 s12, s12, s14
	v_mov_b32_e32 v13, s9
	s_lshl_b32 s9, s12, 2
	ds_read2_b32 v[18:19], v18 offset1:1
	ds_read2_b32 v[20:21], v13 offset1:1
	s_sub_i32 s11, s9, 48
	s_waitcnt lgkmcnt(3)
	v_fma_f32 v0, -v26, v7, v0
	v_mov_b32_e32 v7, s9
	v_mov_b32_e32 v13, s11
	s_add_i32 s11, s7, 0xfffffec8
	ds_read2_b32 v[22:23], v7 offset1:1
	ds_read2_b32 v[24:25], v13 offset1:1
	v_mov_b32_e32 v7, s11
	s_waitcnt lgkmcnt(4)
	v_fma_f32 v0, -v12, v17, v0
	ds_read_b32 v7, v7
	s_waitcnt lgkmcnt(4)
	v_fma_f32 v0, -v11, v19, v0
	s_waitcnt lgkmcnt(3)
	v_fma_f32 v0, -v10, v21, v0
	;; [unrolled: 2-line block ×4, first 2 shown]
	s_waitcnt lgkmcnt(0)
	v_mul_f32_e32 v7, v0, v7
	v_fma_f32 v0, -v26, v6, v1
	s_addk_i32 s9, 0xffa0
	s_addk_i32 s7, 0xfe94
	v_fma_f32 v0, -v12, v16, v0
	v_mov_b32_e32 v1, s9
	v_mov_b32_e32 v6, s7
	v_fma_f32 v0, -v11, v18, v0
	ds_read_b32 v1, v1
	ds_read_b32 v6, v6
	v_fma_f32 v0, -v10, v20, v0
	v_fma_f32 v0, -v9, v22, v0
	;; [unrolled: 1-line block ×3, first 2 shown]
	s_waitcnt lgkmcnt(1)
	v_fma_f32 v0, -v7, v1, v0
	s_waitcnt lgkmcnt(0)
	v_mul_f32_e32 v6, v0, v6
	s_add_i32 s8, s8, -8
	global_store_dwordx4 v[14:15], v[6:9], off offset:-28
.LBB12_48:
	s_cmp_lt_i32 s8, 0
	s_cbranch_scc1 .LBB12_61
; %bb.49:
	s_bitcmp1_b32 s8, 0
	s_cselect_b64 s[12:13], -1, 0
	s_and_b64 vcc, exec, s[12:13]
	s_mov_b32 s12, s8
	s_cbranch_vccnz .LBB12_54
; %bb.50:
	s_mov_b32 s9, 0
	s_lshl_b64 s[12:13], s[8:9], 2
	v_mov_b32_e32 v0, s13
	v_add_co_u32_e32 v6, vcc, s12, v2
	v_addc_co_u32_e32 v7, vcc, v3, v0, vcc
	global_load_dword v0, v[6:7], off
	s_cmp_le_i32 s6, s8
	s_waitcnt vmcnt(0)
	v_mul_f32_e32 v0, s16, v0
	s_cbranch_scc1 .LBB12_53
; %bb.51:
	s_mul_i32 s7, s18, 48
	s_lshl_b32 s9, s8, 2
	s_add_i32 s7, s7, s9
	s_sub_i32 s9, s7, 48
	s_ashr_i32 s7, s6, 31
	s_lshl_b64 s[12:13], s[6:7], 2
	s_add_u32 s7, s2, s12
	s_addc_u32 s11, s3, s13
	s_add_u32 s7, s7, s4
	s_addc_u32 s11, s11, s5
	s_add_u32 s7, s7, s0
	s_addc_u32 s11, s11, s1
	v_mov_b32_e32 v1, s11
	v_add_co_u32_e32 v8, vcc, s7, v4
	v_addc_co_u32_e32 v9, vcc, v1, v5, vcc
	s_mov_b32 s7, s6
.LBB12_52:                              ; =>This Inner Loop Header: Depth=1
	global_load_dword v1, v[8:9], off
	v_mov_b32_e32 v10, s9
	ds_read_b32 v10, v10
	s_add_i32 s7, s7, -1
	s_sub_i32 s9, s9, 48
	v_add_co_u32_e32 v8, vcc, -4, v8
	v_addc_co_u32_e32 v9, vcc, -1, v9, vcc
	s_cmp_gt_i32 s7, s8
	s_waitcnt vmcnt(0) lgkmcnt(0)
	v_fma_f32 v0, -v1, v10, v0
	s_cbranch_scc1 .LBB12_52
.LBB12_53:
	s_mul_i32 s7, s8, 52
	v_mov_b32_e32 v1, s7
	ds_read_b32 v1, v1
	s_add_i32 s12, s8, -1
	s_waitcnt lgkmcnt(0)
	v_mul_f32_e32 v0, v0, v1
	global_store_dword v[6:7], v0, off
.LBB12_54:
	s_cmp_eq_u32 s8, 0
	s_mov_b32 s13, 0
	s_cbranch_scc1 .LBB12_61
; %bb.55:
	s_mul_i32 s7, s18, 48
	s_lshl_b32 s8, s12, 2
	s_add_i32 s9, s7, s8
	s_sub_i32 s8, s9, 48
	s_add_u32 s0, s4, s0
	s_addc_u32 s1, s5, s1
	s_ashr_i32 s7, s6, 31
	v_mov_b32_e32 v0, s1
	v_add_co_u32_e32 v1, vcc, s0, v4
	s_lshl_b64 s[0:1], s[6:7], 2
	s_add_u32 s0, s2, s0
	v_addc_co_u32_e32 v0, vcc, v0, v5, vcc
	s_addc_u32 s1, s3, s1
	s_ashr_i32 s11, s10, 31
	v_add_co_u32_e32 v4, vcc, s0, v1
	s_sub_i32 s0, s9, 52
	v_cmp_lt_i64_e64 s[4:5], s[10:11], 12
	s_and_b64 s[4:5], s[4:5], exec
	s_cselect_b32 s5, s11, 0
	s_cselect_b32 s4, s10, 12
	s_lshl_b64 s[4:5], s[4:5], 2
	v_mov_b32_e32 v5, s1
	s_add_u32 s1, s2, s4
	v_addc_co_u32_e32 v5, vcc, v5, v0, vcc
	s_addc_u32 s2, s3, s5
	v_mov_b32_e32 v6, s2
	v_add_co_u32_e32 v1, vcc, s1, v1
	v_addc_co_u32_e32 v0, vcc, v6, v0, vcc
	v_add_co_u32_e32 v6, vcc, -4, v1
	v_addc_co_u32_e32 v7, vcc, -1, v0, vcc
	s_branch .LBB12_57
.LBB12_56:                              ;   in Loop: Header=BB12_57 Depth=1
	s_sub_i32 s1, s1, 52
	v_mov_b32_e32 v1, s1
	ds_read_b32 v1, v1
	s_add_i32 s1, s12, -2
	s_add_i32 s8, s8, -8
	;; [unrolled: 1-line block ×3, first 2 shown]
	s_cmp_lt_i32 s12, 2
	s_waitcnt lgkmcnt(0)
	v_mul_f32_e32 v0, v0, v1
	s_mov_b32 s12, s1
	global_store_dword v[8:9], v0, off offset:-4
	s_cbranch_scc1 .LBB12_61
.LBB12_57:                              ; =>This Loop Header: Depth=1
                                        ;     Child Loop BB12_58 Depth 2
                                        ;     Child Loop BB12_60 Depth 2
	s_lshl_b64 s[2:3], s[12:13], 2
	v_mov_b32_e32 v1, s3
	v_add_co_u32_e32 v0, vcc, s2, v2
	v_addc_co_u32_e32 v1, vcc, v3, v1, vcc
	global_load_dword v0, v[0:1], off
	v_pk_mov_b32 v[8:9], v[4:5], v[4:5] op_sel:[0,1]
	s_mov_b32 s1, s8
	s_cmp_le_i32 s6, s12
	s_mov_b32 s2, s6
	s_waitcnt vmcnt(0)
	v_mul_f32_e32 v0, s16, v0
	s_cbranch_scc1 .LBB12_59
.LBB12_58:                              ;   Parent Loop BB12_57 Depth=1
                                        ; =>  This Inner Loop Header: Depth=2
	global_load_dword v1, v[8:9], off
	v_mov_b32_e32 v10, s1
	ds_read_b32 v10, v10
	s_add_i32 s2, s2, -1
	s_sub_i32 s1, s1, 48
	v_add_co_u32_e32 v8, vcc, -4, v8
	v_addc_co_u32_e32 v9, vcc, -1, v9, vcc
	s_cmp_gt_i32 s2, s12
	s_waitcnt vmcnt(0) lgkmcnt(0)
	v_fma_f32 v0, -v1, v10, v0
	s_cbranch_scc1 .LBB12_58
.LBB12_59:                              ;   in Loop: Header=BB12_57 Depth=1
	s_add_i32 s2, s12, -1
	s_mov_b32 s3, s13
	s_lshl_b64 s[2:3], s[2:3], 2
	v_mov_b32_e32 v1, s3
	v_add_co_u32_e32 v8, vcc, s2, v2
	v_addc_co_u32_e32 v9, vcc, v3, v1, vcc
	global_load_dword v1, v[8:9], off
	s_mul_i32 s1, s12, 52
	v_mov_b32_e32 v8, s1
	ds_read_b32 v12, v8
	s_ashr_i32 s5, s12, 31
	s_mov_b32 s4, s12
	s_lshl_b64 s[4:5], s[4:5], 2
	v_mov_b32_e32 v9, s5
	v_add_co_u32_e32 v8, vcc, s4, v2
	v_addc_co_u32_e32 v9, vcc, v3, v9, vcc
	s_waitcnt lgkmcnt(0)
	v_mul_f32_e32 v0, v0, v12
	v_pk_mov_b32 v[10:11], v[6:7], v[6:7] op_sel:[0,1]
	s_mov_b32 s2, s0
	s_cmp_le_i32 s18, s12
	global_store_dword v[8:9], v0, off
	s_mov_b32 s3, s18
	s_waitcnt vmcnt(1)
	v_mul_f32_e32 v0, s16, v1
	s_cbranch_scc1 .LBB12_56
.LBB12_60:                              ;   Parent Loop BB12_57 Depth=1
                                        ; =>  This Inner Loop Header: Depth=2
	global_load_dword v1, v[10:11], off
	v_mov_b32_e32 v12, s2
	ds_read_b32 v12, v12
	s_add_i32 s3, s3, -1
	s_sub_i32 s2, s2, 48
	v_add_co_u32_e32 v10, vcc, -4, v10
	v_addc_co_u32_e32 v11, vcc, -1, v11, vcc
	s_cmp_gt_i32 s3, s12
	s_waitcnt vmcnt(0) lgkmcnt(0)
	v_fma_f32 v0, -v1, v12, v0
	s_cbranch_scc1 .LBB12_60
	s_branch .LBB12_56
.LBB12_61:
	s_endpgm
	.section	.rodata,"a",@progbits
	.p2align	6, 0x0
	.amdhsa_kernel _ZL30rocblas_trsm_small_left_deviceILi12ELi12ELb0EffPKfPfEv13rocblas_fill_18rocblas_operation_17rocblas_diagonal_iiT3_T4_lilT5_lili
		.amdhsa_group_segment_fixed_size 576
		.amdhsa_private_segment_fixed_size 0
		.amdhsa_kernarg_size 352
		.amdhsa_user_sgpr_count 6
		.amdhsa_user_sgpr_private_segment_buffer 1
		.amdhsa_user_sgpr_dispatch_ptr 0
		.amdhsa_user_sgpr_queue_ptr 0
		.amdhsa_user_sgpr_kernarg_segment_ptr 1
		.amdhsa_user_sgpr_dispatch_id 0
		.amdhsa_user_sgpr_flat_scratch_init 0
		.amdhsa_user_sgpr_kernarg_preload_length 0
		.amdhsa_user_sgpr_kernarg_preload_offset 0
		.amdhsa_user_sgpr_private_segment_size 0
		.amdhsa_uses_dynamic_stack 0
		.amdhsa_system_sgpr_private_segment_wavefront_offset 0
		.amdhsa_system_sgpr_workgroup_id_x 1
		.amdhsa_system_sgpr_workgroup_id_y 0
		.amdhsa_system_sgpr_workgroup_id_z 1
		.amdhsa_system_sgpr_workgroup_info 0
		.amdhsa_system_vgpr_workitem_id 0
		.amdhsa_next_free_vgpr 60
		.amdhsa_next_free_sgpr 43
		.amdhsa_accum_offset 60
		.amdhsa_reserve_vcc 1
		.amdhsa_reserve_flat_scratch 0
		.amdhsa_float_round_mode_32 0
		.amdhsa_float_round_mode_16_64 0
		.amdhsa_float_denorm_mode_32 3
		.amdhsa_float_denorm_mode_16_64 3
		.amdhsa_dx10_clamp 1
		.amdhsa_ieee_mode 1
		.amdhsa_fp16_overflow 0
		.amdhsa_tg_split 0
		.amdhsa_exception_fp_ieee_invalid_op 0
		.amdhsa_exception_fp_denorm_src 0
		.amdhsa_exception_fp_ieee_div_zero 0
		.amdhsa_exception_fp_ieee_overflow 0
		.amdhsa_exception_fp_ieee_underflow 0
		.amdhsa_exception_fp_ieee_inexact 0
		.amdhsa_exception_int_div_zero 0
	.end_amdhsa_kernel
	.section	.text._ZL30rocblas_trsm_small_left_deviceILi12ELi12ELb0EffPKfPfEv13rocblas_fill_18rocblas_operation_17rocblas_diagonal_iiT3_T4_lilT5_lili,"axG",@progbits,_ZL30rocblas_trsm_small_left_deviceILi12ELi12ELb0EffPKfPfEv13rocblas_fill_18rocblas_operation_17rocblas_diagonal_iiT3_T4_lilT5_lili,comdat
.Lfunc_end12:
	.size	_ZL30rocblas_trsm_small_left_deviceILi12ELi12ELb0EffPKfPfEv13rocblas_fill_18rocblas_operation_17rocblas_diagonal_iiT3_T4_lilT5_lili, .Lfunc_end12-_ZL30rocblas_trsm_small_left_deviceILi12ELi12ELb0EffPKfPfEv13rocblas_fill_18rocblas_operation_17rocblas_diagonal_iiT3_T4_lilT5_lili
                                        ; -- End function
	.section	.AMDGPU.csdata,"",@progbits
; Kernel info:
; codeLenInByte = 7400
; NumSgprs: 47
; NumVgprs: 60
; NumAgprs: 0
; TotalNumVgprs: 60
; ScratchSize: 0
; MemoryBound: 0
; FloatMode: 240
; IeeeMode: 1
; LDSByteSize: 576 bytes/workgroup (compile time only)
; SGPRBlocks: 5
; VGPRBlocks: 7
; NumSGPRsForWavesPerEU: 47
; NumVGPRsForWavesPerEU: 60
; AccumOffset: 60
; Occupancy: 8
; WaveLimiterHint : 0
; COMPUTE_PGM_RSRC2:SCRATCH_EN: 0
; COMPUTE_PGM_RSRC2:USER_SGPR: 6
; COMPUTE_PGM_RSRC2:TRAP_HANDLER: 0
; COMPUTE_PGM_RSRC2:TGID_X_EN: 1
; COMPUTE_PGM_RSRC2:TGID_Y_EN: 0
; COMPUTE_PGM_RSRC2:TGID_Z_EN: 1
; COMPUTE_PGM_RSRC2:TIDIG_COMP_CNT: 0
; COMPUTE_PGM_RSRC3_GFX90A:ACCUM_OFFSET: 14
; COMPUTE_PGM_RSRC3_GFX90A:TG_SPLIT: 0
	.section	.text._ZL38rocblas_trsm_small_left_device_sharedBILi12ELi12ELb1EffPKfPfEv13rocblas_fill_18rocblas_operation_17rocblas_diagonal_iiT3_T4_lilT5_lili,"axG",@progbits,_ZL38rocblas_trsm_small_left_device_sharedBILi12ELi12ELb1EffPKfPfEv13rocblas_fill_18rocblas_operation_17rocblas_diagonal_iiT3_T4_lilT5_lili,comdat
	.globl	_ZL38rocblas_trsm_small_left_device_sharedBILi12ELi12ELb1EffPKfPfEv13rocblas_fill_18rocblas_operation_17rocblas_diagonal_iiT3_T4_lilT5_lili ; -- Begin function _ZL38rocblas_trsm_small_left_device_sharedBILi12ELi12ELb1EffPKfPfEv13rocblas_fill_18rocblas_operation_17rocblas_diagonal_iiT3_T4_lilT5_lili
	.p2align	8
	.type	_ZL38rocblas_trsm_small_left_device_sharedBILi12ELi12ELb1EffPKfPfEv13rocblas_fill_18rocblas_operation_17rocblas_diagonal_iiT3_T4_lilT5_lili,@function
_ZL38rocblas_trsm_small_left_device_sharedBILi12ELi12ELb1EffPKfPfEv13rocblas_fill_18rocblas_operation_17rocblas_diagonal_iiT3_T4_lilT5_lili: ; @_ZL38rocblas_trsm_small_left_device_sharedBILi12ELi12ELb1EffPKfPfEv13rocblas_fill_18rocblas_operation_17rocblas_diagonal_iiT3_T4_lilT5_lili
; %bb.0:
	s_load_dwordx4 s[8:11], s[4:5], 0x4
	s_load_dword s25, s[4:5], 0x14
	s_load_dwordx4 s[0:3], s[4:5], 0x30
	s_load_dwordx2 s[16:17], s[4:5], 0x40
	s_mov_b32 s26, 0
	s_waitcnt lgkmcnt(0)
	s_min_i32 s24, s10, 12
	v_cmp_gt_i32_e32 vcc, s24, v0
	s_and_saveexec_b64 s[18:19], vcc
	s_cbranch_execz .LBB13_15
; %bb.1:
	s_load_dword s20, s[4:5], 0x28
	s_load_dwordx4 s[12:15], s[4:5], 0x18
	s_cmp_gt_u32 s24, 1
	s_cselect_b64 s[22:23], -1, 0
	s_mov_b32 s21, 1
	s_waitcnt lgkmcnt(0)
	s_cmp_eq_u32 s20, 1
	s_cselect_b64 s[28:29], -1, 0
	s_and_b64 s[28:29], s[22:23], s[28:29]
	s_mov_b64 s[22:23], -1
	s_and_b64 vcc, exec, s[28:29]
	s_cbranch_vccz .LBB13_9
; %bb.2:
	s_add_i32 s22, s24, -2
	s_lshr_b32 s23, s22, 1
	s_add_i32 s23, s23, 1
	s_cmp_lt_u32 s22, 14
	s_mov_b32 s22, s26
	s_cbranch_scc1 .LBB13_5
; %bb.3:
	s_mul_i32 s21, s1, s7
	s_mul_hi_u32 s22, s0, s7
	s_add_i32 s29, s22, s21
	s_mul_i32 s28, s0, s7
	s_and_b32 s27, s23, -8
	s_lshl_b64 s[28:29], s[28:29], 2
	s_lshl_b64 s[30:31], s[14:15], 2
	s_add_u32 s21, s28, s30
	s_addc_u32 s22, s29, s31
	s_add_u32 s21, s12, s21
	v_lshlrev_b32_e32 v1, 2, v0
	s_addc_u32 s22, s13, s22
	v_mov_b32_e32 v2, s22
	v_add_co_u32_e32 v1, vcc, s21, v1
	v_addc_co_u32_e32 v3, vcc, 0, v2, vcc
	v_add_co_u32_e32 v2, vcc, 56, v1
	v_addc_co_u32_e32 v3, vcc, 0, v3, vcc
	s_mov_b32 s21, 1
	s_mov_b32 s22, 0
.LBB13_4:                               ; =>This Inner Loop Header: Depth=1
	global_load_dwordx4 v[4:7], v[2:3], off offset:-56
	global_load_dwordx4 v[8:11], v[2:3], off offset:-40
	;; [unrolled: 1-line block ×4, first 2 shown]
	s_mul_i32 s28, s21, 12
	s_mul_i32 s29, s26, 12
	s_add_i32 s22, s22, 16
	s_add_i32 s21, s21, 16
	;; [unrolled: 1-line block ×3, first 2 shown]
	s_add_i32 s27, s27, -8
	v_add_co_u32_e32 v2, vcc, 64, v2
	v_add_lshl_u32 v1, s29, v0, 2
	v_add_lshl_u32 v20, s28, v0, 2
	s_add_i32 s30, s28, 24
	s_add_i32 s31, s29, 24
	;; [unrolled: 1-line block ×12, first 2 shown]
	s_addk_i32 s28, 0xa8
	s_addk_i32 s29, 0xa8
	v_addc_co_u32_e32 v3, vcc, 0, v3, vcc
	s_cmp_lg_u32 s27, 0
	v_add_lshl_u32 v21, s31, v0, 2
	v_add_lshl_u32 v22, s30, v0, 2
	v_add_lshl_u32 v23, s34, v0, 2
	v_add_lshl_u32 v24, s33, v0, 2
	v_add_lshl_u32 v25, s36, v0, 2
	v_add_lshl_u32 v26, s35, v0, 2
	v_add_lshl_u32 v27, s38, v0, 2
	v_add_lshl_u32 v28, s37, v0, 2
	v_add_lshl_u32 v29, s40, v0, 2
	v_add_lshl_u32 v30, s39, v0, 2
	v_add_lshl_u32 v31, s42, v0, 2
	v_add_lshl_u32 v32, s41, v0, 2
	v_add_lshl_u32 v33, s29, v0, 2
	v_add_lshl_u32 v34, s28, v0, 2
	s_waitcnt vmcnt(3)
	ds_write_b32 v1, v4
	ds_write_b32 v20, v5
	ds_write_b32 v21, v6
	ds_write_b32 v22, v7
	s_waitcnt vmcnt(2)
	ds_write_b32 v23, v8
	ds_write_b32 v24, v9
	ds_write_b32 v25, v10
	ds_write_b32 v26, v11
	;; [unrolled: 5-line block ×4, first 2 shown]
	s_cbranch_scc1 .LBB13_4
.LBB13_5:
	s_and_b32 s27, s23, 7
	s_cmp_eq_u32 s27, 0
	s_mov_b32 s23, 0
	s_cbranch_scc1 .LBB13_8
; %bb.6:
	s_mul_i32 s28, s1, s7
	s_mul_hi_u32 s29, s0, s7
	s_add_i32 s29, s29, s28
	s_mul_i32 s28, s0, s7
	s_lshl_b64 s[28:29], s[28:29], 2
	s_lshl_b64 s[30:31], s[14:15], 2
	s_add_u32 s28, s28, s30
	s_addc_u32 s29, s29, s31
	s_lshl_b64 s[22:23], s[22:23], 2
	s_add_u32 s22, s12, s22
	s_addc_u32 s23, s13, s23
	s_add_u32 s22, s22, s28
	v_lshlrev_b32_e32 v1, 2, v0
	s_addc_u32 s23, s23, s29
	v_mov_b32_e32 v3, s23
	v_add_co_u32_e32 v2, vcc, s22, v1
	v_addc_co_u32_e32 v3, vcc, 0, v3, vcc
	s_lshl_b32 s22, s27, 3
.LBB13_7:                               ; =>This Inner Loop Header: Depth=1
	global_load_dwordx2 v[4:5], v[2:3], off
	s_mul_i32 s23, s21, 12
	s_mul_i32 s27, s26, 12
	s_add_i32 s21, s21, 2
	s_add_i32 s26, s26, 2
	v_add_co_u32_e32 v2, vcc, 8, v2
	s_add_i32 s22, s22, -8
	v_addc_co_u32_e32 v3, vcc, 0, v3, vcc
	v_add_lshl_u32 v1, s27, v0, 2
	s_cmp_lg_u32 s22, 0
	v_add_lshl_u32 v6, s23, v0, 2
	s_waitcnt vmcnt(0)
	ds_write_b32 v1, v4
	ds_write_b32 v6, v5
	s_cbranch_scc1 .LBB13_7
.LBB13_8:
	s_and_b32 s26, s24, -2
	s_cmp_lg_u32 s24, s26
	s_cselect_b64 s[22:23], -1, 0
.LBB13_9:
	s_and_b64 vcc, exec, s[22:23]
	s_cbranch_vccz .LBB13_12
; %bb.10:
	s_ashr_i32 s21, s20, 31
	s_mul_i32 s1, s1, s7
	s_mul_hi_u32 s22, s0, s7
	s_add_i32 s1, s22, s1
	s_mul_hi_u32 s22, s20, s26
	s_mul_i32 s23, s21, s26
	s_mul_i32 s0, s0, s7
	s_add_i32 s23, s22, s23
	s_mul_i32 s22, s20, s26
	s_lshl_b64 s[0:1], s[0:1], 2
	s_lshl_b64 s[22:23], s[22:23], 2
	s_add_u32 s22, s0, s22
	s_addc_u32 s23, s1, s23
	s_lshl_b64 s[0:1], s[14:15], 2
	s_add_u32 s0, s22, s0
	s_addc_u32 s1, s23, s1
	s_add_u32 s0, s12, s0
	v_lshlrev_b32_e32 v1, 2, v0
	s_addc_u32 s1, s13, s1
	v_mov_b32_e32 v3, s1
	v_add_co_u32_e32 v2, vcc, s0, v1
	s_lshl_b64 s[0:1], s[20:21], 2
	s_mul_i32 s13, s26, 48
	v_addc_co_u32_e32 v3, vcc, 0, v3, vcc
	s_sub_i32 s12, s24, s26
	v_lshl_add_u32 v1, v0, 2, s13
	v_mov_b32_e32 v4, s1
.LBB13_11:                              ; =>This Inner Loop Header: Depth=1
	global_load_dword v5, v[2:3], off
	v_add_co_u32_e32 v2, vcc, s0, v2
	s_add_i32 s12, s12, -1
	v_addc_co_u32_e32 v3, vcc, v3, v4, vcc
	s_cmp_eq_u32 s12, 0
	s_waitcnt vmcnt(0)
	ds_write_b32 v1, v5
	v_add_u32_e32 v1, 48, v1
	s_cbranch_scc0 .LBB13_11
.LBB13_12:
	v_mul_u32_u24_e32 v1, 13, v0
	s_cmpk_lg_i32 s9, 0x84
	v_lshlrev_b32_e32 v1, 2, v1
	v_mov_b32_e32 v2, 1.0
	s_cbranch_scc0 .LBB13_14
; %bb.13:
	ds_read_b32 v2, v1
	s_waitcnt lgkmcnt(0)
	v_div_scale_f32 v3, s[0:1], v2, v2, 1.0
	v_rcp_f32_e32 v4, v3
	v_div_scale_f32 v5, vcc, 1.0, v2, 1.0
	v_fma_f32 v6, -v3, v4, 1.0
	v_fmac_f32_e32 v4, v6, v4
	v_mul_f32_e32 v6, v5, v4
	v_fma_f32 v7, -v3, v6, v5
	v_fmac_f32_e32 v6, v7, v4
	v_fma_f32 v3, -v3, v6, v5
	v_div_fmas_f32 v3, v3, v4, v6
	v_div_fixup_f32 v2, v3, v2, 1.0
.LBB13_14:
	ds_write_b32 v1, v2
.LBB13_15:
	s_or_b64 exec, exec, s[18:19]
	s_load_dword s9, s[4:5], 0x60
	s_load_dword s18, s[4:5], 0x48
	s_load_dwordx2 s[0:1], s[4:5], 0x50
	s_waitcnt lgkmcnt(0)
	s_ashr_i32 s19, s18, 31
	s_mul_i32 s1, s7, s1
	s_mul_hi_u32 s4, s7, s0
	s_mul_i32 s0, s7, s0
	s_add_i32 s1, s4, s1
	s_lshl_b64 s[0:1], s[0:1], 2
	s_add_u32 s7, s2, s0
	s_addc_u32 s12, s3, s1
	s_lshl_b64 s[4:5], s[16:17], 2
	s_add_u32 s14, s7, s4
	s_mul_i32 s7, s6, -12
	s_addc_u32 s15, s12, s5
	s_add_i32 s9, s9, -1
	s_add_i32 s7, s7, s11
	s_cmp_ge_u32 s6, s9
	s_mul_i32 s6, s6, 12
	s_mul_hi_i32 s13, s18, s6
	s_mul_i32 s12, s18, s6
	s_cselect_b32 s9, s7, 12
	s_ashr_i32 s7, s6, 31
	s_lshl_b64 s[12:13], s[12:13], 2
	s_add_u32 s11, s14, s12
	s_addc_u32 s20, s15, s13
	s_cmp_gt_i32 s10, 0
	v_cmp_gt_i32_e32 vcc, s9, v0
	s_cselect_b64 s[12:13], -1, 0
	s_mov_b32 s16, 0
	s_and_b64 s[12:13], vcc, s[12:13]
	s_and_saveexec_b64 s[14:15], s[12:13]
	s_cbranch_execz .LBB13_23
; %bb.16:
	s_cmp_lt_i32 s10, 8
	s_cbranch_scc1 .LBB13_20
; %bb.17:
	v_mad_i64_i32 v[2:3], s[16:17], s18, v0, 0
	v_lshlrev_b64 v[2:3], 2, v[2:3]
	v_mov_b32_e32 v4, s20
	v_add_co_u32_e32 v1, vcc, s11, v2
	v_addc_co_u32_e32 v2, vcc, v4, v3, vcc
	v_mov_b32_e32 v3, 0x240
	s_lshl_b32 s9, s24, 2
	v_lshl_or_b32 v3, v0, 2, v3
	s_and_b32 s9, s9, 32
	s_mov_b64 s[16:17], 0
.LBB13_18:                              ; =>This Inner Loop Header: Depth=1
	v_mov_b32_e32 v4, s17
	v_add_co_u32_e32 v12, vcc, s16, v1
	v_addc_co_u32_e32 v13, vcc, v2, v4, vcc
	global_load_dwordx4 v[4:7], v[12:13], off
	global_load_dwordx4 v[8:11], v[12:13], off offset:16
	s_add_u32 s16, s16, 32
	s_addc_u32 s17, s17, 0
	s_cmp_lg_u32 s9, s16
	s_waitcnt vmcnt(1)
	v_mul_f32_e32 v4, s25, v4
	v_mul_f32_e32 v5, s25, v5
	;; [unrolled: 1-line block ×4, first 2 shown]
	s_waitcnt vmcnt(0)
	v_mul_f32_e32 v8, s25, v8
	v_mul_f32_e32 v9, s25, v9
	;; [unrolled: 1-line block ×4, first 2 shown]
	ds_write2_b32 v3, v4, v5 offset1:12
	ds_write2_b32 v3, v6, v7 offset0:24 offset1:36
	ds_write2_b32 v3, v8, v9 offset0:48 offset1:60
	;; [unrolled: 1-line block ×3, first 2 shown]
	v_add_u32_e32 v3, 0x180, v3
	s_cbranch_scc1 .LBB13_18
; %bb.19:
	s_mov_b32 s16, 8
.LBB13_20:
	s_and_b32 s9, s24, 7
	s_cmp_eq_u32 s9, 0
	s_cbranch_scc1 .LBB13_23
; %bb.21:
	s_mul_i32 s17, s16, 48
	s_lshl_b64 s[22:23], s[6:7], 2
	s_lshl_b32 s16, s16, 2
	s_add_u32 s16, s2, s16
	v_lshl_add_u32 v1, v0, 2, s17
	s_addc_u32 s17, s3, 0
	s_add_u32 s16, s16, s4
	s_addc_u32 s17, s17, s5
	v_lshlrev_b32_e32 v2, 2, v0
	s_add_u32 s16, s16, s0
	v_mov_b32_e32 v3, s23
	v_add_co_u32_e32 v4, vcc, s22, v2
	s_addc_u32 s17, s17, s1
	v_addc_co_u32_e32 v5, vcc, 0, v3, vcc
	v_pk_mov_b32 v[2:3], s[16:17], s[16:17] op_sel:[0,1]
	v_mad_u64_u32 v[2:3], s[16:17], v4, s18, v[2:3]
	v_mul_lo_u32 v4, v4, s19
	v_mul_lo_u32 v5, v5, s18
	v_add_u32_e32 v1, 0x240, v1
	v_add3_u32 v3, v5, v3, v4
.LBB13_22:                              ; =>This Inner Loop Header: Depth=1
	global_load_dword v4, v[2:3], off
	v_add_co_u32_e32 v2, vcc, 4, v2
	s_add_i32 s9, s9, -1
	v_addc_co_u32_e32 v3, vcc, 0, v3, vcc
	s_cmp_lg_u32 s9, 0
	s_waitcnt vmcnt(0)
	v_mul_f32_e32 v4, s25, v4
	ds_write_b32 v1, v4
	v_add_u32_e32 v1, 48, v1
	s_cbranch_scc1 .LBB13_22
.LBB13_23:
	s_or_b64 exec, exec, s[14:15]
	s_cmpk_eq_i32 s8, 0x6f
	s_mov_b64 s[8:9], -1
	s_waitcnt lgkmcnt(0)
	; wave barrier
	s_waitcnt lgkmcnt(0)
	s_cbranch_scc1 .LBB13_46
; %bb.24:
	s_add_i32 s8, s24, -1
	s_cmp_gt_i32 s10, 11
	s_cbranch_scc0 .LBB13_26
; %bb.25:
	s_mul_i32 s9, s8, 12
	v_add_lshl_u32 v1, s9, v0, 2
	s_mul_i32 s9, s24, 12
	s_sub_i32 s14, s9, 24
	v_add_lshl_u32 v26, s14, v0, 2
	s_sub_i32 s14, s9, 36
	v_add_lshl_u32 v34, s14, v0, 2
	s_add_i32 s14, s14, s8
	s_sub_i32 s15, s9, 48
	s_sub_i32 s16, s9, 60
	s_add_i32 s17, s9, 0xffffffb8
	s_add_i32 s21, s9, 0xffffffac
	;; [unrolled: 1-line block ×7, first 2 shown]
	s_add_i32 s26, s9, -12
	s_mul_i32 s9, s8, 52
	s_lshl_b32 s14, s14, 2
	v_add_lshl_u32 v35, s15, v0, 2
	v_add_lshl_u32 v22, s26, v0, 2
	s_sub_i32 s26, s9, 52
	s_add_i32 s34, s14, -4
	s_add_i32 s14, s9, 0xffffff98
	s_add_i32 s15, s15, s8
	v_add_lshl_u32 v41, s17, v0, 2
	v_add_lshl_u32 v44, s23, v0, 2
	v_mov_b32_e32 v3, s26
	v_mov_b32_e32 v6, s14
	s_lshl_b32 s14, s15, 2
	s_add_i32 s15, s9, 0xffffff30
	s_add_i32 s17, s17, s8
	v_add_lshl_u32 v40, s16, v0, 2
	v_add_lshl_u32 v42, s21, v0, 2
	;; [unrolled: 1-line block ×3, first 2 shown]
	ds_read_b32 v1, v1 offset:576
	ds_read_b32 v18, v26 offset:576
	;; [unrolled: 1-line block ×8, first 2 shown]
	v_add_lshl_u32 v45, s25, v0, 2
	v_add_lshl_u32 v46, s28, v0, 2
	;; [unrolled: 1-line block ×3, first 2 shown]
	v_mov_b32_e32 v2, s9
	v_mov_b32_e32 v7, s14
	ds_read_b32 v36, v44 offset:576
	ds_read_b32 v28, v45 offset:576
	;; [unrolled: 1-line block ×4, first 2 shown]
	ds_read_b32 v19, v2
	ds_read2_b32 v[4:5], v3 offset1:1
	ds_read_b32 v31, v6
	ds_read_b32 v23, v7
	s_add_i32 s35, s14, -8
	s_add_i32 s14, s9, 0xffffff64
	s_add_i32 s16, s16, s8
	v_mov_b32_e32 v3, s15
	s_lshl_b32 s15, s17, 2
	s_add_i32 s21, s21, s8
	v_mov_b32_e32 v2, s14
	s_lshl_b32 s14, s16, 2
	v_mov_b32_e32 v6, s15
	s_add_i32 s37, s15, -8
	s_add_i32 s16, s15, -16
	s_add_i32 s15, s9, 0xfffffefc
	s_lshl_b32 s17, s21, 2
	v_mov_b32_e32 v7, s15
	s_add_i32 s38, s17, -4
	s_add_i32 s15, s17, -12
	s_sub_i32 s21, s17, 20
	s_add_i32 s17, s9, 0xfffffec8
	s_add_i32 s22, s22, s8
	ds_read_b32 v38, v2
	ds_read_b32 v39, v3
	;; [unrolled: 1-line block ×4, first 2 shown]
	v_mov_b32_e32 v2, s17
	s_lshl_b32 s22, s22, 2
	ds_read_b32 v49, v2
	v_mov_b32_e32 v2, s22
	s_add_i32 s26, s9, 0xfffffe94
	ds_read_b32 v50, v2
	v_mov_b32_e32 v2, s26
	s_add_i32 s27, s9, 0xfffffe60
	s_add_i32 s25, s25, s8
	ds_read_b32 v51, v2
	v_mov_b32_e32 v2, s27
	s_lshl_b32 s29, s25, 2
	ds_read_b32 v52, v2
	v_mov_b32_e32 v2, s29
	s_add_i32 s42, s29, -8
	s_add_i32 s25, s29, -16
	s_sub_i32 s27, s29, 24
	s_sub_i32 s30, s29, 32
	s_add_i32 s29, s9, 0xfffffe2c
	s_add_i32 s33, s33, s8
	ds_read_b32 v53, v2
	v_mov_b32_e32 v2, s29
	s_add_i32 s45, s9, 0xfffffdf8
	s_lshl_b32 s33, s33, 2
	ds_read_b32 v54, v2
	v_mov_b32_e32 v2, s45
	s_add_i32 s45, s33, -8
	s_add_i32 s23, s23, s8
	s_add_i32 s28, s28, s8
	ds_read_b32 v55, v2
	v_mov_b32_e32 v2, s33
	v_mov_b32_e32 v3, s34
	;; [unrolled: 1-line block ×3, first 2 shown]
	s_add_i32 s34, s33, -16
	s_lshl_b32 s26, s23, 2
	s_lshl_b32 s31, s28, 2
	v_mov_b32_e32 v10, s34
	ds_read_b32 v56, v2
	ds_read2_b32 v[6:7], v3 offset1:1
	ds_read2_b32 v[8:9], v8 offset1:1
	;; [unrolled: 1-line block ×3, first 2 shown]
	s_waitcnt lgkmcnt(14)
	v_mul_f32_e32 v19, v1, v19
	s_add_i32 s36, s14, -4
	s_add_i32 s41, s26, -12
	;; [unrolled: 1-line block ×3, first 2 shown]
	v_fma_f32 v5, -v19, v5, v18
	s_add_i32 s39, s22, -8
	v_mov_b32_e32 v10, s41
	v_mov_b32_e32 v12, s44
	;; [unrolled: 1-line block ×4, first 2 shown]
	v_mul_f32_e32 v18, v5, v4
	s_add_i32 s40, s26, -4
	s_add_i32 s43, s31, -4
	ds_read2_b32 v[10:11], v10 offset1:1
	ds_read2_b32 v[12:13], v12 offset1:1
	;; [unrolled: 1-line block ×4, first 2 shown]
	v_mov_b32_e32 v25, s37
	ds_write_b32 v22, v19 offset:576
	v_mov_b32_e32 v1, s39
	s_waitcnt lgkmcnt(7)
	v_pk_mul_f32 v[6:7], v[18:19], v[6:7]
	v_mov_b32_e32 v59, s38
	v_fma_f32 v60, -v19, v23, v20
	v_mov_b32_e32 v61, s40
	v_fma_f32 v62, -v19, v24, v21
	ds_read2_b32 v[4:5], v25 offset1:1
	ds_read2_b32 v[20:21], v59 offset1:1
	;; [unrolled: 1-line block ×4, first 2 shown]
	v_fma_f32 v1, -v19, v50, v27
	v_mov_b32_e32 v27, s42
	v_fma_f32 v50, -v19, v53, v28
	v_mov_b32_e32 v28, s43
	ds_write_b32 v26, v18 offset:576
	v_sub_f32_e32 v7, v30, v7
	v_fma_f32 v53, -v19, v56, v29
	ds_read2_b32 v[26:27], v27 offset1:1
	ds_read2_b32 v[28:29], v28 offset1:1
	v_sub_f32_e32 v30, v7, v6
	v_mul_f32_e32 v30, v30, v31
	v_mov_b32_e32 v31, v18
	s_waitcnt lgkmcnt(6)
	v_pk_mul_f32 v[4:5], v[30:31], v[4:5]
	s_sub_i32 s34, s33, 24
	v_pk_mul_f32 v[14:15], v[30:31], v[14:15]
	v_sub_f32_e32 v5, v62, v5
	s_sub_i32 s28, s31, 20
	s_sub_i32 s29, s31, 28
	;; [unrolled: 1-line block ×3, first 2 shown]
	v_mov_b32_e32 v57, s34
	s_sub_i32 s34, s33, 32
	s_sub_i32 s33, s33, 40
	s_waitcnt lgkmcnt(3)
	v_pk_mul_f32 v[24:25], v[18:19], v[24:25]
	v_pk_mul_f32 v[20:21], v[18:19], v[20:21]
	;; [unrolled: 1-line block ×3, first 2 shown]
	v_sub_f32_e32 v15, v60, v15
	v_sub_f32_e32 v60, v5, v4
	v_pk_mul_f32 v[4:5], v[30:31], v[22:23]
	v_mov_b32_e32 v6, s33
	s_waitcnt lgkmcnt(0)
	v_pk_mul_f32 v[28:29], v[18:19], v[28:29]
	v_mov_b32_e32 v56, s31
	v_sub_f32_e32 v18, v33, v21
	v_sub_f32_e32 v17, v32, v17
	;; [unrolled: 1-line block ×4, first 2 shown]
	s_add_i32 s14, s14, -12
	s_add_i32 s17, s22, -16
	v_mov_b32_e32 v58, s34
	ds_read2_b32 v[6:7], v6 offset1:1
	v_mov_b32_e32 v59, s30
	v_sub_f32_e32 v61, v17, v16
	v_sub_f32_e32 v63, v18, v20
	ds_read2_b32 v[16:17], v57 offset1:1
	ds_read2_b32 v[18:19], v58 offset1:1
	;; [unrolled: 1-line block ×4, first 2 shown]
	v_sub_f32_e32 v56, v25, v24
	v_sub_f32_e32 v24, v37, v29
	;; [unrolled: 1-line block ×3, first 2 shown]
	v_pk_mul_f32 v[4:5], v[30:31], v[26:27]
	v_sub_f32_e32 v58, v24, v28
	v_mov_b32_e32 v22, s17
	v_mov_b32_e32 v23, s25
	ds_write_b32 v34, v30 offset:576
	v_mov_b32_e32 v24, s14
	v_sub_f32_e32 v5, v50, v5
	v_sub_f32_e32 v50, v5, v4
	v_pk_mul_f32 v[4:5], v[30:31], v[8:9]
	ds_read2_b32 v[8:9], v22 offset1:1
	ds_read2_b32 v[22:23], v23 offset1:1
	ds_read2_b32 v[24:25], v24 offset1:1
	v_sub_f32_e32 v14, v15, v14
	v_mul_f32_e32 v14, v14, v38
	v_mov_b32_e32 v15, v30
	s_sub_i32 s23, s26, 20
	s_waitcnt lgkmcnt(0)
	v_pk_mul_f32 v[24:25], v[14:15], v[24:25]
	v_mov_b32_e32 v28, s21
	v_mov_b32_e32 v29, s23
	;; [unrolled: 1-line block ×3, first 2 shown]
	v_sub_f32_e32 v5, v53, v5
	v_sub_f32_e32 v25, v61, v25
	ds_write_b32 v35, v14 offset:576
	v_mov_b32_e32 v62, s28
	v_mov_b32_e32 v64, s16
	v_sub_f32_e32 v53, v5, v4
	ds_read2_b32 v[4:5], v26 offset1:1
	v_sub_f32_e32 v34, v25, v24
	ds_read2_b32 v[24:25], v28 offset1:1
	ds_read2_b32 v[26:27], v29 offset1:1
	;; [unrolled: 1-line block ×4, first 2 shown]
	v_mul_f32_e32 v34, v34, v39
	v_mov_b32_e32 v35, v14
	v_pk_mul_f32 v[10:11], v[14:15], v[10:11]
	v_pk_mul_f32 v[12:13], v[14:15], v[12:13]
	s_waitcnt lgkmcnt(0)
	v_pk_mul_f32 v[30:31], v[34:35], v[30:31]
	v_sub_f32_e32 v11, v56, v11
	v_sub_f32_e32 v31, v60, v31
	v_pk_mul_f32 v[8:9], v[34:35], v[8:9]
	s_sub_i32 s22, s22, 24
	s_sub_i32 s26, s26, 28
	v_pk_mul_f32 v[4:5], v[14:15], v[4:5]
	v_sub_f32_e32 v13, v58, v13
	v_sub_f32_e32 v1, v1, v9
	;; [unrolled: 1-line block ×3, first 2 shown]
	v_pk_mul_f32 v[10:11], v[34:35], v[22:23]
	v_sub_f32_e32 v9, v31, v30
	v_mov_b32_e32 v36, s26
	v_mov_b32_e32 v37, s22
	v_sub_f32_e32 v5, v63, v5
	v_sub_f32_e32 v11, v50, v11
	;; [unrolled: 1-line block ×3, first 2 shown]
	v_mul_f32_e32 v12, v9, v48
	v_mov_b32_e32 v13, v34
	v_mov_b32_e32 v57, s29
	;; [unrolled: 1-line block ×3, first 2 shown]
	v_sub_f32_e32 v61, v5, v4
	ds_read2_b32 v[4:5], v36 offset1:1
	ds_read2_b32 v[14:15], v57 offset1:1
	;; [unrolled: 1-line block ×4, first 2 shown]
	v_pk_mul_f32 v[22:23], v[12:13], v[24:25]
	v_pk_mul_f32 v[2:3], v[34:35], v[2:3]
	v_sub_f32_e32 v23, v61, v23
	v_sub_f32_e32 v3, v53, v3
	;; [unrolled: 1-line block ×4, first 2 shown]
	v_mul_f32_e32 v2, v2, v49
	v_mov_b32_e32 v3, v12
	ds_write_b32 v40, v34 offset:576
	v_sub_f32_e32 v1, v1, v8
	v_pk_mul_f32 v[8:9], v[12:13], v[26:27]
	v_sub_f32_e32 v24, v11, v10
	v_pk_mul_f32 v[10:11], v[12:13], v[28:29]
	ds_write_b32 v41, v12 offset:576
	s_waitcnt lgkmcnt(3)
	v_pk_mul_f32 v[12:13], v[2:3], v[36:37]
	v_sub_f32_e32 v1, v1, v13
	v_sub_f32_e32 v11, v50, v11
	v_sub_f32_e32 v1, v1, v12
	v_sub_f32_e32 v9, v56, v9
	v_sub_f32_e32 v22, v11, v10
	v_mul_f32_e32 v10, v1, v51
	v_mov_b32_e32 v11, v2
	v_sub_f32_e32 v13, v9, v8
	v_pk_mul_f32 v[4:5], v[10:11], v[4:5]
	s_waitcnt lgkmcnt(2)
	v_pk_mul_f32 v[8:9], v[2:3], v[38:39]
	ds_write_b32 v42, v2 offset:576
	v_sub_f32_e32 v1, v13, v5
	v_pk_mul_f32 v[2:3], v[2:3], v[16:17]
	v_sub_f32_e32 v9, v24, v9
	v_sub_f32_e32 v3, v25, v3
	v_sub_f32_e32 v1, v1, v4
	v_sub_f32_e32 v12, v9, v8
	v_pk_mul_f32 v[8:9], v[10:11], v[14:15]
	v_sub_f32_e32 v11, v3, v2
	v_mul_f32_e32 v2, v1, v52
	v_mov_b32_e32 v3, v10
	v_pk_mul_f32 v[4:5], v[2:3], v[32:33]
	v_sub_f32_e32 v1, v12, v5
	v_sub_f32_e32 v1, v1, v4
	v_sub_f32_e32 v9, v22, v9
	v_mul_f32_e32 v4, v1, v54
	v_mov_b32_e32 v5, v2
	ds_write_b32 v43, v10 offset:576
	v_sub_f32_e32 v10, v9, v8
	v_pk_mul_f32 v[8:9], v[4:5], v[20:21]
	ds_write_b32 v44, v2 offset:576
	v_sub_f32_e32 v1, v10, v9
	v_pk_mul_f32 v[2:3], v[2:3], v[18:19]
	v_sub_f32_e32 v3, v11, v3
	v_sub_f32_e32 v1, v1, v8
	s_addk_i32 s9, 0xfdc4
	v_sub_f32_e32 v5, v3, v2
	v_mul_f32_e32 v2, v1, v55
	v_mov_b32_e32 v1, s9
	ds_read_b32 v1, v1
	v_mov_b32_e32 v3, v4
	ds_write_b32 v45, v4 offset:576
	ds_write_b32 v46, v2 offset:576
	v_pk_mul_f32 v[2:3], v[2:3], v[6:7]
	v_sub_f32_e32 v3, v5, v3
	v_sub_f32_e32 v2, v3, v2
	s_waitcnt lgkmcnt(2)
	v_mul_f32_e32 v1, v2, v1
	s_add_i32 s9, s24, -13
	ds_write_b32 v47, v1 offset:576
	s_cmp_gt_i32 s9, -1
	s_cbranch_scc1 .LBB13_27
	s_branch .LBB13_45
.LBB13_26:
	s_mov_b32 s9, s8
	s_cmp_gt_i32 s9, -1
	s_cbranch_scc0 .LBB13_45
.LBB13_27:
	s_cmp_lt_u32 s9, 7
	s_cbranch_scc1 .LBB13_32
; %bb.28:
	s_mul_i32 s15, s9, 12
	s_sub_i32 s16, s15, 24
	v_add_lshl_u32 v1, s16, v0, 2
	s_sub_i32 s16, s15, 36
	v_add_lshl_u32 v3, s16, v0, 2
	;; [unrolled: 2-line block ×4, first 2 shown]
	s_add_i32 s14, s15, -12
	v_add_lshl_u32 v5, s16, v0, 2
	s_add_i32 s16, s15, 0xffffffb8
	s_addk_i32 s15, 0xffac
	v_add_lshl_u32 v6, s16, v0, 2
	v_add_lshl_u32 v7, s15, v0, 2
	;; [unrolled: 1-line block ×3, first 2 shown]
	ds_read_b32 v2, v1 offset:576
	ds_read_b32 v3, v3 offset:576
	;; [unrolled: 1-line block ×8, first 2 shown]
	s_cmp_le_i32 s8, s9
	s_cbranch_scc1 .LBB13_31
; %bb.29:
	s_mul_i32 s15, s9, 48
	s_lshl_b32 s16, s24, 2
	s_add_i32 s15, s15, s16
	s_mul_i32 s16, s24, 48
	v_lshl_add_u32 v10, v0, 2, s16
	s_addk_i32 s15, 0xfeac
	v_add_u32_e32 v10, 0x210, v10
	s_mov_b32 s16, s8
.LBB13_30:                              ; =>This Inner Loop Header: Depth=1
	v_mov_b32_e32 v15, s15
	ds_read_b32 v14, v10
	ds_read2_b32 v[12:13], v15 offset0:72 offset1:84
	s_add_i32 s16, s16, -1
	s_add_i32 s15, s15, -4
	s_cmp_gt_i32 s16, s9
	v_subrev_u32_e32 v10, 48, v10
	s_waitcnt lgkmcnt(0)
	v_fma_f32 v8, -v14, v13, v8
	v_fma_f32 v1, -v14, v12, v1
	ds_read2_b32 v[12:13], v15 offset0:48 offset1:60
	s_waitcnt lgkmcnt(0)
	v_fma_f32 v2, -v14, v13, v2
	v_fma_f32 v3, -v14, v12, v3
	ds_read2_b32 v[12:13], v15 offset0:24 offset1:36
	s_waitcnt lgkmcnt(0)
	v_fma_f32 v4, -v14, v13, v4
	v_fma_f32 v5, -v14, v12, v5
	ds_read2_b32 v[12:13], v15 offset1:12
	s_waitcnt lgkmcnt(0)
	v_fma_f32 v6, -v14, v13, v6
	v_fma_f32 v7, -v14, v12, v7
	s_cbranch_scc1 .LBB13_30
.LBB13_31:
	s_mul_i32 s15, s9, 52
	s_sub_i32 s21, s14, 24
	s_add_i32 s17, s15, 0xffffff98
	s_add_i32 s22, s21, s9
	v_add_u32_e32 v10, 0x240, v9
	v_add_u32_e32 v9, 0x240, v11
	v_mov_b32_e32 v11, s15
	s_lshl_b32 s22, s22, 2
	v_mov_b32_e32 v12, s17
	ds_read_b32 v11, v11
	ds_read_b32 v32, v12
	s_add_i32 s23, s15, 0xffffff64
	s_sub_i32 s26, s14, 48
	v_mov_b32_e32 v12, s22
	s_add_i32 s25, s15, 0xffffff30
	s_add_i32 s27, s26, s9
	ds_read_b32 v14, v12
	v_mov_b32_e32 v12, s23
	s_lshl_b32 s27, s27, 2
	ds_read_b32 v33, v12
	v_mov_b32_e32 v12, s25
	s_add_i32 s28, s15, 0xfffffefc
	ds_read_b32 v34, v12
	v_mov_b32_e32 v12, s27
	s_sub_i32 s16, s15, 52
	ds_read_b32 v16, v12
	v_mov_b32_e32 v12, s28
	ds_read_b32 v35, v12
	v_mov_b32_e32 v12, s16
	ds_read2_b32 v[12:13], v12 offset1:1
	s_add_i32 s16, s14, -12
	s_add_i32 s17, s16, s9
	s_waitcnt lgkmcnt(7)
	v_mul_f32_e32 v15, v8, v11
	s_lshl_b32 s17, s17, 2
	s_sub_i32 s23, s14, 36
	s_waitcnt lgkmcnt(0)
	v_fma_f32 v1, -v15, v13, v1
	s_add_i32 s17, s17, -4
	s_add_i32 s25, s23, s9
	s_sub_i32 s29, s14, 60
	v_fma_f32 v11, -v15, v14, v3
	v_mul_f32_e32 v14, v1, v12
	s_lshl_b32 s25, s25, 2
	s_add_i32 s30, s29, s9
	v_mov_b32_e32 v1, s17
	s_add_i32 s28, s25, -4
	s_lshl_b32 s30, s30, 2
	ds_read2_b32 v[12:13], v1 offset1:1
	s_add_i32 s31, s30, -4
	v_mov_b32_e32 v1, s28
	v_fma_f32 v36, -v15, v16, v5
	v_mov_b32_e32 v3, s31
	ds_read2_b32 v[16:17], v1 offset1:1
	ds_read2_b32 v[18:19], v3 offset1:1
	s_waitcnt lgkmcnt(2)
	v_pk_mul_f32 v[12:13], v[14:15], v[12:13]
	s_add_i32 s17, s27, -8
	v_sub_f32_e32 v1, v2, v13
	v_mov_b32_e32 v2, s17
	s_add_i32 s17, s25, -12
	s_add_i32 s25, s15, 0xfffffec8
	s_waitcnt lgkmcnt(1)
	v_pk_mul_f32 v[16:17], v[14:15], v[16:17]
	s_addk_i32 s14, 0xffb8
	v_sub_f32_e32 v17, v4, v17
	v_mov_b32_e32 v4, s25
	s_add_i32 s25, s14, s9
	s_lshl_b32 s25, s25, 2
	v_add_lshl_u32 v39, s26, v0, 2
	s_add_i32 s26, s25, -8
	v_add_lshl_u32 v38, s23, v0, 2
	s_sub_i32 s23, s30, 20
	v_mov_b32_e32 v5, s26
	s_add_i32 s26, s25, -16
	v_add_lshl_u32 v13, s16, v0, 2
	s_add_i32 s16, s22, -8
	v_add_lshl_u32 v37, s21, v0, 2
	s_add_i32 s21, s27, -16
	ds_read_b32 v40, v4
	v_mov_b32_e32 v4, s25
	v_mov_b32_e32 v8, s26
	;; [unrolled: 1-line block ×3, first 2 shown]
	ds_read2_b32 v[2:3], v2 offset1:1
	s_add_i32 s22, s30, -12
	ds_read_b32 v42, v4
	ds_read2_b32 v[4:5], v5 offset1:1
	ds_read2_b32 v[20:21], v8 offset1:1
	;; [unrolled: 1-line block ×3, first 2 shown]
	v_mov_b32_e32 v8, s21
	v_mov_b32_e32 v26, s17
	s_waitcnt lgkmcnt(6)
	v_pk_mul_f32 v[18:19], v[14:15], v[18:19]
	v_mov_b32_e32 v30, s16
	v_sub_f32_e32 v19, v6, v19
	v_mov_b32_e32 v6, s22
	ds_read2_b32 v[24:25], v8 offset1:1
	ds_read2_b32 v[26:27], v26 offset1:1
	;; [unrolled: 1-line block ×4, first 2 shown]
	v_sub_f32_e32 v1, v1, v12
	ds_write_b32 v10, v15
	s_waitcnt lgkmcnt(8)
	v_fma_f32 v15, -v15, v42, v7
	v_mul_f32_e32 v6, v1, v32
	v_mov_b32_e32 v7, v14
	ds_write_b32 v9, v14
	s_waitcnt lgkmcnt(2)
	v_pk_mul_f32 v[8:9], v[6:7], v[30:31]
	v_sub_f32_e32 v1, v11, v9
	v_sub_f32_e32 v1, v1, v8
	v_mul_f32_e32 v8, v1, v33
	v_mov_b32_e32 v9, v6
	v_sub_f32_e32 v12, v17, v16
	v_pk_mul_f32 v[10:11], v[8:9], v[26:27]
	v_pk_mul_f32 v[2:3], v[6:7], v[2:3]
	v_sub_f32_e32 v1, v12, v11
	v_pk_mul_f32 v[4:5], v[6:7], v[4:5]
	v_sub_f32_e32 v3, v36, v3
	v_sub_f32_e32 v5, v15, v5
	;; [unrolled: 1-line block ×4, first 2 shown]
	v_pk_mul_f32 v[2:3], v[8:9], v[28:29]
	v_sub_f32_e32 v9, v5, v4
	v_mul_f32_e32 v4, v1, v34
	v_mov_b32_e32 v5, v8
	ds_write_b32 v13, v6 offset:576
	v_pk_mul_f32 v[6:7], v[4:5], v[24:25]
	v_sub_f32_e32 v14, v19, v18
	v_sub_f32_e32 v1, v11, v7
	;; [unrolled: 1-line block ×4, first 2 shown]
	ds_write_b32 v37, v8 offset:576
	v_sub_f32_e32 v8, v3, v2
	v_mul_f32_e32 v2, v1, v35
	v_mov_b32_e32 v3, v4
	v_pk_mul_f32 v[6:7], v[2:3], v[22:23]
	ds_write_b32 v38, v4 offset:576
	v_sub_f32_e32 v1, v8, v7
	v_pk_mul_f32 v[4:5], v[4:5], v[20:21]
	s_sub_i32 s25, s25, 24
	v_sub_f32_e32 v3, v9, v5
	v_sub_f32_e32 v1, v1, v6
	;; [unrolled: 1-line block ×3, first 2 shown]
	v_mul_f32_e32 v4, v1, v40
	v_mov_b32_e32 v1, s25
	ds_read2_b32 v[6:7], v1 offset1:1
	s_addk_i32 s15, 0xfe94
	v_mov_b32_e32 v1, s15
	ds_read_b32 v1, v1
	v_mov_b32_e32 v5, v2
	ds_write_b32 v39, v2 offset:576
	s_waitcnt lgkmcnt(2)
	v_pk_mul_f32 v[2:3], v[4:5], v[6:7]
	v_sub_f32_e32 v3, v8, v3
	v_sub_f32_e32 v2, v3, v2
	v_add_lshl_u32 v41, s29, v0, 2
	s_waitcnt lgkmcnt(1)
	v_mul_f32_e32 v1, v2, v1
	v_add_lshl_u32 v2, s14, v0, 2
	s_add_i32 s9, s9, -8
	ds_write_b32 v41, v4 offset:576
	ds_write_b32 v2, v1 offset:576
.LBB13_32:
	s_cmp_lt_i32 s9, 0
	s_cbranch_scc1 .LBB13_45
; %bb.33:
	s_bitcmp1_b32 s9, 0
	s_cselect_b64 s[14:15], -1, 0
	s_and_b64 vcc, exec, s[14:15]
	s_mov_b32 s14, s9
	s_cbranch_vccnz .LBB13_38
; %bb.34:
	s_mul_i32 s14, s9, 12
	v_add_lshl_u32 v1, s14, v0, 2
	ds_read_b32 v2, v1 offset:576
	s_cmp_le_i32 s8, s9
	s_cbranch_scc1 .LBB13_37
; %bb.35:
	s_mul_i32 s14, s9, 48
	s_lshl_b32 s15, s24, 2
	s_add_i32 s14, s14, s15
	s_mul_i32 s15, s24, 48
	v_lshl_add_u32 v3, v0, 2, s15
	s_add_i32 s14, s14, -4
	v_add_u32_e32 v3, 0x210, v3
	s_mov_b32 s15, s8
.LBB13_36:                              ; =>This Inner Loop Header: Depth=1
	v_mov_b32_e32 v5, s14
	ds_read_b32 v4, v3
	ds_read_b32 v5, v5
	s_add_i32 s15, s15, -1
	s_add_i32 s14, s14, -4
	v_subrev_u32_e32 v3, 48, v3
	s_cmp_gt_i32 s15, s9
	s_waitcnt lgkmcnt(0)
	v_fma_f32 v2, -v4, v5, v2
	s_cbranch_scc1 .LBB13_36
.LBB13_37:
	s_mul_i32 s14, s9, 52
	v_mov_b32_e32 v3, s14
	ds_read_b32 v3, v3
	v_add_u32_e32 v1, 0x240, v1
	s_add_i32 s14, s9, -1
	s_waitcnt lgkmcnt(0)
	v_mul_f32_e32 v2, v2, v3
	ds_write_b32 v1, v2
.LBB13_38:
	s_cmp_eq_u32 s9, 0
	s_cbranch_scc1 .LBB13_45
; %bb.39:
	s_mul_i32 s9, s14, 48
	s_lshl_b32 s15, s24, 2
	s_mul_i32 s16, s24, 48
	s_add_i32 s15, s9, s15
	v_lshl_add_u32 v1, v0, 2, s16
	s_add_i32 s9, s15, -4
	v_add_u32_e32 v1, 0x210, v1
	s_sub_i32 s15, s15, 52
	s_branch .LBB13_41
.LBB13_40:                              ;   in Loop: Header=BB13_41 Depth=1
	s_sub_i32 s16, s16, 52
	v_add_u32_e32 v2, 0x240, v3
	v_mov_b32_e32 v3, s16
	ds_read_b32 v3, v3
	s_add_i32 s16, s14, -2
	s_addk_i32 s9, 0xffa0
	s_addk_i32 s15, 0xffa0
	s_cmp_lt_i32 s14, 2
	s_waitcnt lgkmcnt(0)
	v_mul_f32_e32 v3, v4, v3
	s_mov_b32 s14, s16
	ds_write_b32 v2, v3
	s_cbranch_scc1 .LBB13_45
.LBB13_41:                              ; =>This Loop Header: Depth=1
                                        ;     Child Loop BB13_42 Depth 2
                                        ;     Child Loop BB13_44 Depth 2
	s_mul_i32 s17, s14, 12
	v_add_lshl_u32 v3, s17, v0, 2
	ds_read_b32 v2, v3 offset:576
	s_cmp_le_i32 s8, s14
	v_mov_b32_e32 v4, v1
	s_mov_b32 s16, s9
	s_mov_b32 s21, s8
	s_cbranch_scc1 .LBB13_43
.LBB13_42:                              ;   Parent Loop BB13_41 Depth=1
                                        ; =>  This Inner Loop Header: Depth=2
	v_mov_b32_e32 v6, s16
	ds_read_b32 v5, v4
	ds_read_b32 v6, v6
	s_add_i32 s21, s21, -1
	s_add_i32 s16, s16, -4
	v_subrev_u32_e32 v4, 48, v4
	s_cmp_gt_i32 s21, s14
	s_waitcnt lgkmcnt(0)
	v_fma_f32 v2, -v5, v6, v2
	s_cbranch_scc1 .LBB13_42
.LBB13_43:                              ;   in Loop: Header=BB13_41 Depth=1
	s_mul_i32 s16, s14, 52
	v_add_u32_e32 v5, 0x240, v3
	v_mov_b32_e32 v3, s16
	ds_read_b32 v6, v3
	s_add_i32 s17, s17, -12
	v_add_lshl_u32 v3, s17, v0, 2
	ds_read_b32 v4, v3 offset:576
	s_cmp_lt_i32 s8, s14
	s_waitcnt lgkmcnt(1)
	v_mul_f32_e32 v2, v2, v6
	ds_write_b32 v5, v2
	v_mov_b32_e32 v2, v1
	s_mov_b32 s17, s15
	s_mov_b32 s21, s24
	s_cbranch_scc1 .LBB13_40
.LBB13_44:                              ;   Parent Loop BB13_41 Depth=1
                                        ; =>  This Inner Loop Header: Depth=2
	v_mov_b32_e32 v6, s17
	ds_read_b32 v5, v2
	ds_read_b32 v6, v6
	s_add_i32 s21, s21, -1
	s_add_i32 s17, s17, -4
	v_subrev_u32_e32 v2, 48, v2
	s_cmp_gt_i32 s21, s14
	s_waitcnt lgkmcnt(0)
	v_fma_f32 v4, -v5, v6, v4
	s_cbranch_scc1 .LBB13_44
	s_branch .LBB13_40
.LBB13_45:
	s_mov_b64 s[8:9], 0
.LBB13_46:
	s_and_b64 vcc, exec, s[8:9]
	s_cbranch_vccz .LBB13_68
; %bb.47:
	s_cmp_gt_i32 s10, 11
	s_cselect_b64 s[8:9], -1, 0
	s_and_b64 vcc, exec, s[8:9]
	s_cbranch_vccz .LBB13_49
; %bb.48:
	v_lshlrev_b32_e32 v1, 2, v0
	v_mov_b32_e32 v48, 0
	ds_read2_b32 v[10:11], v1 offset0:144 offset1:156
	ds_read2_b32 v[18:19], v1 offset0:168 offset1:180
	;; [unrolled: 1-line block ×5, first 2 shown]
	ds_read_b128 v[2:5], v48
	v_add_u32_e32 v49, 0x400, v1
	ds_read2_b32 v[30:31], v49 offset0:8 offset1:20
	ds_read2_b32 v[20:21], v48 offset0:13 offset1:14
	ds_read_b128 v[6:9], v48 offset:16
	ds_read2_b64 v[14:17], v48 offset0:13 offset1:14
	ds_read_b32 v52, v48 offset:92
	s_waitcnt lgkmcnt(5)
	v_mul_f32_e32 v50, v10, v2
	v_fma_f32 v2, -v50, v3, v11
	s_waitcnt lgkmcnt(3)
	v_mul_f32_e32 v51, v2, v20
	v_fma_f32 v2, -v50, v4, v18
	ds_read_b128 v[10:13], v48 offset:32
	v_fma_f32 v2, -v51, v21, v2
	ds_read2_b32 v[20:21], v48 offset0:15 offset1:16
	ds_write2_b32 v1, v50, v51 offset0:144 offset1:156
	s_waitcnt lgkmcnt(4)
	v_mul_f32_e32 v53, v2, v14
	v_fma_f32 v2, -v50, v5, v19
	ds_read2_b32 v[24:25], v48 offset0:17 offset1:18
	ds_read2_b32 v[32:33], v48 offset0:19 offset1:20
	;; [unrolled: 1-line block ×4, first 2 shown]
	s_waitcnt lgkmcnt(5)
	v_fma_f32 v2, -v51, v20, v2
	v_fma_f32 v2, -v53, v15, v2
	ds_read2_b32 v[36:37], v48 offset0:41 offset1:42
	ds_read2_b32 v[38:39], v48 offset0:43 offset1:44
	;; [unrolled: 1-line block ×3, first 2 shown]
	v_fma_f32 v6, -v50, v6, v22
	s_waitcnt lgkmcnt(3)
	v_mul_f32_e32 v54, v2, v18
	ds_read_b128 v[2:5], v48 offset:208
	v_fma_f32 v6, -v51, v21, v6
	v_fma_f32 v6, -v53, v16, v6
	v_fma_f32 v6, -v54, v19, v6
	ds_read_b128 v[18:21], v48 offset:224
	s_waitcnt lgkmcnt(1)
	v_mul_f32_e32 v55, v6, v2
	v_fma_f32 v2, -v50, v7, v23
	ds_read2_b32 v[6:7], v48 offset0:65 offset1:66
	ds_write2_b32 v1, v53, v54 offset0:168 offset1:180
	v_fma_f32 v2, -v51, v24, v2
	v_fma_f32 v2, -v53, v17, v2
	ds_read2_b32 v[42:43], v48 offset0:67 offset1:68
	ds_read2_b32 v[44:45], v48 offset0:69 offset1:70
	ds_read2_b64 v[14:17], v48 offset0:15 offset1:16
	ds_read_b64 v[46:47], v48 offset:136
	v_fma_f32 v2, -v54, v36, v2
	v_fma_f32 v2, -v55, v3, v2
	s_waitcnt lgkmcnt(5)
	v_mul_f32_e32 v36, v2, v6
	v_fma_f32 v2, -v50, v8, v26
	v_fma_f32 v2, -v51, v25, v2
	ds_read2_b64 v[22:25], v48 offset0:39 offset1:40
	s_waitcnt lgkmcnt(2)
	v_fma_f32 v2, -v53, v14, v2
	v_fma_f32 v2, -v54, v37, v2
	;; [unrolled: 1-line block ×4, first 2 shown]
	ds_read_b64 v[6:7], v48 offset:328
	s_waitcnt lgkmcnt(1)
	v_mul_f32_e32 v22, v2, v22
	v_fma_f32 v2, -v50, v9, v27
	v_fma_f32 v2, -v51, v32, v2
	;; [unrolled: 1-line block ×3, first 2 shown]
	ds_read2_b32 v[8:9], v48 offset0:91 offset1:92
	ds_read2_b32 v[14:15], v48 offset0:93 offset1:94
	v_fma_f32 v2, -v54, v38, v2
	v_fma_f32 v2, -v55, v5, v2
	;; [unrolled: 1-line block ×4, first 2 shown]
	s_waitcnt lgkmcnt(1)
	v_mul_f32_e32 v23, v2, v8
	v_fma_f32 v2, -v50, v10, v28
	v_fma_f32 v2, -v51, v33, v2
	;; [unrolled: 1-line block ×5, first 2 shown]
	ds_read_b128 v[2:5], v48 offset:416
	v_fma_f32 v8, -v36, v43, v8
	v_fma_f32 v8, -v22, v24, v8
	;; [unrolled: 1-line block ×3, first 2 shown]
	ds_read2_b32 v[8:9], v48 offset0:117 offset1:118
	s_waitcnt lgkmcnt(1)
	v_mul_f32_e32 v16, v10, v2
	v_fma_f32 v2, -v50, v11, v29
	v_fma_f32 v2, -v51, v34, v2
	;; [unrolled: 1-line block ×9, first 2 shown]
	s_waitcnt lgkmcnt(0)
	v_mul_f32_e32 v14, v2, v8
	ds_write2_b32 v1, v55, v36 offset0:192 offset1:204
	ds_write2_b32 v1, v22, v23 offset0:216 offset1:228
	;; [unrolled: 1-line block ×3, first 2 shown]
	v_fma_f32 v1, -v50, v12, v30
	v_fma_f32 v1, -v51, v35, v1
	;; [unrolled: 1-line block ×7, first 2 shown]
	ds_read_b64 v[2:3], v48 offset:520
	v_fma_f32 v1, -v23, v15, v1
	v_fma_f32 v1, -v16, v4, v1
	ds_read_b32 v4, v48 offset:572
	v_fma_f32 v1, -v14, v9, v1
	ds_read2_b32 v[8:9], v48 offset0:47 offset1:71
	s_waitcnt lgkmcnt(2)
	v_mul_f32_e32 v1, v1, v2
	v_fma_f32 v2, -v50, v13, v31
	v_fma_f32 v2, -v51, v52, v2
	;; [unrolled: 1-line block ×3, first 2 shown]
	ds_read2_b32 v[10:11], v48 offset0:95 offset1:119
	s_waitcnt lgkmcnt(1)
	v_fma_f32 v2, -v54, v8, v2
	v_fma_f32 v2, -v55, v21, v2
	;; [unrolled: 1-line block ×4, first 2 shown]
	s_waitcnt lgkmcnt(0)
	v_fma_f32 v2, -v23, v10, v2
	v_fma_f32 v2, -v16, v5, v2
	;; [unrolled: 1-line block ×4, first 2 shown]
	v_mul_f32_e32 v2, v2, v4
	s_mov_b32 s14, 12
	ds_write2_b32 v49, v1, v2 offset0:8 offset1:20
	s_cmp_lt_i32 s14, s24
	s_cbranch_scc1 .LBB13_50
	s_branch .LBB13_68
.LBB13_49:
	s_mov_b32 s14, 0
	s_cmp_lt_i32 s14, s24
	s_cbranch_scc0 .LBB13_68
.LBB13_50:
	s_add_i32 s15, s14, 7
	s_cmp_ge_u32 s15, s24
	s_cbranch_scc1 .LBB13_57
; %bb.51:
	s_mul_i32 s15, s14, 12
	v_add_lshl_u32 v1, s15, v0, 2
	ds_read2_b32 v[8:9], v1 offset0:144 offset1:156
	ds_read2_b32 v[6:7], v1 offset0:168 offset1:180
	;; [unrolled: 1-line block ×4, first 2 shown]
	s_andn2_b64 vcc, exec, s[8:9]
	s_cbranch_vccnz .LBB13_56
; %bb.52:
	s_max_u32 s9, s14, 1
	v_mov_b32_e32 v10, 0x240
	s_and_b32 s16, s9, 12
	s_lshl_b32 s8, s14, 2
	v_lshl_or_b32 v10, v0, 2, v10
.LBB13_53:                              ; =>This Inner Loop Header: Depth=1
	ds_read2_b32 v[44:45], v10 offset1:12
	ds_read2_b32 v[46:47], v10 offset0:24 offset1:36
	v_mov_b32_e32 v11, s8
	ds_read_b128 v[12:15], v11
	ds_read_b128 v[16:19], v11 offset:16
	ds_read_b128 v[20:23], v11 offset:48
	;; [unrolled: 1-line block ×7, first 2 shown]
	s_addk_i32 s8, 0xc0
	s_waitcnt lgkmcnt(9)
	v_mov_b32_e32 v48, v45
	s_waitcnt lgkmcnt(7)
	v_pk_fma_f32 v[8:9], v[44:45], v[12:13], v[8:9] op_sel_hi:[0,1,1] neg_lo:[1,0,0] neg_hi:[1,0,0]
	v_pk_fma_f32 v[6:7], v[44:45], v[14:15], v[6:7] op_sel_hi:[0,1,1] neg_lo:[1,0,0] neg_hi:[1,0,0]
	s_waitcnt lgkmcnt(6)
	v_pk_fma_f32 v[4:5], v[44:45], v[16:17], v[4:5] op_sel_hi:[0,1,1] neg_lo:[1,0,0] neg_hi:[1,0,0]
	v_pk_fma_f32 v[2:3], v[44:45], v[18:19], v[2:3] op_sel_hi:[0,1,1] neg_lo:[1,0,0] neg_hi:[1,0,0]
	;; [unrolled: 3-line block ×4, first 2 shown]
	s_add_i32 s16, s16, -4
	v_mov_b32_e32 v50, v47
	s_waitcnt lgkmcnt(3)
	v_pk_fma_f32 v[8:9], v[46:47], v[28:29], v[8:9] op_sel_hi:[0,1,1] neg_lo:[1,0,0] neg_hi:[1,0,0]
	v_pk_fma_f32 v[6:7], v[46:47], v[30:31], v[6:7] op_sel_hi:[0,1,1] neg_lo:[1,0,0] neg_hi:[1,0,0]
	s_waitcnt lgkmcnt(2)
	v_pk_fma_f32 v[4:5], v[46:47], v[32:33], v[4:5] op_sel_hi:[0,1,1] neg_lo:[1,0,0] neg_hi:[1,0,0]
	v_pk_fma_f32 v[2:3], v[46:47], v[34:35], v[2:3] op_sel_hi:[0,1,1] neg_lo:[1,0,0] neg_hi:[1,0,0]
	v_add_u32_e32 v10, 0xc0, v10
	s_cmp_lg_u32 s16, 0
	s_waitcnt lgkmcnt(1)
	v_pk_fma_f32 v[8:9], v[50:51], v[36:37], v[8:9] op_sel_hi:[0,1,1] neg_lo:[1,0,0] neg_hi:[1,0,0]
	v_pk_fma_f32 v[6:7], v[50:51], v[38:39], v[6:7] op_sel_hi:[0,1,1] neg_lo:[1,0,0] neg_hi:[1,0,0]
	s_waitcnt lgkmcnt(0)
	v_pk_fma_f32 v[4:5], v[50:51], v[40:41], v[4:5] op_sel_hi:[0,1,1] neg_lo:[1,0,0] neg_hi:[1,0,0]
	v_pk_fma_f32 v[2:3], v[50:51], v[42:43], v[2:3] op_sel_hi:[0,1,1] neg_lo:[1,0,0] neg_hi:[1,0,0]
	s_cbranch_scc1 .LBB13_53
; %bb.54:
	s_and_b32 s9, s9, 1
	s_cmp_eq_u32 s9, 0
	s_cbranch_scc1 .LBB13_56
.LBB13_55:                              ; =>This Inner Loop Header: Depth=1
	v_mov_b32_e32 v11, s8
	ds_read_b32 v20, v10
	ds_read_b128 v[12:15], v11
	ds_read_b128 v[16:19], v11 offset:16
	s_add_i32 s8, s8, 48
	s_add_i32 s9, s9, -1
	v_add_u32_e32 v10, 48, v10
	s_cmp_lg_u32 s9, 0
	s_waitcnt lgkmcnt(1)
	v_pk_fma_f32 v[8:9], v[20:21], v[12:13], v[8:9] op_sel_hi:[0,1,1] neg_lo:[1,0,0] neg_hi:[1,0,0]
	v_pk_fma_f32 v[6:7], v[20:21], v[14:15], v[6:7] op_sel_hi:[0,1,1] neg_lo:[1,0,0] neg_hi:[1,0,0]
	s_waitcnt lgkmcnt(0)
	v_pk_fma_f32 v[4:5], v[20:21], v[16:17], v[4:5] op_sel_hi:[0,1,1] neg_lo:[1,0,0] neg_hi:[1,0,0]
	v_pk_fma_f32 v[2:3], v[20:21], v[18:19], v[2:3] op_sel_hi:[0,1,1] neg_lo:[1,0,0] neg_hi:[1,0,0]
	s_cbranch_scc1 .LBB13_55
.LBB13_56:
	s_mul_i32 s8, s14, 52
	v_mov_b32_e32 v24, s8
	ds_read_b128 v[10:13], v24
	ds_read_b128 v[14:17], v24 offset:16
	ds_read2_b32 v[18:19], v24 offset0:13 offset1:14
	v_add_u32_e32 v1, 0x240, v1
	s_add_i32 s8, s15, 12
	s_add_i32 s9, s15, 24
	s_waitcnt lgkmcnt(2)
	v_mul_f32_e32 v25, v8, v10
	ds_write_b32 v1, v25
	v_fma_f32 v1, -v25, v11, v9
	ds_read2_b64 v[8:11], v24 offset0:13 offset1:14
	s_waitcnt lgkmcnt(2)
	v_mul_f32_e32 v1, v1, v18
	v_fma_f32 v6, -v25, v12, v6
	v_add_lshl_u32 v18, s8, v0, 2
	s_add_i32 s8, s14, s8
	v_fma_f32 v6, -v1, v19, v6
	s_lshl_b32 s8, s8, 2
	s_waitcnt lgkmcnt(0)
	v_mul_f32_e32 v26, v6, v8
	v_add_lshl_u32 v6, s9, v0, 2
	ds_write_b32 v6, v26 offset:576
	v_mov_b32_e32 v6, s8
	ds_write_b32 v18, v1 offset:576
	ds_read2_b32 v[18:19], v6 offset0:3 offset1:4
	v_fma_f32 v7, -v25, v13, v7
	ds_read2_b32 v[12:13], v6 offset0:5 offset1:6
	ds_read_b32 v27, v6 offset:28
	ds_read2_b32 v[20:21], v24 offset0:65 offset1:66
	ds_read2_b32 v[22:23], v24 offset0:39 offset1:40
	v_fma_f32 v4, -v25, v14, v4
	s_waitcnt lgkmcnt(4)
	v_fma_f32 v6, -v1, v18, v7
	v_fma_f32 v18, -v26, v9, v6
	ds_read_b128 v[6:9], v24 offset:208
	v_fma_f32 v4, -v1, v19, v4
	s_waitcnt lgkmcnt(1)
	v_mul_f32_e32 v18, v18, v22
	v_fma_f32 v4, -v26, v10, v4
	s_add_i32 s8, s14, s9
	s_add_i32 s9, s15, 36
	v_fma_f32 v4, -v18, v23, v4
	s_add_i32 s16, s15, 48
	v_add_lshl_u32 v22, s9, v0, 2
	s_add_i32 s9, s14, s9
	s_waitcnt lgkmcnt(0)
	v_mul_f32_e32 v14, v4, v6
	v_add_lshl_u32 v4, s16, v0, 2
	s_lshl_b32 s9, s9, 2
	ds_write_b32 v4, v14 offset:576
	v_fma_f32 v4, -v25, v15, v5
	v_fma_f32 v4, -v1, v12, v4
	v_mov_b32_e32 v12, s9
	v_fma_f32 v6, -v26, v11, v4
	ds_read2_b32 v[4:5], v12 offset0:5 offset1:6
	s_lshl_b32 s8, s8, 2
	s_add_i32 s9, s15, 60
	v_mov_b32_e32 v10, s8
	s_add_i32 s8, s14, s9
	s_lshl_b32 s8, s8, 2
	ds_write_b32 v22, v18 offset:576
	v_mov_b32_e32 v11, s8
	ds_read_b32 v15, v11 offset:28
	ds_read_b64 v[10:11], v10 offset:24
	ds_read_b32 v12, v12 offset:28
	s_waitcnt lgkmcnt(4)
	v_fma_f32 v4, -v18, v4, v6
	s_addk_i32 s15, 0x48
	v_fma_f32 v4, -v14, v7, v4
	s_add_i32 s8, s14, s15
	v_mul_f32_e32 v4, v4, v20
	v_add_lshl_u32 v6, s9, v0, 2
	v_fma_f32 v2, -v25, v16, v2
	v_fma_f32 v3, -v25, v17, v3
	s_lshl_b32 s8, s8, 2
	ds_write_b32 v6, v4 offset:576
	v_fma_f32 v2, -v1, v13, v2
	ds_read2_b32 v[6:7], v24 offset0:78 offset1:91
	v_fma_f32 v1, -v1, v27, v3
	v_mov_b32_e32 v3, s8
	s_waitcnt lgkmcnt(3)
	v_fma_f32 v2, -v26, v10, v2
	ds_read_b32 v3, v3 offset:28
	v_fma_f32 v2, -v18, v5, v2
	v_fma_f32 v1, -v26, v11, v1
	;; [unrolled: 1-line block ×3, first 2 shown]
	s_waitcnt lgkmcnt(3)
	v_fma_f32 v1, -v18, v12, v1
	v_fma_f32 v2, -v4, v21, v2
	;; [unrolled: 1-line block ×3, first 2 shown]
	s_waitcnt lgkmcnt(1)
	v_mul_f32_e32 v2, v2, v6
	v_fma_f32 v1, -v4, v15, v1
	s_waitcnt lgkmcnt(0)
	v_fma_f32 v1, -v2, v3, v1
	v_add_lshl_u32 v5, s15, v0, 2
	v_mul_f32_e32 v1, v1, v7
	s_add_i32 s14, s14, 8
	ds_write2_b32 v5, v2, v1 offset0:144 offset1:156
.LBB13_57:
	s_cmp_ge_i32 s14, s24
	s_cbranch_scc1 .LBB13_68
; %bb.58:
	v_mov_b32_e32 v1, 0x240
	s_add_i32 s8, s14, -1
	s_lshl_b32 s9, s14, 2
	v_lshl_or_b32 v1, v0, 2, v1
	s_mov_b32 s15, 0
	s_mov_b32 s16, s14
	s_branch .LBB13_60
.LBB13_59:                              ;   in Loop: Header=BB13_60 Depth=1
	s_mul_i32 s17, s14, 52
	v_mov_b32_e32 v4, s17
	ds_read_b32 v4, v4
	s_add_i32 s14, s14, 1
	s_add_i32 s15, s15, 1
	;; [unrolled: 1-line block ×3, first 2 shown]
	v_add_u16_e64 v5, s16, 1
	v_add_u32_e32 v3, 0x240, v3
	s_waitcnt lgkmcnt(0)
	v_mul_f32_e32 v2, v2, v4
	s_cmp_ge_i32 s14, s24
	v_readfirstlane_b32 s16, v5
	ds_write_b32 v3, v2
	s_cbranch_scc1 .LBB13_68
.LBB13_60:                              ; =>This Loop Header: Depth=1
                                        ;     Child Loop BB13_63 Depth 2
                                        ;     Child Loop BB13_67 Depth 2
	s_mul_i32 s17, s14, 12
	v_add_lshl_u32 v3, s17, v0, 2
	ds_read_b32 v2, v3 offset:576
	s_cmp_eq_u32 s14, 0
	s_cbranch_scc1 .LBB13_59
; %bb.61:                               ;   in Loop: Header=BB13_60 Depth=1
	s_add_i32 s17, s8, s15
	s_cmp_lt_u32 s17, 7
	s_cbranch_scc1 .LBB13_65
; %bb.62:                               ;   in Loop: Header=BB13_60 Depth=1
	s_and_b32 s17, s14, -8
	s_mov_b32 s21, 0
	v_mov_b32_e32 v4, v1
	s_mov_b32 s22, s9
.LBB13_63:                              ;   Parent Loop BB13_60 Depth=1
                                        ; =>  This Inner Loop Header: Depth=2
	ds_read2_b32 v[6:7], v4 offset1:12
	v_mov_b32_e32 v5, s22
	ds_read2_b32 v[8:9], v4 offset0:24 offset1:36
	ds_read2_b32 v[10:11], v4 offset0:48 offset1:60
	;; [unrolled: 1-line block ×3, first 2 shown]
	ds_read2_b32 v[14:15], v5 offset1:12
	ds_read2_b32 v[16:17], v5 offset0:24 offset1:36
	ds_read2_b32 v[18:19], v5 offset0:48 offset1:60
	;; [unrolled: 1-line block ×3, first 2 shown]
	s_add_i32 s21, s21, 8
	s_waitcnt lgkmcnt(3)
	v_fma_f32 v2, -v6, v14, v2
	v_fma_f32 v2, -v7, v15, v2
	s_waitcnt lgkmcnt(2)
	v_fma_f32 v2, -v8, v16, v2
	v_fma_f32 v2, -v9, v17, v2
	;; [unrolled: 3-line block ×3, first 2 shown]
	s_addk_i32 s22, 0x180
	s_waitcnt lgkmcnt(0)
	v_fma_f32 v2, -v12, v20, v2
	v_add_u32_e32 v4, 0x180, v4
	s_cmp_lg_u32 s17, s21
	v_fma_f32 v2, -v13, v21, v2
	s_cbranch_scc1 .LBB13_63
; %bb.64:                               ;   in Loop: Header=BB13_60 Depth=1
	s_and_b32 s21, s14, 7
	s_cmp_eq_u32 s21, 0
	s_cbranch_scc0 .LBB13_66
	s_branch .LBB13_59
.LBB13_65:                              ;   in Loop: Header=BB13_60 Depth=1
	s_mov_b32 s17, 0
	s_and_b32 s21, s14, 7
	s_cmp_eq_u32 s21, 0
	s_cbranch_scc1 .LBB13_59
.LBB13_66:                              ;   in Loop: Header=BB13_60 Depth=1
	s_and_b32 s21, s16, 7
	s_mul_i32 s17, s17, 48
.LBB13_67:                              ;   Parent Loop BB13_60 Depth=1
                                        ; =>  This Inner Loop Header: Depth=2
	s_add_i32 s22, s9, s17
	v_add_u32_e32 v4, s17, v1
	v_mov_b32_e32 v5, s22
	ds_read_b32 v4, v4
	ds_read_b32 v5, v5
	s_add_i32 s17, s17, 48
	s_add_i32 s21, s21, -1
	s_cmp_lg_u32 s21, 0
	s_waitcnt lgkmcnt(0)
	v_fma_f32 v2, -v4, v5, v2
	s_cbranch_scc1 .LBB13_67
	s_branch .LBB13_59
.LBB13_68:
	s_waitcnt lgkmcnt(0)
	; wave barrier
	s_waitcnt lgkmcnt(0)
	s_and_saveexec_b64 s[8:9], s[12:13]
	s_cbranch_execz .LBB13_76
; %bb.69:
	s_cmp_lt_i32 s10, 8
	s_mov_b32 s9, 0
	s_cbranch_scc1 .LBB13_73
; %bb.70:
	v_mad_i64_i32 v[2:3], s[8:9], s18, v0, 0
	v_lshlrev_b64 v[2:3], 2, v[2:3]
	v_mov_b32_e32 v4, s20
	v_add_co_u32_e32 v1, vcc, s11, v2
	v_addc_co_u32_e32 v2, vcc, v4, v3, vcc
	v_mov_b32_e32 v3, 0x240
	s_lshl_b32 s8, s24, 2
	v_lshl_or_b32 v3, v0, 2, v3
	s_and_b32 s10, s8, 32
	s_mov_b64 s[8:9], 0
.LBB13_71:                              ; =>This Inner Loop Header: Depth=1
	ds_read2_b32 v[4:5], v3 offset1:12
	ds_read2_b32 v[6:7], v3 offset0:24 offset1:36
	ds_read2_b32 v[8:9], v3 offset0:48 offset1:60
	;; [unrolled: 1-line block ×3, first 2 shown]
	v_add_co_u32_e32 v12, vcc, s8, v1
	s_add_u32 s8, s8, 32
	v_mov_b32_e32 v13, s9
	s_addc_u32 s9, s9, 0
	v_add_u32_e32 v3, 0x180, v3
	v_addc_co_u32_e32 v13, vcc, v2, v13, vcc
	s_cmp_lg_u32 s10, s8
	s_waitcnt lgkmcnt(2)
	global_store_dwordx4 v[12:13], v[4:7], off
	s_waitcnt lgkmcnt(0)
	global_store_dwordx4 v[12:13], v[8:11], off offset:16
	s_cbranch_scc1 .LBB13_71
; %bb.72:
	s_mov_b32 s9, 8
.LBB13_73:
	s_and_b32 s8, s24, 7
	s_cmp_eq_u32 s8, 0
	s_cbranch_scc1 .LBB13_76
; %bb.74:
	s_lshl_b64 s[6:7], s[6:7], 2
	v_lshlrev_b32_e32 v1, 2, v0
	v_add_co_u32_e32 v1, vcc, s6, v1
	s_lshl_b32 s6, s9, 2
	s_add_u32 s2, s2, s6
	s_addc_u32 s3, s3, 0
	s_add_u32 s2, s2, s4
	s_addc_u32 s3, s3, s5
	s_add_u32 s0, s2, s0
	v_mov_b32_e32 v2, s7
	s_addc_u32 s1, s3, s1
	v_addc_co_u32_e32 v4, vcc, 0, v2, vcc
	v_pk_mov_b32 v[2:3], s[0:1], s[0:1] op_sel:[0,1]
	v_mad_u64_u32 v[2:3], s[0:1], v1, s18, v[2:3]
	s_mul_i32 s0, s9, 48
	v_mul_lo_u32 v1, v1, s19
	v_mul_lo_u32 v4, v4, s18
	v_lshl_add_u32 v0, v0, 2, s0
	v_add3_u32 v3, v4, v3, v1
	v_add_u32_e32 v0, 0x240, v0
.LBB13_75:                              ; =>This Inner Loop Header: Depth=1
	ds_read_b32 v1, v0
	s_add_i32 s8, s8, -1
	v_add_u32_e32 v0, 48, v0
	s_cmp_lg_u32 s8, 0
	s_waitcnt lgkmcnt(0)
	global_store_dword v[2:3], v1, off
	v_add_co_u32_e32 v2, vcc, 4, v2
	v_addc_co_u32_e32 v3, vcc, 0, v3, vcc
	s_cbranch_scc1 .LBB13_75
.LBB13_76:
	s_endpgm
	.section	.rodata,"a",@progbits
	.p2align	6, 0x0
	.amdhsa_kernel _ZL38rocblas_trsm_small_left_device_sharedBILi12ELi12ELb1EffPKfPfEv13rocblas_fill_18rocblas_operation_17rocblas_diagonal_iiT3_T4_lilT5_lili
		.amdhsa_group_segment_fixed_size 1152
		.amdhsa_private_segment_fixed_size 0
		.amdhsa_kernarg_size 352
		.amdhsa_user_sgpr_count 6
		.amdhsa_user_sgpr_private_segment_buffer 1
		.amdhsa_user_sgpr_dispatch_ptr 0
		.amdhsa_user_sgpr_queue_ptr 0
		.amdhsa_user_sgpr_kernarg_segment_ptr 1
		.amdhsa_user_sgpr_dispatch_id 0
		.amdhsa_user_sgpr_flat_scratch_init 0
		.amdhsa_user_sgpr_kernarg_preload_length 0
		.amdhsa_user_sgpr_kernarg_preload_offset 0
		.amdhsa_user_sgpr_private_segment_size 0
		.amdhsa_uses_dynamic_stack 0
		.amdhsa_system_sgpr_private_segment_wavefront_offset 0
		.amdhsa_system_sgpr_workgroup_id_x 1
		.amdhsa_system_sgpr_workgroup_id_y 0
		.amdhsa_system_sgpr_workgroup_id_z 1
		.amdhsa_system_sgpr_workgroup_info 0
		.amdhsa_system_vgpr_workitem_id 0
		.amdhsa_next_free_vgpr 65
		.amdhsa_next_free_sgpr 46
		.amdhsa_accum_offset 68
		.amdhsa_reserve_vcc 1
		.amdhsa_reserve_flat_scratch 0
		.amdhsa_float_round_mode_32 0
		.amdhsa_float_round_mode_16_64 0
		.amdhsa_float_denorm_mode_32 3
		.amdhsa_float_denorm_mode_16_64 3
		.amdhsa_dx10_clamp 1
		.amdhsa_ieee_mode 1
		.amdhsa_fp16_overflow 0
		.amdhsa_tg_split 0
		.amdhsa_exception_fp_ieee_invalid_op 0
		.amdhsa_exception_fp_denorm_src 0
		.amdhsa_exception_fp_ieee_div_zero 0
		.amdhsa_exception_fp_ieee_overflow 0
		.amdhsa_exception_fp_ieee_underflow 0
		.amdhsa_exception_fp_ieee_inexact 0
		.amdhsa_exception_int_div_zero 0
	.end_amdhsa_kernel
	.section	.text._ZL38rocblas_trsm_small_left_device_sharedBILi12ELi12ELb1EffPKfPfEv13rocblas_fill_18rocblas_operation_17rocblas_diagonal_iiT3_T4_lilT5_lili,"axG",@progbits,_ZL38rocblas_trsm_small_left_device_sharedBILi12ELi12ELb1EffPKfPfEv13rocblas_fill_18rocblas_operation_17rocblas_diagonal_iiT3_T4_lilT5_lili,comdat
.Lfunc_end13:
	.size	_ZL38rocblas_trsm_small_left_device_sharedBILi12ELi12ELb1EffPKfPfEv13rocblas_fill_18rocblas_operation_17rocblas_diagonal_iiT3_T4_lilT5_lili, .Lfunc_end13-_ZL38rocblas_trsm_small_left_device_sharedBILi12ELi12ELb1EffPKfPfEv13rocblas_fill_18rocblas_operation_17rocblas_diagonal_iiT3_T4_lilT5_lili
                                        ; -- End function
	.section	.AMDGPU.csdata,"",@progbits
; Kernel info:
; codeLenInByte = 8300
; NumSgprs: 50
; NumVgprs: 65
; NumAgprs: 0
; TotalNumVgprs: 65
; ScratchSize: 0
; MemoryBound: 0
; FloatMode: 240
; IeeeMode: 1
; LDSByteSize: 1152 bytes/workgroup (compile time only)
; SGPRBlocks: 6
; VGPRBlocks: 8
; NumSGPRsForWavesPerEU: 50
; NumVGPRsForWavesPerEU: 65
; AccumOffset: 68
; Occupancy: 7
; WaveLimiterHint : 0
; COMPUTE_PGM_RSRC2:SCRATCH_EN: 0
; COMPUTE_PGM_RSRC2:USER_SGPR: 6
; COMPUTE_PGM_RSRC2:TRAP_HANDLER: 0
; COMPUTE_PGM_RSRC2:TGID_X_EN: 1
; COMPUTE_PGM_RSRC2:TGID_Y_EN: 0
; COMPUTE_PGM_RSRC2:TGID_Z_EN: 1
; COMPUTE_PGM_RSRC2:TIDIG_COMP_CNT: 0
; COMPUTE_PGM_RSRC3_GFX90A:ACCUM_OFFSET: 16
; COMPUTE_PGM_RSRC3_GFX90A:TG_SPLIT: 0
	.section	.text._ZL30rocblas_trsm_small_left_deviceILi12ELi12ELb1EffPKfPfEv13rocblas_fill_18rocblas_operation_17rocblas_diagonal_iiT3_T4_lilT5_lili,"axG",@progbits,_ZL30rocblas_trsm_small_left_deviceILi12ELi12ELb1EffPKfPfEv13rocblas_fill_18rocblas_operation_17rocblas_diagonal_iiT3_T4_lilT5_lili,comdat
	.globl	_ZL30rocblas_trsm_small_left_deviceILi12ELi12ELb1EffPKfPfEv13rocblas_fill_18rocblas_operation_17rocblas_diagonal_iiT3_T4_lilT5_lili ; -- Begin function _ZL30rocblas_trsm_small_left_deviceILi12ELi12ELb1EffPKfPfEv13rocblas_fill_18rocblas_operation_17rocblas_diagonal_iiT3_T4_lilT5_lili
	.p2align	8
	.type	_ZL30rocblas_trsm_small_left_deviceILi12ELi12ELb1EffPKfPfEv13rocblas_fill_18rocblas_operation_17rocblas_diagonal_iiT3_T4_lilT5_lili,@function
_ZL30rocblas_trsm_small_left_deviceILi12ELi12ELb1EffPKfPfEv13rocblas_fill_18rocblas_operation_17rocblas_diagonal_iiT3_T4_lilT5_lili: ; @_ZL30rocblas_trsm_small_left_deviceILi12ELi12ELb1EffPKfPfEv13rocblas_fill_18rocblas_operation_17rocblas_diagonal_iiT3_T4_lilT5_lili
; %bb.0:
	s_load_dwordx4 s[8:11], s[4:5], 0x4
	s_load_dword s16, s[4:5], 0x14
	s_load_dwordx4 s[0:3], s[4:5], 0x30
	s_load_dwordx2 s[20:21], s[4:5], 0x40
	s_mov_b32 s19, 0
	s_waitcnt lgkmcnt(0)
	s_min_i32 s18, s10, 12
	v_cmp_gt_i32_e32 vcc, s18, v0
	s_and_saveexec_b64 s[22:23], vcc
	s_cbranch_execz .LBB14_15
; %bb.1:
	s_load_dword s24, s[4:5], 0x28
	s_load_dwordx4 s[12:15], s[4:5], 0x18
	s_cmp_gt_u32 s18, 1
	s_cselect_b64 s[26:27], -1, 0
	s_mov_b32 s17, 1
	s_waitcnt lgkmcnt(0)
	s_cmp_eq_u32 s24, 1
	s_cselect_b64 s[28:29], -1, 0
	s_and_b64 s[28:29], s[26:27], s[28:29]
	s_mov_b64 s[26:27], -1
	s_and_b64 vcc, exec, s[28:29]
	s_cbranch_vccz .LBB14_9
; %bb.2:
	s_add_i32 s26, s18, -2
	s_lshr_b32 s25, s26, 1
	s_add_i32 s25, s25, 1
	s_cmp_lt_u32 s26, 14
	s_mov_b32 s26, s19
	s_cbranch_scc1 .LBB14_5
; %bb.3:
	s_mul_i32 s17, s1, s7
	s_mul_hi_u32 s19, s0, s7
	s_add_i32 s29, s19, s17
	s_mul_i32 s28, s0, s7
	s_and_b32 s27, s25, -8
	s_lshl_b64 s[28:29], s[28:29], 2
	s_lshl_b64 s[30:31], s[14:15], 2
	s_add_u32 s17, s28, s30
	s_addc_u32 s19, s29, s31
	s_add_u32 s17, s12, s17
	v_lshlrev_b32_e32 v1, 2, v0
	s_addc_u32 s19, s13, s19
	v_mov_b32_e32 v2, s19
	v_add_co_u32_e32 v1, vcc, s17, v1
	v_addc_co_u32_e32 v3, vcc, 0, v2, vcc
	v_add_co_u32_e32 v2, vcc, 56, v1
	v_addc_co_u32_e32 v3, vcc, 0, v3, vcc
	s_mov_b32 s17, 1
	s_mov_b32 s26, 0
	;; [unrolled: 1-line block ×3, first 2 shown]
.LBB14_4:                               ; =>This Inner Loop Header: Depth=1
	global_load_dwordx4 v[4:7], v[2:3], off offset:-56
	global_load_dwordx4 v[8:11], v[2:3], off offset:-40
	;; [unrolled: 1-line block ×4, first 2 shown]
	s_mul_i32 s28, s17, 12
	s_mul_i32 s29, s19, 12
	s_add_i32 s26, s26, 16
	s_add_i32 s17, s17, 16
	;; [unrolled: 1-line block ×3, first 2 shown]
	s_add_i32 s27, s27, -8
	v_add_co_u32_e32 v2, vcc, 64, v2
	v_add_lshl_u32 v1, s29, v0, 2
	v_add_lshl_u32 v20, s28, v0, 2
	s_add_i32 s30, s28, 24
	s_add_i32 s31, s29, 24
	;; [unrolled: 1-line block ×12, first 2 shown]
	s_addk_i32 s28, 0xa8
	s_addk_i32 s29, 0xa8
	v_addc_co_u32_e32 v3, vcc, 0, v3, vcc
	s_cmp_lg_u32 s27, 0
	v_add_lshl_u32 v21, s31, v0, 2
	v_add_lshl_u32 v22, s30, v0, 2
	;; [unrolled: 1-line block ×14, first 2 shown]
	s_waitcnt vmcnt(3)
	ds_write_b32 v1, v4
	ds_write_b32 v20, v5
	ds_write_b32 v21, v6
	ds_write_b32 v22, v7
	s_waitcnt vmcnt(2)
	ds_write_b32 v23, v8
	ds_write_b32 v24, v9
	ds_write_b32 v25, v10
	ds_write_b32 v26, v11
	;; [unrolled: 5-line block ×4, first 2 shown]
	s_cbranch_scc1 .LBB14_4
.LBB14_5:
	s_and_b32 s25, s25, 7
	s_cmp_eq_u32 s25, 0
	s_mov_b32 s27, 0
	s_cbranch_scc1 .LBB14_8
; %bb.6:
	s_mul_i32 s28, s1, s7
	s_mul_hi_u32 s29, s0, s7
	s_add_i32 s29, s29, s28
	s_mul_i32 s28, s0, s7
	s_lshl_b64 s[28:29], s[28:29], 2
	s_lshl_b64 s[30:31], s[14:15], 2
	s_add_u32 s28, s28, s30
	s_addc_u32 s29, s29, s31
	s_lshl_b64 s[26:27], s[26:27], 2
	s_add_u32 s26, s12, s26
	s_addc_u32 s27, s13, s27
	s_add_u32 s26, s26, s28
	v_lshlrev_b32_e32 v1, 2, v0
	s_addc_u32 s27, s27, s29
	v_mov_b32_e32 v3, s27
	v_add_co_u32_e32 v2, vcc, s26, v1
	v_addc_co_u32_e32 v3, vcc, 0, v3, vcc
	s_lshl_b32 s25, s25, 3
.LBB14_7:                               ; =>This Inner Loop Header: Depth=1
	global_load_dwordx2 v[4:5], v[2:3], off
	s_mul_i32 s26, s17, 12
	s_mul_i32 s27, s19, 12
	s_add_i32 s17, s17, 2
	s_add_i32 s19, s19, 2
	v_add_co_u32_e32 v2, vcc, 8, v2
	s_add_i32 s25, s25, -8
	v_addc_co_u32_e32 v3, vcc, 0, v3, vcc
	v_add_lshl_u32 v1, s27, v0, 2
	s_cmp_lg_u32 s25, 0
	v_add_lshl_u32 v6, s26, v0, 2
	s_waitcnt vmcnt(0)
	ds_write_b32 v1, v4
	ds_write_b32 v6, v5
	s_cbranch_scc1 .LBB14_7
.LBB14_8:
	s_and_b32 s19, s18, -2
	s_cmp_lg_u32 s18, s19
	s_cselect_b64 s[26:27], -1, 0
.LBB14_9:
	s_and_b64 vcc, exec, s[26:27]
	s_cbranch_vccz .LBB14_12
; %bb.10:
	s_ashr_i32 s25, s24, 31
	s_mul_i32 s1, s1, s7
	s_mul_hi_u32 s17, s0, s7
	s_add_i32 s1, s17, s1
	s_mul_hi_u32 s17, s24, s19
	s_mul_i32 s26, s25, s19
	s_mul_i32 s0, s0, s7
	s_add_i32 s27, s17, s26
	s_mul_i32 s26, s24, s19
	s_lshl_b64 s[0:1], s[0:1], 2
	s_lshl_b64 s[26:27], s[26:27], 2
	s_add_u32 s17, s0, s26
	s_addc_u32 s26, s1, s27
	s_lshl_b64 s[0:1], s[14:15], 2
	s_add_u32 s0, s17, s0
	s_addc_u32 s1, s26, s1
	s_add_u32 s0, s12, s0
	v_lshlrev_b32_e32 v1, 2, v0
	s_addc_u32 s1, s13, s1
	v_mov_b32_e32 v3, s1
	v_add_co_u32_e32 v2, vcc, s0, v1
	s_lshl_b64 s[0:1], s[24:25], 2
	s_mul_i32 s13, s19, 48
	v_addc_co_u32_e32 v3, vcc, 0, v3, vcc
	s_sub_i32 s12, s18, s19
	v_lshl_add_u32 v1, v0, 2, s13
	v_mov_b32_e32 v4, s1
.LBB14_11:                              ; =>This Inner Loop Header: Depth=1
	global_load_dword v5, v[2:3], off
	v_add_co_u32_e32 v2, vcc, s0, v2
	s_add_i32 s12, s12, -1
	v_addc_co_u32_e32 v3, vcc, v3, v4, vcc
	s_cmp_eq_u32 s12, 0
	s_waitcnt vmcnt(0)
	ds_write_b32 v1, v5
	v_add_u32_e32 v1, 48, v1
	s_cbranch_scc0 .LBB14_11
.LBB14_12:
	v_mul_u32_u24_e32 v1, 13, v0
	s_cmpk_lg_i32 s9, 0x84
	v_lshlrev_b32_e32 v1, 2, v1
	v_mov_b32_e32 v2, 1.0
	s_cbranch_scc0 .LBB14_14
; %bb.13:
	ds_read_b32 v2, v1
	s_waitcnt lgkmcnt(0)
	v_div_scale_f32 v3, s[0:1], v2, v2, 1.0
	v_rcp_f32_e32 v4, v3
	v_div_scale_f32 v5, vcc, 1.0, v2, 1.0
	v_fma_f32 v6, -v3, v4, 1.0
	v_fmac_f32_e32 v4, v6, v4
	v_mul_f32_e32 v6, v5, v4
	v_fma_f32 v7, -v3, v6, v5
	v_fmac_f32_e32 v6, v7, v4
	v_fma_f32 v3, -v3, v6, v5
	v_div_fmas_f32 v3, v3, v4, v6
	v_div_fixup_f32 v2, v3, v2, 1.0
.LBB14_14:
	ds_write_b32 v1, v2
.LBB14_15:
	s_or_b64 exec, exec, s[22:23]
	s_load_dword s0, s[4:5], 0x60
	s_mul_i32 s1, s6, -12
	s_add_i32 s1, s1, s11
	s_waitcnt lgkmcnt(0)
	; wave barrier
	s_waitcnt lgkmcnt(0)
	s_add_i32 s0, s0, -1
	s_cmp_ge_u32 s6, s0
	s_cselect_b32 s0, s1, 12
	v_cmp_gt_i32_e32 vcc, s0, v0
	s_and_saveexec_b64 s[0:1], vcc
	s_cbranch_execz .LBB14_61
; %bb.16:
	s_load_dwordx2 s[0:1], s[4:5], 0x50
	s_load_dword s9, s[4:5], 0x48
	s_waitcnt lgkmcnt(0)
	s_mul_i32 s1, s7, s1
	s_mul_hi_u32 s4, s7, s0
	s_mul_i32 s0, s7, s0
	s_add_i32 s1, s4, s1
	s_lshl_b64 s[0:1], s[0:1], 2
	s_add_u32 s7, s2, s0
	s_addc_u32 s11, s3, s1
	s_lshl_b64 s[4:5], s[20:21], 2
	s_add_u32 s12, s7, s4
	v_mad_u64_u32 v[0:1], s[6:7], s6, 12, v[0:1]
	v_mad_i64_i32 v[0:1], s[6:7], s9, v0, 0
	s_addc_u32 s11, s11, s5
	v_lshlrev_b64 v[14:15], 2, v[0:1]
	v_mov_b32_e32 v0, s11
	v_add_co_u32_e32 v12, vcc, s12, v14
	v_addc_co_u32_e32 v13, vcc, v0, v15, vcc
	s_cmpk_eq_i32 s8, 0x6f
	s_mov_b64 s[6:7], -1
	s_cbranch_scc1 .LBB14_39
; %bb.17:
	s_add_i32 s6, s18, -1
	s_cmp_gt_i32 s10, 11
	s_cbranch_scc0 .LBB14_19
; %bb.18:
	s_ashr_i32 s19, s18, 31
	s_lshl_b64 s[8:9], s[18:19], 2
	v_mov_b32_e32 v0, s9
	v_add_co_u32_e32 v16, vcc, s8, v12
	v_addc_co_u32_e32 v17, vcc, v13, v0, vcc
	s_mul_i32 s8, s18, 12
	s_mov_b32 s19, 0
	global_load_dword v11, v[16:17], off offset:-4
	s_mul_i32 s7, s6, 52
	s_sub_i32 s11, s8, 36
	s_lshl_b64 s[8:9], s[18:19], 2
	s_add_i32 s20, s7, 0xfffffec8
	v_mov_b32_e32 v3, s9
	v_add_co_u32_e32 v4, vcc, s8, v12
	s_add_i32 s21, s7, 0xfffffe94
	s_add_i32 s22, s7, 0xfffffe60
	v_mov_b32_e32 v0, s20
	v_addc_co_u32_e32 v5, vcc, v13, v3, vcc
	v_mov_b32_e32 v1, s21
	v_mov_b32_e32 v2, s22
	ds_read_b32 v46, v0
	ds_read_b32 v47, v1
	;; [unrolled: 1-line block ×3, first 2 shown]
	global_load_dwordx3 v[8:10], v[4:5], off offset:-16
	global_load_dwordx4 v[0:3], v[4:5], off offset:-48
	s_add_i32 s19, s18, s11
	global_load_dwordx4 v[4:7], v[4:5], off offset:-32
	s_add_i32 s11, s11, s6
	s_add_i32 s17, s7, 0xfffffefc
	s_lshl_b32 s9, s19, 2
	s_lshl_b32 s19, s11, 2
	v_mov_b32_e32 v18, s7
	s_sub_i32 s12, s7, 52
	s_add_i32 s13, s7, 0xffffff98
	s_add_i32 s14, s7, 0xffffff64
	;; [unrolled: 1-line block ×4, first 2 shown]
	v_mov_b32_e32 v25, s17
	s_sub_i32 s17, s19, 48
	s_add_i32 s25, s19, 0xffffff70
	s_add_i32 s31, s19, 0xffffff10
	;; [unrolled: 1-line block ×3, first 2 shown]
	v_mov_b32_e32 v19, s12
	v_mov_b32_e32 v20, s13
	v_mov_b32_e32 v21, s14
	v_mov_b32_e32 v24, s15
	v_mov_b32_e32 v26, s17
	v_mov_b32_e32 v27, s25
	v_mov_b32_e32 v28, s31
	v_mov_b32_e32 v29, s36
	ds_read_b32 v34, v18
	ds_read2_b32 v[22:23], v19 offset1:1
	ds_read_b32 v42, v20
	ds_read_b32 v43, v26
	;; [unrolled: 1-line block ×8, first 2 shown]
	v_mov_b32_e32 v18, s24
	s_add_i32 s38, s7, 0xfffffdf8
	s_add_i32 s26, s9, -8
	ds_read_b32 v52, v18
	v_mov_b32_e32 v18, s38
	s_add_i32 s38, s19, 0xfffffe50
	ds_read_b32 v53, v18
	v_mov_b32_e32 v18, s38
	s_add_i32 s38, s19, 0xfffffe48
	v_mov_b32_e32 v19, s26
	s_add_i32 s26, s19, 0xfffffe40
	s_add_i32 s29, s19, 0xffffff68
	s_add_i32 s30, s19, 0xffffff3c
	s_add_i32 s33, s19, 0xffffff08
	s_add_i32 s34, s19, 0xfffffedc
	s_add_i32 s37, s19, 0xfffffea8
	s_add_i32 s31, s19, 0xfffffe7c
	v_mov_b32_e32 v20, s38
	v_mov_b32_e32 v26, s26
	ds_read_b32 v38, v18
	ds_read2_b32 v[24:25], v19 offset1:1
	ds_read2_b32 v[20:21], v20 offset1:1
	;; [unrolled: 1-line block ×3, first 2 shown]
	v_mov_b32_e32 v26, s29
	v_mov_b32_e32 v28, s30
	;; [unrolled: 1-line block ×6, first 2 shown]
	ds_read2_b32 v[26:27], v26 offset1:1
	ds_read2_b32 v[28:29], v28 offset1:1
	;; [unrolled: 1-line block ×4, first 2 shown]
	s_sub_i32 s27, s19, 56
	s_add_i32 s35, s19, 0xfffffed4
	s_add_i32 s36, s19, 0xfffffe74
	;; [unrolled: 1-line block ×4, first 2 shown]
	v_mov_b32_e32 v39, s35
	v_mov_b32_e32 v40, s36
	;; [unrolled: 1-line block ×4, first 2 shown]
	s_waitcnt vmcnt(3)
	v_mul_f32_e32 v11, s16, v11
	s_waitcnt lgkmcnt(14)
	v_mul_f32_e32 v11, v11, v34
	v_mul_f32_e32 v23, v11, v23
	s_waitcnt lgkmcnt(13)
	v_mul_f32_e32 v45, v11, v45
	s_add_i32 s11, s19, 0xffffff94
	s_add_i32 s8, s19, 0xffffff60
	;; [unrolled: 1-line block ×12, first 2 shown]
	s_waitcnt vmcnt(2)
	v_fma_f32 v10, v10, s16, -v23
	s_waitcnt lgkmcnt(10)
	v_mul_f32_e32 v23, v11, v35
	ds_read2_b32 v[34:35], v36 offset1:1
	ds_read2_b32 v[36:37], v37 offset1:1
	v_mul_f32_e32 v10, v10, v22
	s_waitcnt vmcnt(1)
	v_fma_f32 v55, v2, s16, -v23
	v_mov_b32_e32 v2, s38
	ds_read2_b32 v[22:23], v2 offset1:1
	s_waitcnt lgkmcnt(1)
	v_pk_mul_f32 v[36:37], v[10:11], v[36:37]
	v_fma_f32 v37, v1, s16, -v37
	v_mul_f32_e32 v1, v11, v38
	v_fma_f32 v56, v0, s16, -v1
	v_pk_mul_f32 v[0:1], v[10:11], v[32:33]
	v_fma_f32 v1, v3, s16, -v1
	ds_read2_b32 v[2:3], v39 offset1:1
	ds_read2_b32 v[32:33], v40 offset1:1
	;; [unrolled: 1-line block ×4, first 2 shown]
	s_waitcnt vmcnt(0)
	v_fma_f32 v45, v6, s16, -v45
	v_mul_f32_e32 v6, v11, v51
	v_pk_mul_f32 v[28:29], v[10:11], v[28:29]
	v_fma_f32 v51, v4, s16, -v6
	v_fma_f32 v29, v5, s16, -v29
	s_waitcnt lgkmcnt(0)
	v_pk_mul_f32 v[4:5], v[10:11], v[40:41]
	v_mul_f32_e32 v6, v11, v43
	v_fma_f32 v5, v7, s16, -v5
	v_fma_f32 v43, v8, s16, -v6
	v_pk_mul_f32 v[6:7], v[10:11], v[24:25]
	v_fma_f32 v7, v9, s16, -v7
	s_add_i32 s24, s19, 0xfffffe64
	s_add_i32 s25, s19, 0xfffffe5c
	;; [unrolled: 1-line block ×3, first 2 shown]
	s_addk_i32 s19, 0xfe30
	v_sub_f32_e32 v9, v7, v6
	v_mov_b32_e32 v40, s26
	v_mov_b32_e32 v41, s19
	;; [unrolled: 1-line block ×3, first 2 shown]
	v_sub_f32_e32 v61, v1, v0
	v_mul_f32_e32 v0, v9, v42
	v_mov_b32_e32 v1, v10
	v_mov_b32_e32 v54, s25
	v_sub_f32_e32 v57, v5, v4
	ds_read2_b32 v[4:5], v40 offset1:1
	ds_read2_b32 v[6:7], v41 offset1:1
	;; [unrolled: 1-line block ×4, first 2 shown]
	v_pk_mul_f32 v[8:9], v[0:1], v[38:39]
	v_pk_mul_f32 v[26:27], v[0:1], v[26:27]
	v_mov_b32_e32 v54, s22
	v_mov_b32_e32 v59, s24
	v_sub_f32_e32 v9, v43, v9
	v_sub_f32_e32 v27, v45, v27
	;; [unrolled: 1-line block ×3, first 2 shown]
	v_mov_b32_e32 v60, s20
	v_mov_b32_e32 v62, s21
	v_sub_f32_e32 v63, v37, v36
	v_sub_f32_e32 v8, v9, v8
	ds_read2_b32 v[28:29], v54 offset1:1
	ds_read2_b32 v[36:37], v59 offset1:1
	;; [unrolled: 1-line block ×4, first 2 shown]
	v_sub_f32_e32 v59, v27, v26
	v_pk_mul_f32 v[26:27], v[0:1], v[30:31]
	v_pk_mul_f32 v[30:31], v[0:1], v[34:35]
	v_mul_f32_e32 v8, v8, v44
	v_mov_b32_e32 v9, s14
	v_mov_b32_e32 v44, s15
	;; [unrolled: 1-line block ×3, first 2 shown]
	v_sub_f32_e32 v27, v51, v27
	v_sub_f32_e32 v31, v55, v31
	v_mov_b32_e32 v60, s12
	v_sub_f32_e32 v51, v27, v26
	v_sub_f32_e32 v55, v31, v30
	ds_read2_b32 v[26:27], v9 offset1:1
	ds_read2_b32 v[30:31], v44 offset1:1
	;; [unrolled: 1-line block ×4, first 2 shown]
	v_pk_mul_f32 v[20:21], v[0:1], v[20:21]
	v_sub_f32_e32 v1, v56, v21
	v_mov_b32_e32 v9, v0
	v_sub_f32_e32 v56, v1, v20
	s_waitcnt lgkmcnt(1)
	v_pk_mul_f32 v[20:21], v[8:9], v[34:35]
	v_mov_b32_e32 v54, s13
	s_waitcnt lgkmcnt(0)
	v_pk_mul_f32 v[34:35], v[8:9], v[44:45]
	v_mov_b32_e32 v44, s8
	v_sub_f32_e32 v0, v57, v21
	global_store_dwordx4 v[16:17], v[8:11], off offset:-16
	v_mov_b32_e32 v60, s9
	v_mov_b32_e32 v62, s17
	v_sub_f32_e32 v57, v0, v20
	ds_read2_b32 v[0:1], v54 offset1:1
	ds_read2_b32 v[10:11], v60 offset1:1
	;; [unrolled: 1-line block ×4, first 2 shown]
	v_pk_mul_f32 v[2:3], v[8:9], v[2:3]
	v_pk_mul_f32 v[32:33], v[8:9], v[32:33]
	v_mov_b32_e32 v9, v8
	v_mul_f32_e32 v8, v57, v49
	s_waitcnt lgkmcnt(0)
	v_pk_mul_f32 v[44:45], v[8:9], v[44:45]
	v_sub_f32_e32 v35, v58, v35
	v_sub_f32_e32 v3, v61, v3
	;; [unrolled: 1-line block ×6, first 2 shown]
	v_mul_f32_e32 v2, v2, v50
	v_mov_b32_e32 v3, v8
	v_pk_mul_f32 v[0:1], v[2:3], v[0:1]
	v_sub_f32_e32 v1, v34, v1
	v_pk_mul_f32 v[18:19], v[8:9], v[18:19]
	v_pk_mul_f32 v[26:27], v[8:9], v[26:27]
	;; [unrolled: 1-line block ×3, first 2 shown]
	v_sub_f32_e32 v9, v56, v19
	v_sub_f32_e32 v0, v1, v0
	;; [unrolled: 1-line block ×4, first 2 shown]
	v_mul_f32_e32 v18, v0, v46
	v_mov_b32_e32 v19, v2
	v_sub_f32_e32 v26, v27, v26
	v_pk_mul_f32 v[0:1], v[18:19], v[38:39]
	v_sub_f32_e32 v33, v63, v33
	v_pk_mul_f32 v[10:11], v[2:3], v[10:11]
	v_sub_f32_e32 v1, v26, v1
	v_sub_f32_e32 v31, v55, v31
	;; [unrolled: 1-line block ×4, first 2 shown]
	v_pk_mul_f32 v[20:21], v[2:3], v[20:21]
	v_sub_f32_e32 v0, v1, v0
	v_sub_f32_e32 v27, v31, v30
	;; [unrolled: 1-line block ×4, first 2 shown]
	v_pk_mul_f32 v[10:11], v[18:19], v[42:43]
	v_mul_f32_e32 v0, v0, v47
	v_mov_b32_e32 v1, v18
	v_sub_f32_e32 v11, v27, v11
	v_sub_f32_e32 v3, v3, v20
	v_pk_mul_f32 v[20:21], v[0:1], v[28:29]
	v_pk_mul_f32 v[4:5], v[18:19], v[4:5]
	v_sub_f32_e32 v21, v26, v21
	v_sub_f32_e32 v26, v11, v10
	v_pk_mul_f32 v[10:11], v[0:1], v[36:37]
	v_sub_f32_e32 v1, v9, v5
	v_sub_f32_e32 v11, v3, v11
	;; [unrolled: 1-line block ×3, first 2 shown]
	v_mov_b32_e32 v1, v18
	v_mov_b32_e32 v3, v8
	global_store_dwordx4 v[16:17], v[0:3], off offset:-32
	v_mov_b32_e32 v5, v0
	v_sub_f32_e32 v1, v21, v20
	v_mul_f32_e32 v4, v1, v48
	v_pk_mul_f32 v[0:1], v[4:5], v[40:41]
	v_sub_f32_e32 v1, v26, v1
	v_sub_f32_e32 v0, v1, v0
	v_mul_f32_e32 v2, v0, v52
	v_mov_b32_e32 v3, v4
	v_sub_f32_e32 v8, v11, v10
	v_pk_mul_f32 v[0:1], v[2:3], v[24:25]
	v_sub_f32_e32 v1, v8, v1
	v_pk_mul_f32 v[6:7], v[4:5], v[6:7]
	v_sub_f32_e32 v3, v9, v7
	v_sub_f32_e32 v0, v1, v0
	s_addk_i32 s7, 0xfdc4
	v_sub_f32_e32 v3, v3, v6
	v_mul_f32_e32 v6, v0, v53
	v_mov_b32_e32 v0, s7
	ds_read_b32 v5, v0
	v_mov_b32_e32 v7, v2
	v_pk_mul_f32 v[0:1], v[6:7], v[22:23]
	v_sub_f32_e32 v1, v3, v1
	v_sub_f32_e32 v0, v1, v0
	s_waitcnt lgkmcnt(0)
	v_mul_f32_e32 v0, v0, v5
	v_mov_b32_e32 v1, v6
	v_mov_b32_e32 v3, v4
	s_add_i32 s8, s18, -13
	global_store_dwordx4 v[16:17], v[0:3], off offset:-48
	s_cmp_gt_i32 s8, -1
	s_cbranch_scc1 .LBB14_20
	s_branch .LBB14_38
.LBB14_19:
	s_mov_b32 s8, s6
	s_cmp_gt_i32 s8, -1
	s_cbranch_scc0 .LBB14_38
.LBB14_20:
	s_cmp_lt_u32 s8, 7
	s_cbranch_scc1 .LBB14_25
; %bb.21:
	s_mov_b32 s9, 0
	s_lshl_b64 s[12:13], s[8:9], 2
	v_mov_b32_e32 v1, s13
	v_add_co_u32_e32 v0, vcc, s12, v12
	v_addc_co_u32_e32 v1, vcc, v13, v1, vcc
	global_load_dwordx4 v[2:5], v[0:1], off offset:-12
	global_load_dwordx4 v[16:19], v[0:1], off offset:-28
	s_cmp_le_i32 s6, s8
	s_waitcnt vmcnt(1)
	v_pk_mul_f32 v[8:9], v[4:5], s[16:17] op_sel_hi:[1,0]
	v_pk_mul_f32 v[6:7], v[2:3], s[16:17] op_sel_hi:[1,0]
	s_waitcnt vmcnt(0)
	v_pk_mul_f32 v[4:5], v[18:19], s[16:17] op_sel_hi:[1,0]
	v_pk_mul_f32 v[2:3], v[16:17], s[16:17] op_sel_hi:[1,0]
	s_cbranch_scc1 .LBB14_24
; %bb.22:
	s_mul_i32 s7, s8, 48
	s_lshl_b32 s9, s18, 2
	s_add_i32 s7, s7, s9
	s_add_i32 s9, s7, 0xfffffeac
	s_ashr_i32 s7, s6, 31
	s_lshl_b64 s[12:13], s[6:7], 2
	s_add_u32 s7, s2, s12
	s_addc_u32 s11, s3, s13
	s_add_u32 s7, s7, s4
	s_addc_u32 s11, s11, s5
	s_add_u32 s7, s7, s0
	s_addc_u32 s11, s11, s1
	v_mov_b32_e32 v11, s11
	v_add_co_u32_e32 v10, vcc, s7, v14
	v_addc_co_u32_e32 v11, vcc, v11, v15, vcc
	s_mov_b32 s7, s6
.LBB14_23:                              ; =>This Inner Loop Header: Depth=1
	global_load_dword v24, v[10:11], off
	v_mov_b32_e32 v22, s9
	ds_read2_b32 v[16:17], v22 offset0:72 offset1:84
	ds_read2_b32 v[18:19], v22 offset0:48 offset1:60
	;; [unrolled: 1-line block ×3, first 2 shown]
	ds_read2_b32 v[22:23], v22 offset1:12
	s_add_i32 s7, s7, -1
	s_add_i32 s9, s9, -4
	v_add_co_u32_e32 v10, vcc, -4, v10
	v_addc_co_u32_e32 v11, vcc, -1, v11, vcc
	s_cmp_gt_i32 s7, s8
	s_waitcnt vmcnt(0) lgkmcnt(3)
	v_fma_f32 v9, -v24, v17, v9
	v_fma_f32 v8, -v24, v16, v8
	s_waitcnt lgkmcnt(2)
	v_fma_f32 v7, -v24, v19, v7
	v_fma_f32 v6, -v24, v18, v6
	s_waitcnt lgkmcnt(1)
	;; [unrolled: 3-line block ×3, first 2 shown]
	v_fma_f32 v3, -v24, v23, v3
	v_fma_f32 v2, -v24, v22, v2
	s_cbranch_scc1 .LBB14_23
.LBB14_24:
	s_mul_i32 s7, s8, 52
	s_sub_i32 s9, s7, 52
	v_mov_b32_e32 v17, s9
	s_ashr_i32 s9, s8, 31
	s_lshl_b64 s[12:13], s[8:9], 2
	s_add_i32 s11, s7, 0xffffff98
	s_add_i32 s14, s7, 0xffffff30
	v_mov_b32_e32 v16, s7
	v_add_co_u32_e32 v10, vcc, s12, v12
	v_mov_b32_e32 v18, s11
	s_add_i32 s11, s7, 0xffffff70
	s_add_i32 s12, s7, 0xffffff64
	v_mov_b32_e32 v21, s14
	s_add_i32 s14, s7, 0xffffff10
	s_add_i32 s17, s7, 0xfffffefc
	;; [unrolled: 1-line block ×3, first 2 shown]
	v_mov_b32_e32 v19, s11
	v_mov_b32_e32 v20, s12
	;; [unrolled: 1-line block ×4, first 2 shown]
	ds_read_b32 v40, v16
	ds_read2_b32 v[16:17], v17 offset1:1
	ds_read_b32 v41, v18
	ds_read_b32 v42, v19
	;; [unrolled: 1-line block ×6, first 2 shown]
	v_mov_b32_e32 v18, s21
	s_add_i32 s21, s7, 0xfffffeb0
	ds_read_b32 v47, v18
	v_mov_b32_e32 v18, s21
	s_add_i32 s21, s7, 0xfffffea8
	v_mov_b32_e32 v11, s13
	s_add_i32 s9, s7, 0xffffff9c
	s_add_i32 s11, s7, 0xffffff68
	;; [unrolled: 1-line block ×9, first 2 shown]
	v_mov_b32_e32 v19, s21
	s_add_i32 s21, s7, 0xfffffea0
	v_mov_b32_e32 v20, s21
	v_mov_b32_e32 v22, s20
	;; [unrolled: 1-line block ×10, first 2 shown]
	ds_read_b32 v48, v18
	ds_read2_b32 v[18:19], v19 offset1:1
	ds_read2_b32 v[20:21], v20 offset1:1
	;; [unrolled: 1-line block ×11, first 2 shown]
	s_waitcnt lgkmcnt(14)
	v_mul_f32_e32 v9, v9, v40
	global_store_dword v[0:1], v9, off
	v_fma_f32 v0, -v9, v17, v8
	v_mul_f32_e32 v8, v0, v16
	s_waitcnt lgkmcnt(2)
	v_pk_mul_f32 v[0:1], v[8:9], v[34:35]
	v_sub_f32_e32 v1, v7, v1
	v_fma_f32 v16, -v9, v42, v6
	s_waitcnt lgkmcnt(1)
	v_pk_mul_f32 v[6:7], v[8:9], v[36:37]
	v_sub_f32_e32 v7, v5, v7
	v_fma_f32 v17, -v9, v45, v4
	s_waitcnt lgkmcnt(0)
	v_pk_mul_f32 v[4:5], v[8:9], v[38:39]
	v_sub_f32_e32 v0, v1, v0
	v_sub_f32_e32 v5, v3, v5
	v_fma_f32 v9, -v9, v48, v2
	v_mul_f32_e32 v2, v0, v41
	v_mov_b32_e32 v3, v8
	v_pk_mul_f32 v[0:1], v[2:3], v[30:31]
	v_sub_f32_e32 v1, v16, v1
	v_sub_f32_e32 v16, v7, v6
	v_pk_mul_f32 v[6:7], v[2:3], v[32:33]
	v_sub_f32_e32 v0, v1, v0
	v_sub_f32_e32 v7, v17, v7
	v_mul_f32_e32 v0, v0, v43
	v_mov_b32_e32 v1, v2
	v_sub_f32_e32 v17, v5, v4
	v_pk_mul_f32 v[4:5], v[0:1], v[26:27]
	v_sub_f32_e32 v26, v7, v6
	v_pk_mul_f32 v[6:7], v[0:1], v[28:29]
	v_sub_f32_e32 v5, v16, v5
	v_sub_f32_e32 v7, v17, v7
	v_pk_mul_f32 v[16:17], v[2:3], v[18:19]
	v_sub_f32_e32 v1, v9, v17
	v_addc_co_u32_e32 v11, vcc, v13, v11, vcc
	v_sub_f32_e32 v9, v1, v16
	v_mov_b32_e32 v1, v2
	v_mov_b32_e32 v2, v8
	global_store_dwordx3 v[10:11], v[0:2], off offset:-12
	v_sub_f32_e32 v6, v7, v6
	v_sub_f32_e32 v1, v5, v4
	v_mul_f32_e32 v4, v1, v44
	v_mov_b32_e32 v5, v0
	v_pk_mul_f32 v[0:1], v[4:5], v[24:25]
	v_sub_f32_e32 v1, v26, v1
	v_sub_f32_e32 v0, v1, v0
	v_mul_f32_e32 v2, v0, v46
	v_mov_b32_e32 v3, v4
	v_pk_mul_f32 v[0:1], v[2:3], v[22:23]
	v_sub_f32_e32 v1, v6, v1
	v_pk_mul_f32 v[6:7], v[4:5], v[20:21]
	s_add_i32 s21, s7, 0xfffffe98
	v_sub_f32_e32 v3, v9, v7
	v_sub_f32_e32 v0, v1, v0
	;; [unrolled: 1-line block ×3, first 2 shown]
	v_mul_f32_e32 v6, v0, v47
	v_mov_b32_e32 v0, s21
	ds_read2_b32 v[0:1], v0 offset1:1
	s_addk_i32 s7, 0xfe94
	v_mov_b32_e32 v5, s7
	ds_read_b32 v5, v5
	v_mov_b32_e32 v7, v2
	s_waitcnt lgkmcnt(1)
	v_pk_mul_f32 v[0:1], v[6:7], v[0:1]
	v_sub_f32_e32 v1, v3, v1
	v_sub_f32_e32 v0, v1, v0
	s_waitcnt lgkmcnt(0)
	v_mul_f32_e32 v0, v0, v5
	v_mov_b32_e32 v1, v6
	v_mov_b32_e32 v3, v4
	s_add_i32 s8, s8, -8
	global_store_dwordx4 v[10:11], v[0:3], off offset:-28
.LBB14_25:
	s_cmp_lt_i32 s8, 0
	s_cbranch_scc1 .LBB14_38
; %bb.26:
	s_bitcmp1_b32 s8, 0
	s_cselect_b64 s[12:13], -1, 0
	s_and_b64 vcc, exec, s[12:13]
	s_mov_b32 s12, s8
	s_cbranch_vccnz .LBB14_31
; %bb.27:
	s_mov_b32 s9, 0
	s_lshl_b64 s[12:13], s[8:9], 2
	v_mov_b32_e32 v0, s13
	v_add_co_u32_e32 v2, vcc, s12, v12
	v_addc_co_u32_e32 v3, vcc, v13, v0, vcc
	global_load_dword v0, v[2:3], off
	s_cmp_le_i32 s6, s8
	s_waitcnt vmcnt(0)
	v_mul_f32_e32 v0, s16, v0
	s_cbranch_scc1 .LBB14_30
; %bb.28:
	s_mul_i32 s7, s8, 48
	s_lshl_b32 s9, s18, 2
	s_add_i32 s7, s7, s9
	s_add_i32 s9, s7, -4
	s_ashr_i32 s7, s6, 31
	s_lshl_b64 s[12:13], s[6:7], 2
	s_add_u32 s7, s2, s12
	s_addc_u32 s11, s3, s13
	s_add_u32 s7, s7, s4
	s_addc_u32 s11, s11, s5
	s_add_u32 s7, s7, s0
	s_addc_u32 s11, s11, s1
	v_mov_b32_e32 v1, s11
	v_add_co_u32_e32 v4, vcc, s7, v14
	v_addc_co_u32_e32 v5, vcc, v1, v15, vcc
	s_mov_b32 s7, s6
.LBB14_29:                              ; =>This Inner Loop Header: Depth=1
	global_load_dword v1, v[4:5], off
	v_mov_b32_e32 v6, s9
	ds_read_b32 v6, v6
	s_add_i32 s7, s7, -1
	s_add_i32 s9, s9, -4
	v_add_co_u32_e32 v4, vcc, -4, v4
	v_addc_co_u32_e32 v5, vcc, -1, v5, vcc
	s_cmp_gt_i32 s7, s8
	s_waitcnt vmcnt(0) lgkmcnt(0)
	v_fma_f32 v0, -v1, v6, v0
	s_cbranch_scc1 .LBB14_29
.LBB14_30:
	s_mul_i32 s7, s8, 52
	v_mov_b32_e32 v1, s7
	ds_read_b32 v1, v1
	s_add_i32 s12, s8, -1
	s_waitcnt lgkmcnt(0)
	v_mul_f32_e32 v0, v0, v1
	global_store_dword v[2:3], v0, off
.LBB14_31:
	s_cmp_eq_u32 s8, 0
	s_mov_b32 s13, 0
	s_cbranch_scc1 .LBB14_38
; %bb.32:
	s_mul_i32 s7, s12, 48
	s_lshl_b32 s8, s18, 2
	s_add_i32 s9, s7, s8
	s_add_i32 s8, s9, -4
	s_add_u32 s7, s4, s0
	s_addc_u32 s11, s5, s1
	v_add_co_u32_e32 v1, vcc, s7, v14
	s_ashr_i32 s7, s6, 31
	s_lshl_b64 s[14:15], s[6:7], 2
	s_add_u32 s7, s2, s14
	v_mov_b32_e32 v0, s11
	s_addc_u32 s11, s3, s15
	v_addc_co_u32_e32 v0, vcc, v0, v15, vcc
	v_mov_b32_e32 v3, s11
	s_ashr_i32 s11, s10, 31
	v_add_co_u32_e32 v2, vcc, s7, v1
	s_sub_i32 s7, s9, 52
	v_cmp_lt_i64_e64 s[14:15], s[10:11], 12
	s_and_b64 s[14:15], s[14:15], exec
	s_cselect_b32 s15, s11, 0
	s_cselect_b32 s14, s10, 12
	s_lshl_b64 s[14:15], s[14:15], 2
	s_add_u32 s9, s2, s14
	v_addc_co_u32_e32 v3, vcc, v3, v0, vcc
	s_addc_u32 s11, s3, s15
	v_mov_b32_e32 v4, s11
	v_add_co_u32_e32 v1, vcc, s9, v1
	v_addc_co_u32_e32 v0, vcc, v4, v0, vcc
	v_add_co_u32_e32 v4, vcc, -4, v1
	v_addc_co_u32_e32 v5, vcc, -1, v0, vcc
	s_branch .LBB14_34
.LBB14_33:                              ;   in Loop: Header=BB14_34 Depth=1
	s_sub_i32 s9, s9, 52
	v_mov_b32_e32 v1, s9
	ds_read_b32 v1, v1
	s_add_i32 s9, s12, -2
	s_addk_i32 s8, 0xffa0
	s_addk_i32 s7, 0xffa0
	s_cmp_lt_i32 s12, 2
	s_waitcnt lgkmcnt(0)
	v_mul_f32_e32 v0, v0, v1
	s_mov_b32 s12, s9
	global_store_dword v[6:7], v0, off offset:-4
	s_cbranch_scc1 .LBB14_38
.LBB14_34:                              ; =>This Loop Header: Depth=1
                                        ;     Child Loop BB14_35 Depth 2
                                        ;     Child Loop BB14_37 Depth 2
	s_lshl_b64 s[14:15], s[12:13], 2
	v_mov_b32_e32 v1, s15
	v_add_co_u32_e32 v0, vcc, s14, v12
	v_addc_co_u32_e32 v1, vcc, v13, v1, vcc
	global_load_dword v0, v[0:1], off
	v_pk_mov_b32 v[6:7], v[2:3], v[2:3] op_sel:[0,1]
	s_mov_b32 s9, s8
	s_cmp_le_i32 s6, s12
	s_mov_b32 s11, s6
	s_waitcnt vmcnt(0)
	v_mul_f32_e32 v0, s16, v0
	s_cbranch_scc1 .LBB14_36
.LBB14_35:                              ;   Parent Loop BB14_34 Depth=1
                                        ; =>  This Inner Loop Header: Depth=2
	global_load_dword v1, v[6:7], off
	v_mov_b32_e32 v8, s9
	ds_read_b32 v8, v8
	s_add_i32 s11, s11, -1
	s_add_i32 s9, s9, -4
	v_add_co_u32_e32 v6, vcc, -4, v6
	v_addc_co_u32_e32 v7, vcc, -1, v7, vcc
	s_cmp_gt_i32 s11, s12
	s_waitcnt vmcnt(0) lgkmcnt(0)
	v_fma_f32 v0, -v1, v8, v0
	s_cbranch_scc1 .LBB14_35
.LBB14_36:                              ;   in Loop: Header=BB14_34 Depth=1
	s_add_i32 s14, s12, -1
	s_mov_b32 s15, s13
	s_lshl_b64 s[14:15], s[14:15], 2
	v_mov_b32_e32 v1, s15
	v_add_co_u32_e32 v6, vcc, s14, v12
	v_addc_co_u32_e32 v7, vcc, v13, v1, vcc
	global_load_dword v1, v[6:7], off
	s_mul_i32 s9, s12, 52
	v_mov_b32_e32 v6, s9
	ds_read_b32 v10, v6
	s_ashr_i32 s15, s12, 31
	s_mov_b32 s14, s12
	s_lshl_b64 s[14:15], s[14:15], 2
	v_mov_b32_e32 v7, s15
	v_add_co_u32_e32 v6, vcc, s14, v12
	v_addc_co_u32_e32 v7, vcc, v13, v7, vcc
	s_waitcnt lgkmcnt(0)
	v_mul_f32_e32 v0, v0, v10
	v_pk_mov_b32 v[8:9], v[4:5], v[4:5] op_sel:[0,1]
	s_mov_b32 s11, s7
	s_cmp_le_i32 s18, s12
	global_store_dword v[6:7], v0, off
	s_mov_b32 s14, s18
	s_waitcnt vmcnt(1)
	v_mul_f32_e32 v0, s16, v1
	s_cbranch_scc1 .LBB14_33
.LBB14_37:                              ;   Parent Loop BB14_34 Depth=1
                                        ; =>  This Inner Loop Header: Depth=2
	global_load_dword v1, v[8:9], off
	v_mov_b32_e32 v10, s11
	ds_read_b32 v10, v10
	s_add_i32 s14, s14, -1
	s_add_i32 s11, s11, -4
	v_add_co_u32_e32 v8, vcc, -4, v8
	v_addc_co_u32_e32 v9, vcc, -1, v9, vcc
	s_cmp_gt_i32 s14, s12
	s_waitcnt vmcnt(0) lgkmcnt(0)
	v_fma_f32 v0, -v1, v10, v0
	s_cbranch_scc1 .LBB14_37
	s_branch .LBB14_33
.LBB14_38:
	s_mov_b64 s[6:7], 0
.LBB14_39:
	s_and_b64 vcc, exec, s[6:7]
	s_cbranch_vccz .LBB14_61
; %bb.40:
	s_cmp_gt_i32 s10, 11
	s_cselect_b64 s[8:9], -1, 0
	s_and_b64 vcc, exec, s[8:9]
	s_cbranch_vccz .LBB14_42
; %bb.41:
	global_load_dwordx4 v[0:3], v[12:13], off
	global_load_dwordx4 v[4:7], v[12:13], off offset:16
	global_load_dwordx4 v[8:11], v[12:13], off offset:32
	v_mov_b32_e32 v60, 0
	ds_read_b128 v[16:19], v60
	ds_read_b128 v[20:23], v60 offset:16
	ds_read2_b32 v[40:41], v60 offset0:13 offset1:14
	ds_read_b128 v[24:27], v60 offset:32
	ds_read2_b64 v[28:31], v60 offset0:13 offset1:14
	ds_read_b32 v61, v60 offset:92
	ds_read_b128 v[32:35], v60 offset:208
	ds_read_b128 v[36:39], v60 offset:224
	ds_read2_b32 v[42:43], v60 offset0:15 offset1:16
	ds_read2_b32 v[44:45], v60 offset0:17 offset1:18
	;; [unrolled: 1-line block ×4, first 2 shown]
	s_mov_b32 s6, 12
	s_waitcnt vmcnt(2)
	v_mul_f32_e32 v0, s16, v0
	s_waitcnt lgkmcnt(11)
	v_mul_f32_e32 v0, v0, v16
	v_mul_f32_e32 v16, v0, v17
	;; [unrolled: 1-line block ×3, first 2 shown]
	v_fma_f32 v1, v1, s16, -v16
	v_mul_f32_e32 v18, v0, v19
	v_fma_f32 v2, v2, s16, -v17
	s_waitcnt lgkmcnt(10)
	v_mul_f32_e32 v20, v0, v20
	v_mul_f32_e32 v21, v0, v21
	s_waitcnt lgkmcnt(9)
	v_mul_f32_e32 v1, v1, v40
	v_fma_f32 v3, v3, s16, -v18
	s_waitcnt vmcnt(1)
	v_fma_f32 v4, v4, s16, -v20
	v_fma_f32 v5, v5, s16, -v21
	v_fma_f32 v2, -v1, v41, v2
	v_mul_f32_e32 v22, v0, v22
	v_mul_f32_e32 v23, v0, v23
	s_waitcnt lgkmcnt(3)
	v_fma_f32 v3, -v1, v42, v3
	v_fma_f32 v4, -v1, v43, v4
	s_waitcnt lgkmcnt(2)
	v_fma_f32 v5, -v1, v44, v5
	v_mul_f32_e32 v2, v2, v28
	ds_read2_b32 v[16:17], v60 offset0:39 offset1:40
	ds_read2_b32 v[18:19], v60 offset0:41 offset1:42
	;; [unrolled: 1-line block ×4, first 2 shown]
	v_fma_f32 v20, v6, s16, -v22
	v_fma_f32 v21, v7, s16, -v23
	ds_read2_b32 v[22:23], v60 offset0:65 offset1:66
	ds_read2_b32 v[54:55], v60 offset0:67 offset1:68
	;; [unrolled: 1-line block ×5, first 2 shown]
	v_fma_f32 v3, -v2, v29, v3
	v_fma_f32 v30, -v2, v30, v4
	;; [unrolled: 1-line block ×3, first 2 shown]
	ds_read2_b64 v[4:7], v60 offset0:15 offset1:16
	ds_read_b64 v[28:29], v60 offset:136
	v_mul_f32_e32 v24, v0, v24
	v_mul_f32_e32 v25, v0, v25
	v_fma_f32 v20, -v1, v45, v20
	s_waitcnt vmcnt(0)
	v_fma_f32 v8, v8, s16, -v24
	v_fma_f32 v9, v9, s16, -v25
	s_waitcnt lgkmcnt(10)
	v_mul_f32_e32 v3, v3, v16
	v_fma_f32 v21, -v1, v46, v21
	v_fma_f32 v8, -v1, v47, v8
	;; [unrolled: 1-line block ×3, first 2 shown]
	s_waitcnt lgkmcnt(1)
	v_fma_f32 v20, -v2, v4, v20
	v_mul_f32_e32 v24, v0, v26
	v_fma_f32 v26, -v3, v17, v30
	v_fma_f32 v21, -v2, v5, v21
	;; [unrolled: 1-line block ×4, first 2 shown]
	ds_read_b128 v[4:7], v60 offset:416
	ds_read2_b32 v[8:9], v60 offset0:117 offset1:118
	v_fma_f32 v10, v10, s16, -v24
	v_fma_f32 v30, -v3, v18, v31
	v_fma_f32 v31, -v3, v19, v20
	ds_read2_b64 v[16:19], v60 offset0:39 offset1:40
	ds_read_b64 v[24:25], v60 offset:328
	v_mul_f32_e32 v20, v26, v32
	v_fma_f32 v21, -v3, v50, v21
	v_fma_f32 v26, -v20, v33, v30
	;; [unrolled: 1-line block ×4, first 2 shown]
	v_mul_f32_e32 v21, v26, v22
	v_fma_f32 v42, -v3, v51, v42
	v_fma_f32 v22, -v21, v23, v30
	;; [unrolled: 1-line block ×5, first 2 shown]
	s_waitcnt lgkmcnt(1)
	v_mul_f32_e32 v22, v22, v16
	v_fma_f32 v33, -v20, v37, v43
	v_fma_f32 v26, -v21, v55, v32
	;; [unrolled: 1-line block ×5, first 2 shown]
	v_mul_f32_e32 v23, v16, v40
	v_fma_f32 v18, -v22, v19, v30
	v_fma_f32 v16, -v23, v41, v17
	;; [unrolled: 1-line block ×3, first 2 shown]
	v_mul_f32_e32 v4, v16, v4
	v_fma_f32 v10, -v1, v49, v10
	v_fma_f32 v5, -v4, v5, v17
	v_mul_f32_e32 v5, v5, v8
	v_fma_f32 v8, -v2, v28, v10
	v_fma_f32 v8, -v3, v53, v8
	;; [unrolled: 1-line block ×4, first 2 shown]
	s_waitcnt lgkmcnt(0)
	v_fma_f32 v8, -v22, v24, v8
	v_fma_f32 v8, -v23, v59, v8
	v_fma_f32 v6, -v4, v6, v8
	v_fma_f32 v6, -v5, v9, v6
	ds_read2_b32 v[8:9], v60 offset0:47 offset1:71
	global_store_dwordx4 v[12:13], v[0:3], off
	global_store_dwordx4 v[12:13], v[20:23], off offset:16
	v_mul_f32_e32 v0, v0, v27
	v_fma_f32 v0, v11, s16, -v0
	v_fma_f32 v0, -v1, v61, v0
	v_fma_f32 v0, -v2, v29, v0
	s_waitcnt lgkmcnt(0)
	v_fma_f32 v2, -v3, v8, v0
	ds_read2_b32 v[0:1], v60 offset0:95 offset1:119
	v_fma_f32 v2, -v20, v39, v2
	v_fma_f32 v2, -v21, v9, v2
	;; [unrolled: 1-line block ×3, first 2 shown]
	ds_read_b64 v[2:3], v60 offset:520
	s_waitcnt lgkmcnt(1)
	v_fma_f32 v0, -v23, v0, v8
	ds_read_b32 v8, v60 offset:572
	v_fma_f32 v0, -v4, v7, v0
	v_fma_f32 v0, -v5, v1, v0
	s_waitcnt lgkmcnt(1)
	v_mul_f32_e32 v6, v6, v2
	v_fma_f32 v0, -v6, v3, v0
	s_waitcnt lgkmcnt(0)
	v_mul_f32_e32 v7, v0, v8
	global_store_dwordx4 v[12:13], v[4:7], off offset:32
	s_cmp_lt_i32 s6, s18
	s_cbranch_scc1 .LBB14_43
	s_branch .LBB14_61
.LBB14_42:
	s_mov_b32 s6, 0
	s_cmp_lt_i32 s6, s18
	s_cbranch_scc0 .LBB14_61
.LBB14_43:
	s_add_i32 s7, s6, 7
	s_cmp_ge_u32 s7, s18
	s_cbranch_scc1 .LBB14_50
; %bb.44:
	s_lshl_b32 s10, s6, 2
	v_add_co_u32_e32 v0, vcc, s10, v12
	v_addc_co_u32_e32 v1, vcc, 0, v13, vcc
	global_load_dwordx4 v[2:5], v[0:1], off
	global_load_dwordx4 v[16:19], v[0:1], off offset:16
	s_andn2_b64 vcc, exec, s[8:9]
	s_waitcnt vmcnt(1)
	v_pk_mul_f32 v[8:9], v[2:3], s[16:17] op_sel_hi:[1,0]
	v_pk_mul_f32 v[6:7], v[4:5], s[16:17] op_sel_hi:[1,0]
	s_waitcnt vmcnt(0)
	v_pk_mul_f32 v[4:5], v[16:17], s[16:17] op_sel_hi:[1,0]
	v_pk_mul_f32 v[2:3], v[18:19], s[16:17] op_sel_hi:[1,0]
	s_cbranch_vccnz .LBB14_49
; %bb.45:
	s_max_u32 s8, s6, 1
	s_and_b32 s9, s8, 12
	v_pk_mov_b32 v[10:11], v[12:13], v[12:13] op_sel:[0,1]
.LBB14_46:                              ; =>This Inner Loop Header: Depth=1
	global_load_dwordx4 v[16:19], v[10:11], off
	v_mov_b32_e32 v48, s10
	ds_read_b128 v[20:23], v48
	ds_read_b128 v[24:27], v48 offset:16
	ds_read_b128 v[28:31], v48 offset:48
	;; [unrolled: 1-line block ×7, first 2 shown]
	v_add_co_u32_e32 v10, vcc, 16, v10
	s_addk_i32 s10, 0xc0
	s_add_i32 s9, s9, -4
	v_addc_co_u32_e32 v11, vcc, 0, v11, vcc
	s_cmp_lg_u32 s9, 0
	s_waitcnt vmcnt(0) lgkmcnt(7)
	v_pk_fma_f32 v[8:9], v[16:17], v[20:21], v[8:9] op_sel_hi:[0,1,1] neg_lo:[1,0,0] neg_hi:[1,0,0]
	v_pk_fma_f32 v[6:7], v[16:17], v[22:23], v[6:7] op_sel_hi:[0,1,1] neg_lo:[1,0,0] neg_hi:[1,0,0]
	s_waitcnt lgkmcnt(6)
	v_pk_fma_f32 v[4:5], v[16:17], v[24:25], v[4:5] op_sel_hi:[0,1,1] neg_lo:[1,0,0] neg_hi:[1,0,0]
	v_pk_fma_f32 v[2:3], v[16:17], v[26:27], v[2:3] op_sel_hi:[0,1,1] neg_lo:[1,0,0] neg_hi:[1,0,0]
	s_waitcnt lgkmcnt(5)
	v_pk_fma_f32 v[8:9], v[16:17], v[28:29], v[8:9] op_sel:[1,0,0] neg_lo:[1,0,0] neg_hi:[1,0,0]
	v_pk_fma_f32 v[6:7], v[16:17], v[30:31], v[6:7] op_sel:[1,0,0] neg_lo:[1,0,0] neg_hi:[1,0,0]
	s_waitcnt lgkmcnt(4)
	v_pk_fma_f32 v[4:5], v[16:17], v[32:33], v[4:5] op_sel:[1,0,0] neg_lo:[1,0,0] neg_hi:[1,0,0]
	v_pk_fma_f32 v[2:3], v[16:17], v[34:35], v[2:3] op_sel:[1,0,0] neg_lo:[1,0,0] neg_hi:[1,0,0]
	v_mov_b32_e32 v20, v19
	s_waitcnt lgkmcnt(3)
	v_pk_fma_f32 v[8:9], v[18:19], v[36:37], v[8:9] op_sel_hi:[0,1,1] neg_lo:[1,0,0] neg_hi:[1,0,0]
	v_pk_fma_f32 v[6:7], v[18:19], v[38:39], v[6:7] op_sel_hi:[0,1,1] neg_lo:[1,0,0] neg_hi:[1,0,0]
	s_waitcnt lgkmcnt(2)
	v_pk_fma_f32 v[4:5], v[18:19], v[40:41], v[4:5] op_sel_hi:[0,1,1] neg_lo:[1,0,0] neg_hi:[1,0,0]
	v_pk_fma_f32 v[2:3], v[18:19], v[42:43], v[2:3] op_sel_hi:[0,1,1] neg_lo:[1,0,0] neg_hi:[1,0,0]
	;; [unrolled: 3-line block ×4, first 2 shown]
	s_cbranch_scc1 .LBB14_46
; %bb.47:
	s_and_b32 s8, s8, 1
	s_cmp_eq_u32 s8, 0
	s_cbranch_scc1 .LBB14_49
.LBB14_48:                              ; =>This Inner Loop Header: Depth=1
	global_load_dword v24, v[10:11], off
	v_mov_b32_e32 v20, s10
	ds_read_b128 v[16:19], v20
	ds_read_b128 v[20:23], v20 offset:16
	s_add_i32 s10, s10, 48
	v_add_co_u32_e32 v10, vcc, 4, v10
	s_add_i32 s8, s8, -1
	v_addc_co_u32_e32 v11, vcc, 0, v11, vcc
	s_cmp_lg_u32 s8, 0
	s_waitcnt vmcnt(0) lgkmcnt(1)
	v_pk_fma_f32 v[8:9], v[24:25], v[16:17], v[8:9] op_sel_hi:[0,1,1] neg_lo:[1,0,0] neg_hi:[1,0,0]
	v_pk_fma_f32 v[6:7], v[24:25], v[18:19], v[6:7] op_sel_hi:[0,1,1] neg_lo:[1,0,0] neg_hi:[1,0,0]
	s_waitcnt lgkmcnt(0)
	v_pk_fma_f32 v[4:5], v[24:25], v[20:21], v[4:5] op_sel_hi:[0,1,1] neg_lo:[1,0,0] neg_hi:[1,0,0]
	v_pk_fma_f32 v[2:3], v[24:25], v[22:23], v[2:3] op_sel_hi:[0,1,1] neg_lo:[1,0,0] neg_hi:[1,0,0]
	s_cbranch_scc1 .LBB14_48
.LBB14_49:
	s_mul_i32 s8, s6, 52
	v_mov_b32_e32 v30, s8
	ds_read_b128 v[16:19], v30
	ds_read_b128 v[20:23], v30 offset:16
	ds_read2_b32 v[10:11], v30 offset0:13 offset1:14
	s_mul_i32 s7, s7, 52
	s_add_i32 s6, s6, 8
	s_waitcnt lgkmcnt(2)
	v_mul_f32_e32 v8, v8, v16
	v_fma_f32 v9, -v8, v17, v9
	ds_read2_b32 v[16:17], v30 offset0:15 offset1:16
	ds_read2_b32 v[28:29], v30 offset0:17 offset1:18
	ds_read_b32 v31, v30 offset:76
	ds_read2_b64 v[24:27], v30 offset0:13 offset1:14
	s_waitcnt lgkmcnt(4)
	v_mul_f32_e32 v9, v9, v10
	v_fma_f32 v6, -v8, v18, v6
	v_fma_f32 v10, -v9, v11, v6
	;; [unrolled: 1-line block ×3, first 2 shown]
	s_waitcnt lgkmcnt(3)
	v_fma_f32 v11, -v9, v16, v6
	ds_read2_b32 v[6:7], v30 offset0:39 offset1:40
	ds_read_b64 v[18:19], v30 offset:120
	s_waitcnt lgkmcnt(2)
	v_mul_f32_e32 v10, v10, v24
	v_fma_f32 v4, -v8, v20, v4
	v_fma_f32 v11, -v10, v25, v11
	;; [unrolled: 1-line block ×3, first 2 shown]
	s_waitcnt lgkmcnt(1)
	v_mul_f32_e32 v11, v11, v6
	v_fma_f32 v4, -v10, v26, v4
	v_fma_f32 v26, -v11, v7, v4
	;; [unrolled: 1-line block ×3, first 2 shown]
	ds_read2_b32 v[24:25], v30 offset0:41 offset1:42
	v_fma_f32 v16, -v9, v28, v4
	ds_read_b128 v[4:7], v30 offset:208
	v_fma_f32 v2, -v8, v22, v2
	v_fma_f32 v20, -v10, v27, v16
	ds_read2_b32 v[16:17], v30 offset0:43 offset1:65
	v_fma_f32 v2, -v9, v29, v2
	s_waitcnt lgkmcnt(2)
	v_fma_f32 v24, -v11, v24, v20
	ds_read_b64 v[20:21], v30 offset:264
	s_waitcnt lgkmcnt(2)
	v_mul_f32_e32 v4, v26, v4
	v_fma_f32 v2, -v10, v18, v2
	v_fma_f32 v5, -v4, v5, v24
	;; [unrolled: 1-line block ×3, first 2 shown]
	ds_read2_b32 v[24:25], v30 offset0:78 offset1:79
	v_fma_f32 v3, -v8, v23, v3
	v_fma_f32 v2, -v4, v6, v2
	;; [unrolled: 1-line block ×3, first 2 shown]
	v_mov_b32_e32 v6, s7
	global_store_dwordx4 v[0:1], v[8:11], off
	v_fma_f32 v3, -v10, v19, v3
	ds_read_b32 v8, v6
	s_waitcnt lgkmcnt(3)
	v_mul_f32_e32 v5, v5, v17
	v_fma_f32 v3, -v11, v16, v3
	s_waitcnt lgkmcnt(2)
	v_fma_f32 v2, -v5, v20, v2
	v_fma_f32 v3, -v4, v7, v3
	;; [unrolled: 1-line block ×3, first 2 shown]
	s_waitcnt lgkmcnt(1)
	v_mul_f32_e32 v6, v2, v24
	v_fma_f32 v2, -v6, v25, v3
	s_waitcnt lgkmcnt(0)
	v_mul_f32_e32 v7, v2, v8
	global_store_dwordx4 v[0:1], v[4:7], off offset:16
.LBB14_50:
	s_cmp_ge_i32 s6, s18
	s_cbranch_scc1 .LBB14_61
; %bb.51:
	s_add_i32 s8, s6, -1
	s_lshl_b32 s9, s6, 2
	s_add_u32 s2, s2, s4
	s_addc_u32 s3, s3, s5
	s_add_u32 s0, s2, s0
	s_addc_u32 s1, s3, s1
	v_mov_b32_e32 v0, s1
	v_add_co_u32_e32 v1, vcc, s0, v14
	v_addc_co_u32_e32 v8, vcc, v0, v15, vcc
	v_add_co_u32_e32 v2, vcc, 28, v1
	v_addc_co_u32_e32 v3, vcc, 0, v8, vcc
	s_mov_b32 s1, 0
	s_mov_b32 s3, s6
	;; [unrolled: 1-line block ×3, first 2 shown]
	s_branch .LBB14_53
.LBB14_52:                              ;   in Loop: Header=BB14_53 Depth=1
	s_mul_i32 s0, s6, 52
	v_mov_b32_e32 v6, s0
	ds_read_b32 v6, v6
	s_add_i32 s6, s6, 1
	s_add_i32 s2, s2, 1
	;; [unrolled: 1-line block ×3, first 2 shown]
	v_add_u16_e64 v7, s3, 1
	s_waitcnt lgkmcnt(0)
	v_mul_f32_e32 v0, v0, v6
	s_cmp_ge_i32 s6, s18
	v_readfirstlane_b32 s3, v7
	global_store_dword v[4:5], v0, off
	s_cbranch_scc1 .LBB14_61
.LBB14_53:                              ; =>This Loop Header: Depth=1
                                        ;     Child Loop BB14_56 Depth 2
                                        ;     Child Loop BB14_60 Depth 2
	s_ashr_i32 s7, s6, 31
	s_lshl_b64 s[4:5], s[6:7], 2
	v_mov_b32_e32 v0, s5
	v_add_co_u32_e32 v4, vcc, s4, v12
	v_addc_co_u32_e32 v5, vcc, v13, v0, vcc
	global_load_dword v0, v[4:5], off
	s_cmp_eq_u32 s6, 0
	s_waitcnt vmcnt(0)
	v_mul_f32_e32 v0, s16, v0
	s_cbranch_scc1 .LBB14_52
; %bb.54:                               ;   in Loop: Header=BB14_53 Depth=1
	s_add_i32 s0, s8, s2
	s_cmp_lt_u32 s0, 7
	s_cbranch_scc1 .LBB14_58
; %bb.55:                               ;   in Loop: Header=BB14_53 Depth=1
	s_and_b32 s0, s6, -8
	s_mov_b32 s4, 0
	v_pk_mov_b32 v[6:7], v[2:3], v[2:3] op_sel:[0,1]
	s_mov_b32 s5, s9
.LBB14_56:                              ;   Parent Loop BB14_53 Depth=1
                                        ; =>  This Inner Loop Header: Depth=2
	global_load_dwordx4 v[14:17], v[6:7], off offset:-28
	global_load_dwordx4 v[18:21], v[6:7], off offset:-12
	v_mov_b32_e32 v9, s5
	ds_read2_b32 v[10:11], v9 offset1:12
	ds_read2_b32 v[22:23], v9 offset0:24 offset1:36
	ds_read2_b32 v[24:25], v9 offset0:48 offset1:60
	;; [unrolled: 1-line block ×3, first 2 shown]
	s_add_i32 s4, s4, 8
	s_addk_i32 s5, 0x180
	v_add_co_u32_e32 v6, vcc, 32, v6
	v_addc_co_u32_e32 v7, vcc, 0, v7, vcc
	s_cmp_lg_u32 s0, s4
	s_waitcnt vmcnt(1) lgkmcnt(3)
	v_fma_f32 v0, -v14, v10, v0
	v_fma_f32 v0, -v15, v11, v0
	s_waitcnt lgkmcnt(2)
	v_fma_f32 v0, -v16, v22, v0
	v_fma_f32 v0, -v17, v23, v0
	s_waitcnt vmcnt(0) lgkmcnt(1)
	v_fma_f32 v0, -v18, v24, v0
	v_fma_f32 v0, -v19, v25, v0
	s_waitcnt lgkmcnt(0)
	v_fma_f32 v0, -v20, v26, v0
	v_fma_f32 v0, -v21, v27, v0
	s_cbranch_scc1 .LBB14_56
; %bb.57:                               ;   in Loop: Header=BB14_53 Depth=1
	s_and_b32 s4, s6, 7
	s_cmp_eq_u32 s4, 0
	s_cbranch_scc0 .LBB14_59
	s_branch .LBB14_52
.LBB14_58:                              ;   in Loop: Header=BB14_53 Depth=1
	s_mov_b32 s0, 0
	s_and_b32 s4, s6, 7
	s_cmp_eq_u32 s4, 0
	s_cbranch_scc1 .LBB14_52
.LBB14_59:                              ;   in Loop: Header=BB14_53 Depth=1
	s_lshl_b64 s[10:11], s[0:1], 2
	v_mov_b32_e32 v7, s11
	v_add_co_u32_e32 v6, vcc, s10, v1
	s_and_b32 s4, s3, 7
	s_mul_i32 s5, s0, 48
	v_addc_co_u32_e32 v7, vcc, v8, v7, vcc
.LBB14_60:                              ;   Parent Loop BB14_53 Depth=1
                                        ; =>  This Inner Loop Header: Depth=2
	global_load_dword v9, v[6:7], off
	s_add_i32 s0, s9, s5
	v_mov_b32_e32 v10, s0
	ds_read_b32 v10, v10
	s_add_i32 s5, s5, 48
	v_add_co_u32_e32 v6, vcc, 4, v6
	s_add_i32 s4, s4, -1
	v_addc_co_u32_e32 v7, vcc, 0, v7, vcc
	s_cmp_lg_u32 s4, 0
	s_waitcnt vmcnt(0) lgkmcnt(0)
	v_fma_f32 v0, -v9, v10, v0
	s_cbranch_scc1 .LBB14_60
	s_branch .LBB14_52
.LBB14_61:
	s_endpgm
	.section	.rodata,"a",@progbits
	.p2align	6, 0x0
	.amdhsa_kernel _ZL30rocblas_trsm_small_left_deviceILi12ELi12ELb1EffPKfPfEv13rocblas_fill_18rocblas_operation_17rocblas_diagonal_iiT3_T4_lilT5_lili
		.amdhsa_group_segment_fixed_size 576
		.amdhsa_private_segment_fixed_size 0
		.amdhsa_kernarg_size 352
		.amdhsa_user_sgpr_count 6
		.amdhsa_user_sgpr_private_segment_buffer 1
		.amdhsa_user_sgpr_dispatch_ptr 0
		.amdhsa_user_sgpr_queue_ptr 0
		.amdhsa_user_sgpr_kernarg_segment_ptr 1
		.amdhsa_user_sgpr_dispatch_id 0
		.amdhsa_user_sgpr_flat_scratch_init 0
		.amdhsa_user_sgpr_kernarg_preload_length 0
		.amdhsa_user_sgpr_kernarg_preload_offset 0
		.amdhsa_user_sgpr_private_segment_size 0
		.amdhsa_uses_dynamic_stack 0
		.amdhsa_system_sgpr_private_segment_wavefront_offset 0
		.amdhsa_system_sgpr_workgroup_id_x 1
		.amdhsa_system_sgpr_workgroup_id_y 0
		.amdhsa_system_sgpr_workgroup_id_z 1
		.amdhsa_system_sgpr_workgroup_info 0
		.amdhsa_system_vgpr_workitem_id 0
		.amdhsa_next_free_vgpr 64
		.amdhsa_next_free_sgpr 43
		.amdhsa_accum_offset 64
		.amdhsa_reserve_vcc 1
		.amdhsa_reserve_flat_scratch 0
		.amdhsa_float_round_mode_32 0
		.amdhsa_float_round_mode_16_64 0
		.amdhsa_float_denorm_mode_32 3
		.amdhsa_float_denorm_mode_16_64 3
		.amdhsa_dx10_clamp 1
		.amdhsa_ieee_mode 1
		.amdhsa_fp16_overflow 0
		.amdhsa_tg_split 0
		.amdhsa_exception_fp_ieee_invalid_op 0
		.amdhsa_exception_fp_denorm_src 0
		.amdhsa_exception_fp_ieee_div_zero 0
		.amdhsa_exception_fp_ieee_overflow 0
		.amdhsa_exception_fp_ieee_underflow 0
		.amdhsa_exception_fp_ieee_inexact 0
		.amdhsa_exception_int_div_zero 0
	.end_amdhsa_kernel
	.section	.text._ZL30rocblas_trsm_small_left_deviceILi12ELi12ELb1EffPKfPfEv13rocblas_fill_18rocblas_operation_17rocblas_diagonal_iiT3_T4_lilT5_lili,"axG",@progbits,_ZL30rocblas_trsm_small_left_deviceILi12ELi12ELb1EffPKfPfEv13rocblas_fill_18rocblas_operation_17rocblas_diagonal_iiT3_T4_lilT5_lili,comdat
.Lfunc_end14:
	.size	_ZL30rocblas_trsm_small_left_deviceILi12ELi12ELb1EffPKfPfEv13rocblas_fill_18rocblas_operation_17rocblas_diagonal_iiT3_T4_lilT5_lili, .Lfunc_end14-_ZL30rocblas_trsm_small_left_deviceILi12ELi12ELb1EffPKfPfEv13rocblas_fill_18rocblas_operation_17rocblas_diagonal_iiT3_T4_lilT5_lili
                                        ; -- End function
	.section	.AMDGPU.csdata,"",@progbits
; Kernel info:
; codeLenInByte = 7360
; NumSgprs: 47
; NumVgprs: 64
; NumAgprs: 0
; TotalNumVgprs: 64
; ScratchSize: 0
; MemoryBound: 0
; FloatMode: 240
; IeeeMode: 1
; LDSByteSize: 576 bytes/workgroup (compile time only)
; SGPRBlocks: 5
; VGPRBlocks: 7
; NumSGPRsForWavesPerEU: 47
; NumVGPRsForWavesPerEU: 64
; AccumOffset: 64
; Occupancy: 8
; WaveLimiterHint : 0
; COMPUTE_PGM_RSRC2:SCRATCH_EN: 0
; COMPUTE_PGM_RSRC2:USER_SGPR: 6
; COMPUTE_PGM_RSRC2:TRAP_HANDLER: 0
; COMPUTE_PGM_RSRC2:TGID_X_EN: 1
; COMPUTE_PGM_RSRC2:TGID_Y_EN: 0
; COMPUTE_PGM_RSRC2:TGID_Z_EN: 1
; COMPUTE_PGM_RSRC2:TIDIG_COMP_CNT: 0
; COMPUTE_PGM_RSRC3_GFX90A:ACCUM_OFFSET: 15
; COMPUTE_PGM_RSRC3_GFX90A:TG_SPLIT: 0
	.section	.text._ZL31rocblas_trsm_small_right_deviceIffPKfPfLi12EEv13rocblas_fill_18rocblas_operation_17rocblas_diagonal_iiT0_T1_lilT2_lili,"axG",@progbits,_ZL31rocblas_trsm_small_right_deviceIffPKfPfLi12EEv13rocblas_fill_18rocblas_operation_17rocblas_diagonal_iiT0_T1_lilT2_lili,comdat
	.globl	_ZL31rocblas_trsm_small_right_deviceIffPKfPfLi12EEv13rocblas_fill_18rocblas_operation_17rocblas_diagonal_iiT0_T1_lilT2_lili ; -- Begin function _ZL31rocblas_trsm_small_right_deviceIffPKfPfLi12EEv13rocblas_fill_18rocblas_operation_17rocblas_diagonal_iiT0_T1_lilT2_lili
	.p2align	8
	.type	_ZL31rocblas_trsm_small_right_deviceIffPKfPfLi12EEv13rocblas_fill_18rocblas_operation_17rocblas_diagonal_iiT0_T1_lilT2_lili,@function
_ZL31rocblas_trsm_small_right_deviceIffPKfPfLi12EEv13rocblas_fill_18rocblas_operation_17rocblas_diagonal_iiT0_T1_lilT2_lili: ; @_ZL31rocblas_trsm_small_right_deviceIffPKfPfLi12EEv13rocblas_fill_18rocblas_operation_17rocblas_diagonal_iiT0_T1_lilT2_lili
; %bb.0:
	s_load_dwordx4 s[8:11], s[4:5], 0x0
	s_load_dwordx2 s[18:19], s[4:5], 0x10
	s_load_dwordx4 s[0:3], s[4:5], 0x30
	s_load_dwordx2 s[16:17], s[4:5], 0x40
	s_mov_b32 s27, 0
	s_waitcnt lgkmcnt(0)
	s_min_i32 s26, s18, 12
	v_cmp_gt_i32_e32 vcc, s26, v0
	s_and_saveexec_b64 s[20:21], vcc
	s_cbranch_execz .LBB15_14
; %bb.1:
	s_load_dword s22, s[4:5], 0x28
	s_load_dwordx4 s[12:15], s[4:5], 0x18
	s_cmp_gt_u32 s26, 1
	s_cselect_b64 s[24:25], -1, 0
	s_mov_b32 s23, 1
	s_waitcnt lgkmcnt(0)
	s_cmp_eq_u32 s22, 1
	s_cselect_b64 s[28:29], -1, 0
	s_and_b64 s[28:29], s[24:25], s[28:29]
	s_mov_b64 s[24:25], -1
	s_and_b64 vcc, exec, s[28:29]
	s_cbranch_vccz .LBB15_9
; %bb.2:
	s_add_i32 s24, s26, -2
	s_lshr_b32 s25, s24, 1
	s_add_i32 s25, s25, 1
	s_cmp_lt_u32 s24, 14
	s_mov_b32 s24, s27
	s_cbranch_scc1 .LBB15_5
; %bb.3:
	s_mul_i32 s23, s1, s7
	s_mul_hi_u32 s24, s0, s7
	s_add_i32 s31, s24, s23
	s_mul_i32 s30, s0, s7
	s_and_b32 s28, s25, -8
	s_lshl_b64 s[30:31], s[30:31], 2
	s_lshl_b64 s[34:35], s[14:15], 2
	s_add_u32 s23, s30, s34
	s_addc_u32 s24, s31, s35
	s_add_u32 s23, s12, s23
	v_lshlrev_b32_e32 v1, 2, v0
	s_addc_u32 s24, s13, s24
	v_mov_b32_e32 v2, s24
	v_add_co_u32_e32 v1, vcc, s23, v1
	v_addc_co_u32_e32 v3, vcc, 0, v2, vcc
	v_add_co_u32_e32 v2, vcc, 56, v1
	v_addc_co_u32_e32 v3, vcc, 0, v3, vcc
	s_mov_b32 s23, 1
	s_mov_b32 s24, 0
.LBB15_4:                               ; =>This Inner Loop Header: Depth=1
	global_load_dwordx4 v[4:7], v[2:3], off offset:-56
	global_load_dwordx4 v[8:11], v[2:3], off offset:-40
	;; [unrolled: 1-line block ×4, first 2 shown]
	s_mul_i32 s29, s23, 12
	s_mul_i32 s30, s27, 12
	s_add_i32 s24, s24, 16
	s_add_i32 s23, s23, 16
	;; [unrolled: 1-line block ×3, first 2 shown]
	s_add_i32 s28, s28, -8
	v_add_co_u32_e32 v2, vcc, 64, v2
	v_add_lshl_u32 v1, s30, v0, 2
	v_add_lshl_u32 v20, s29, v0, 2
	s_add_i32 s31, s29, 24
	s_add_i32 s33, s30, 24
	;; [unrolled: 1-line block ×12, first 2 shown]
	s_addk_i32 s29, 0xa8
	s_addk_i32 s30, 0xa8
	v_addc_co_u32_e32 v3, vcc, 0, v3, vcc
	s_cmp_lg_u32 s28, 0
	v_add_lshl_u32 v21, s33, v0, 2
	v_add_lshl_u32 v22, s31, v0, 2
	;; [unrolled: 1-line block ×14, first 2 shown]
	s_waitcnt vmcnt(3)
	ds_write_b32 v1, v4
	ds_write_b32 v20, v5
	ds_write_b32 v21, v6
	ds_write_b32 v22, v7
	s_waitcnt vmcnt(2)
	ds_write_b32 v23, v8
	ds_write_b32 v24, v9
	ds_write_b32 v25, v10
	ds_write_b32 v26, v11
	;; [unrolled: 5-line block ×4, first 2 shown]
	s_cbranch_scc1 .LBB15_4
.LBB15_5:
	s_and_b32 s28, s25, 7
	s_cmp_eq_u32 s28, 0
	s_mov_b32 s25, 0
	s_cbranch_scc1 .LBB15_8
; %bb.6:
	s_mul_i32 s29, s1, s7
	s_mul_hi_u32 s30, s0, s7
	s_add_i32 s31, s30, s29
	s_mul_i32 s30, s0, s7
	s_lshl_b64 s[30:31], s[30:31], 2
	s_lshl_b64 s[34:35], s[14:15], 2
	s_add_u32 s29, s30, s34
	s_addc_u32 s30, s31, s35
	s_lshl_b64 s[24:25], s[24:25], 2
	s_add_u32 s24, s12, s24
	s_addc_u32 s25, s13, s25
	s_add_u32 s24, s24, s29
	v_lshlrev_b32_e32 v1, 2, v0
	s_addc_u32 s25, s25, s30
	v_mov_b32_e32 v3, s25
	v_add_co_u32_e32 v2, vcc, s24, v1
	v_addc_co_u32_e32 v3, vcc, 0, v3, vcc
	s_lshl_b32 s24, s28, 3
.LBB15_7:                               ; =>This Inner Loop Header: Depth=1
	global_load_dwordx2 v[4:5], v[2:3], off
	s_mul_i32 s25, s23, 12
	s_mul_i32 s28, s27, 12
	s_add_i32 s23, s23, 2
	s_add_i32 s27, s27, 2
	v_add_co_u32_e32 v2, vcc, 8, v2
	s_add_i32 s24, s24, -8
	v_addc_co_u32_e32 v3, vcc, 0, v3, vcc
	v_add_lshl_u32 v1, s28, v0, 2
	s_cmp_lg_u32 s24, 0
	v_add_lshl_u32 v6, s25, v0, 2
	s_waitcnt vmcnt(0)
	ds_write_b32 v1, v4
	ds_write_b32 v6, v5
	s_cbranch_scc1 .LBB15_7
.LBB15_8:
	s_and_b32 s27, s26, -2
	s_cmp_lg_u32 s26, s27
	s_cselect_b64 s[24:25], -1, 0
.LBB15_9:
	s_and_b64 vcc, exec, s[24:25]
	s_cbranch_vccz .LBB15_12
; %bb.10:
	s_ashr_i32 s23, s22, 31
	s_mul_i32 s1, s1, s7
	s_mul_hi_u32 s24, s0, s7
	s_add_i32 s1, s24, s1
	s_mul_hi_u32 s24, s22, s27
	s_mul_i32 s25, s23, s27
	s_mul_i32 s0, s0, s7
	s_add_i32 s25, s24, s25
	s_mul_i32 s24, s22, s27
	s_lshl_b64 s[0:1], s[0:1], 2
	s_lshl_b64 s[24:25], s[24:25], 2
	s_add_u32 s24, s0, s24
	s_addc_u32 s25, s1, s25
	s_lshl_b64 s[0:1], s[14:15], 2
	s_add_u32 s0, s24, s0
	s_addc_u32 s1, s25, s1
	s_add_u32 s0, s12, s0
	v_lshlrev_b32_e32 v1, 2, v0
	s_addc_u32 s1, s13, s1
	v_mov_b32_e32 v3, s1
	v_add_co_u32_e32 v2, vcc, s0, v1
	s_lshl_b64 s[0:1], s[22:23], 2
	s_mul_i32 s13, s27, 48
	v_addc_co_u32_e32 v3, vcc, 0, v3, vcc
	s_sub_i32 s12, s26, s27
	v_lshl_add_u32 v1, v0, 2, s13
	v_mov_b32_e32 v4, s1
.LBB15_11:                              ; =>This Inner Loop Header: Depth=1
	global_load_dword v5, v[2:3], off
	v_add_co_u32_e32 v2, vcc, s0, v2
	s_add_i32 s12, s12, -1
	v_addc_co_u32_e32 v3, vcc, v3, v4, vcc
	s_cmp_eq_u32 s12, 0
	s_waitcnt vmcnt(0)
	ds_write_b32 v1, v5
	v_add_u32_e32 v1, 48, v1
	s_cbranch_scc0 .LBB15_11
.LBB15_12:
	s_cmpk_eq_i32 s10, 0x84
	s_cbranch_scc0 .LBB15_14
; %bb.13:
	v_mul_u32_u24_e32 v1, 13, v0
	v_lshlrev_b32_e32 v1, 2, v1
	v_mov_b32_e32 v2, 1.0
	ds_write_b32 v1, v2
.LBB15_14:
	s_or_b64 exec, exec, s[20:21]
	s_load_dword s1, s[4:5], 0x60
	s_load_dword s0, s[4:5], 0x48
	s_load_dwordx2 s[12:13], s[4:5], 0x50
	s_mul_i32 s4, s6, -12
	s_add_i32 s4, s4, s11
	s_waitcnt lgkmcnt(0)
	s_add_i32 s1, s1, -1
	s_cmp_ge_u32 s6, s1
	s_cselect_b32 s1, s4, 12
	s_cmp_gt_i32 s18, 0
	v_cmp_gt_i32_e32 vcc, s1, v0
	s_cselect_b64 s[4:5], -1, 0
	s_mul_hi_i32 s22, s6, 48
	s_mul_i32 s6, s6, 48
	s_mov_b32 s21, 0
	s_and_b64 s[4:5], vcc, s[4:5]
	s_and_saveexec_b64 s[10:11], s[4:5]
	s_cbranch_execz .LBB15_26
; %bb.15:
	s_cmp_lt_u32 s18, 2
	s_cselect_b64 s[24:25], -1, 0
	s_cmp_lg_u32 s0, 1
	s_cselect_b64 s[28:29], -1, 0
	s_or_b64 s[24:25], s[24:25], s[28:29]
	s_mov_b32 s1, 1
	s_mov_b64 s[14:15], -1
	s_and_b64 vcc, exec, s[24:25]
	s_cbranch_vccnz .LBB15_23
; %bb.16:
	s_add_i32 s20, s18, -2
	s_lshr_b32 s21, s20, 1
	s_add_i32 s21, s21, 1
	s_mov_b32 s23, 0
	s_mov_b32 s14, s19
	;; [unrolled: 1-line block ×3, first 2 shown]
	s_cmp_lt_u32 s20, 14
	s_mov_b32 s20, s23
	s_cbranch_scc1 .LBB15_19
; %bb.17:
	s_mul_i32 s1, s13, s7
	s_mul_hi_u32 s20, s12, s7
	s_add_i32 s29, s20, s1
	s_mul_i32 s28, s12, s7
	s_and_b32 s24, s21, -8
	s_lshl_b64 s[28:29], s[28:29], 2
	s_add_u32 s1, s28, s6
	s_addc_u32 s20, s29, s22
	s_lshl_b64 s[28:29], s[16:17], 2
	s_add_u32 s1, s1, s28
	s_addc_u32 s20, s20, s29
	s_add_u32 s1, s2, s1
	v_lshlrev_b32_e32 v1, 2, v0
	s_addc_u32 s20, s3, s20
	v_mov_b32_e32 v2, s20
	v_add_co_u32_e32 v1, vcc, s1, v1
	v_addc_co_u32_e32 v3, vcc, 0, v2, vcc
	v_add_co_u32_e32 v2, vcc, 56, v1
	v_addc_co_u32_e32 v3, vcc, 0, v3, vcc
	s_mov_b32 s1, 1
	s_mov_b32 s20, 0
.LBB15_18:                              ; =>This Inner Loop Header: Depth=1
	global_load_dwordx4 v[4:7], v[2:3], off offset:-56
	global_load_dwordx4 v[8:11], v[2:3], off offset:-40
	;; [unrolled: 1-line block ×4, first 2 shown]
	s_mul_i32 s25, s1, 12
	s_mul_i32 s27, s23, 12
	s_add_i32 s20, s20, 16
	s_add_i32 s1, s1, 16
	;; [unrolled: 1-line block ×3, first 2 shown]
	s_add_i32 s24, s24, -8
	v_add_co_u32_e32 v2, vcc, 64, v2
	v_add_lshl_u32 v1, s27, v0, 2
	v_add_lshl_u32 v20, s25, v0, 2
	s_add_i32 s28, s25, 24
	s_add_i32 s29, s27, 24
	;; [unrolled: 1-line block ×12, first 2 shown]
	s_addk_i32 s25, 0xa8
	s_addk_i32 s27, 0xa8
	v_addc_co_u32_e32 v3, vcc, 0, v3, vcc
	s_cmp_lg_u32 s24, 0
	v_add_lshl_u32 v21, s29, v0, 2
	v_add_lshl_u32 v22, s28, v0, 2
	;; [unrolled: 1-line block ×14, first 2 shown]
	s_waitcnt vmcnt(3)
	v_pk_mul_f32 v[4:5], v[4:5], s[14:15]
	v_pk_mul_f32 v[6:7], v[6:7], s[14:15]
	s_waitcnt vmcnt(2)
	v_pk_mul_f32 v[8:9], v[8:9], s[14:15]
	v_pk_mul_f32 v[10:11], v[10:11], s[14:15]
	;; [unrolled: 3-line block ×4, first 2 shown]
	ds_write_b32 v1, v4 offset:576
	ds_write_b32 v20, v5 offset:576
	;; [unrolled: 1-line block ×16, first 2 shown]
	s_cbranch_scc1 .LBB15_18
.LBB15_19:
	s_and_b32 s24, s21, 7
	s_cmp_eq_u32 s24, 0
	s_mov_b32 s21, 0
	s_cbranch_scc1 .LBB15_22
; %bb.20:
	s_mul_i32 s25, s13, s7
	s_mul_hi_u32 s27, s12, s7
	s_add_i32 s29, s27, s25
	s_mul_i32 s28, s12, s7
	s_lshl_b64 s[28:29], s[28:29], 2
	s_add_u32 s25, s28, s6
	s_addc_u32 s27, s29, s22
	s_lshl_b64 s[28:29], s[16:17], 2
	s_add_u32 s25, s25, s28
	s_addc_u32 s27, s27, s29
	;; [unrolled: 3-line block ×3, first 2 shown]
	s_add_u32 s20, s20, s25
	v_lshlrev_b32_e32 v1, 2, v0
	s_addc_u32 s21, s21, s27
	v_mov_b32_e32 v3, s21
	v_add_co_u32_e32 v2, vcc, s20, v1
	v_addc_co_u32_e32 v3, vcc, 0, v3, vcc
.LBB15_21:                              ; =>This Inner Loop Header: Depth=1
	global_load_dwordx2 v[4:5], v[2:3], off
	s_mul_i32 s20, s1, 12
	s_mul_i32 s21, s23, 12
	s_add_i32 s1, s1, 2
	s_add_i32 s23, s23, 2
	v_add_co_u32_e32 v2, vcc, 8, v2
	s_add_i32 s24, s24, -1
	v_addc_co_u32_e32 v3, vcc, 0, v3, vcc
	v_add_lshl_u32 v1, s21, v0, 2
	s_cmp_lg_u32 s24, 0
	v_add_lshl_u32 v6, s20, v0, 2
	s_waitcnt vmcnt(0)
	v_pk_mul_f32 v[4:5], v[4:5], s[14:15]
	ds_write_b32 v1, v4 offset:576
	ds_write_b32 v6, v5 offset:576
	s_cbranch_scc1 .LBB15_21
.LBB15_22:
	s_and_b32 s21, s18, 0x7ffffffe
	s_cmp_lg_u32 s21, s18
	s_cselect_b64 s[14:15], -1, 0
.LBB15_23:
	s_and_b64 vcc, exec, s[14:15]
	s_cbranch_vccz .LBB15_26
; %bb.24:
	s_mul_i32 s14, s21, 48
	v_lshl_add_u32 v1, v0, 2, s14
	s_mul_i32 s14, s13, s7
	s_mul_hi_u32 s15, s12, s7
	s_add_i32 s15, s15, s14
	s_mul_i32 s14, s12, s7
	s_mul_hi_i32 s25, s0, s21
	s_mul_i32 s24, s0, s21
	s_ashr_i32 s1, s0, 31
	s_sub_i32 s20, s18, s21
	s_lshl_b64 s[14:15], s[14:15], 2
	s_lshl_b64 s[24:25], s[24:25], 2
	s_add_u32 s14, s14, s24
	s_addc_u32 s15, s15, s25
	s_add_u32 s21, s14, s6
	s_addc_u32 s23, s15, s22
	s_lshl_b64 s[14:15], s[16:17], 2
	s_add_u32 s14, s21, s14
	s_addc_u32 s15, s23, s15
	s_add_u32 s14, s2, s14
	v_lshlrev_b32_e32 v2, 2, v0
	s_addc_u32 s15, s3, s15
	v_mov_b32_e32 v3, s15
	v_add_co_u32_e32 v2, vcc, s14, v2
	s_lshl_b64 s[14:15], s[0:1], 2
	v_add_u32_e32 v1, 0x240, v1
	v_addc_co_u32_e32 v3, vcc, 0, v3, vcc
	v_mov_b32_e32 v4, s15
.LBB15_25:                              ; =>This Inner Loop Header: Depth=1
	global_load_dword v5, v[2:3], off
	s_add_i32 s20, s20, -1
	v_add_co_u32_e32 v2, vcc, s14, v2
	v_addc_co_u32_e32 v3, vcc, v3, v4, vcc
	s_cmp_lg_u32 s20, 0
	s_waitcnt vmcnt(0)
	v_mul_f32_e32 v5, s19, v5
	ds_write_b32 v1, v5
	v_add_u32_e32 v1, 48, v1
	s_cbranch_scc1 .LBB15_25
.LBB15_26:
	s_or_b64 exec, exec, s[10:11]
	s_cmpk_eq_i32 s9, 0x6f
	s_cselect_b64 s[14:15], -1, 0
	s_cmpk_eq_i32 s8, 0x79
	s_cselect_b64 s[20:21], -1, 0
	s_cmpk_lg_i32 s8, 0x79
	s_cselect_b64 s[10:11], -1, 0
	s_and_b64 s[20:21], s[20:21], s[14:15]
	s_andn2_b64 vcc, exec, s[20:21]
	s_mov_b64 s[20:21], -1
	s_waitcnt lgkmcnt(0)
	; wave barrier
	s_waitcnt lgkmcnt(0)
	s_cbranch_vccz .LBB15_97
; %bb.27:
	s_cmpk_lg_i32 s8, 0x7a
	s_cselect_b64 s[8:9], -1, 0
	s_xor_b64 s[14:15], s[14:15], -1
	s_add_i32 s1, s26, -1
	s_or_b64 s[14:15], s[8:9], s[14:15]
	s_cmp_gt_i32 s18, 3
	s_cselect_b64 s[8:9], -1, 0
	s_and_b64 vcc, exec, s[14:15]
	s_cbranch_vccz .LBB15_76
; %bb.28:
	s_andn2_b64 vcc, exec, s[10:11]
	s_mov_b64 s[10:11], -1
	s_cbranch_vccnz .LBB15_49
; %bb.29:
	s_andn2_b64 vcc, exec, s[8:9]
	s_mov_b32 s15, 0
	s_cbranch_vccnz .LBB15_37
; %bb.30:
	v_lshlrev_b32_e32 v1, 2, v0
	ds_read2_b32 v[6:7], v1 offset0:144 offset1:156
	v_mov_b32_e32 v12, 0
	ds_read_b128 v[2:5], v12
	ds_read2_b32 v[8:9], v12 offset0:13 offset1:14
	s_cmp_lt_i32 s18, 8
	s_mov_b32 s15, 4
	s_waitcnt lgkmcnt(1)
	v_div_scale_f32 v10, s[10:11], v2, v2, v6
	v_rcp_f32_e32 v11, v10
	v_div_scale_f32 v13, vcc, v6, v2, v6
	v_fma_f32 v14, -v10, v11, 1.0
	v_fmac_f32_e32 v11, v14, v11
	v_mul_f32_e32 v14, v13, v11
	v_fma_f32 v15, -v10, v14, v13
	v_fmac_f32_e32 v14, v15, v11
	v_fma_f32 v10, -v10, v14, v13
	v_div_fmas_f32 v10, v10, v11, v14
	v_div_fixup_f32 v2, v10, v2, v6
	v_fma_f32 v3, -v2, v3, v7
	s_waitcnt lgkmcnt(0)
	v_div_scale_f32 v10, s[10:11], v8, v8, v3
	v_rcp_f32_e32 v11, v10
	ds_read2_b32 v[6:7], v1 offset0:168 offset1:180
	v_fma_f32 v13, -v10, v11, 1.0
	v_fmac_f32_e32 v11, v13, v11
	v_div_scale_f32 v13, vcc, v3, v8, v3
	v_mul_f32_e32 v14, v13, v11
	v_fma_f32 v15, -v10, v14, v13
	v_fmac_f32_e32 v14, v15, v11
	v_fma_f32 v10, -v10, v14, v13
	v_div_fmas_f32 v10, v10, v11, v14
	v_div_fixup_f32 v3, v10, v8, v3
	ds_read_b64 v[10:11], v12 offset:104
	s_waitcnt lgkmcnt(1)
	v_fma_f32 v4, -v2, v4, v6
	ds_read_b32 v6, v12 offset:156
	v_fma_f32 v4, -v3, v9, v4
	ds_read_b32 v12, v12 offset:60
	s_waitcnt lgkmcnt(2)
	v_div_scale_f32 v8, s[10:11], v10, v10, v4
	v_rcp_f32_e32 v9, v8
	v_fma_f32 v5, -v2, v5, v7
	s_waitcnt lgkmcnt(0)
	v_fma_f32 v5, -v3, v12, v5
	ds_write2_b32 v1, v2, v3 offset0:144 offset1:156
	v_fma_f32 v13, -v8, v9, 1.0
	v_fmac_f32_e32 v9, v13, v9
	v_div_scale_f32 v13, vcc, v4, v10, v4
	v_mul_f32_e32 v14, v13, v9
	v_fma_f32 v15, -v8, v14, v13
	v_fmac_f32_e32 v14, v15, v9
	v_fma_f32 v8, -v8, v14, v13
	v_div_fmas_f32 v8, v8, v9, v14
	v_div_fixup_f32 v4, v8, v10, v4
	v_fma_f32 v5, -v4, v11, v5
	v_div_scale_f32 v7, s[10:11], v6, v6, v5
	v_rcp_f32_e32 v8, v7
	v_fma_f32 v3, -v7, v8, 1.0
	v_fmac_f32_e32 v8, v3, v8
	v_div_scale_f32 v3, vcc, v5, v6, v5
	v_mul_f32_e32 v9, v3, v8
	v_fma_f32 v10, -v7, v9, v3
	v_fmac_f32_e32 v9, v10, v8
	v_fma_f32 v3, -v7, v9, v3
	v_div_fmas_f32 v3, v3, v8, v9
	v_div_fixup_f32 v3, v3, v6, v5
	ds_write2_b32 v1, v4, v3 offset0:168 offset1:180
	s_cbranch_scc1 .LBB15_37
; %bb.31:
	v_mov_b32_e32 v4, 0x300
	v_or_b32_e32 v1, 0x240, v1
	v_mov_b32_e32 v3, v2
	v_lshl_or_b32 v8, v0, 2, v4
	s_mov_b32 s14, 4
	s_movk_i32 s10, 0xd0
	s_mov_b32 s11, 16
.LBB15_32:                              ; =>This Inner Loop Header: Depth=1
	ds_read2_b32 v[14:15], v8 offset0:24 offset1:36
	v_mov_b32_e32 v9, s11
	ds_read_b128 v[4:7], v9
	ds_read2_b32 v[22:23], v1 offset0:12 offset1:24
	ds_read_b128 v[10:13], v9 offset:48
	ds_read2_b32 v[24:25], v8 offset1:12
	s_cmp_gt_u32 s14, 4
	s_waitcnt lgkmcnt(3)
	v_pk_fma_f32 v[6:7], v[2:3], v[6:7], v[14:15] neg_lo:[1,0,0] neg_hi:[1,0,0]
	ds_read_b128 v[14:17], v9 offset:96
	ds_read_b32 v26, v1 offset:144
	ds_read_b128 v[18:21], v9 offset:144
	s_waitcnt lgkmcnt(3)
	v_pk_fma_f32 v[4:5], v[2:3], v[4:5], v[24:25] neg_lo:[1,0,0] neg_hi:[1,0,0]
	v_pk_fma_f32 v[6:7], v[22:23], v[12:13], v[6:7] op_sel_hi:[0,1,1] neg_lo:[1,0,0] neg_hi:[1,0,0]
	v_mov_b32_e32 v12, v23
	v_pk_fma_f32 v[4:5], v[22:23], v[10:11], v[4:5] op_sel_hi:[0,1,1] neg_lo:[1,0,0] neg_hi:[1,0,0]
	s_waitcnt lgkmcnt(2)
	v_pk_fma_f32 v[16:17], v[12:13], v[16:17], v[6:7] op_sel_hi:[0,1,1] neg_lo:[1,0,0] neg_hi:[1,0,0]
	v_pk_fma_f32 v[4:5], v[12:13], v[14:15], v[4:5] op_sel_hi:[0,1,1] neg_lo:[1,0,0] neg_hi:[1,0,0]
	s_waitcnt lgkmcnt(0)
	v_pk_fma_f32 v[6:7], v[26:27], v[18:19], v[4:5] op_sel_hi:[0,1,1] neg_lo:[1,0,0] neg_hi:[1,0,0]
	v_pk_fma_f32 v[4:5], v[26:27], v[20:21], v[16:17] op_sel_hi:[0,1,1] neg_lo:[1,0,0] neg_hi:[1,0,0]
	s_cbranch_scc0 .LBB15_35
; %bb.33:                               ;   in Loop: Header=BB15_32 Depth=1
	v_mov_b32_e32 v9, s11
	ds_read2_b32 v[18:19], v1 offset0:48 offset1:60
	ds_read_b128 v[10:13], v9 offset:192
	ds_read_b128 v[14:17], v9 offset:240
	s_cmp_lt_u32 s14, 7
	s_waitcnt lgkmcnt(2)
	v_mov_b32_e32 v20, v19
	s_waitcnt lgkmcnt(1)
	v_pk_fma_f32 v[4:5], v[18:19], v[12:13], v[4:5] op_sel_hi:[0,1,1] neg_lo:[1,0,0] neg_hi:[1,0,0]
	v_pk_fma_f32 v[6:7], v[18:19], v[10:11], v[6:7] op_sel_hi:[0,1,1] neg_lo:[1,0,0] neg_hi:[1,0,0]
	s_waitcnt lgkmcnt(0)
	v_pk_fma_f32 v[6:7], v[20:21], v[14:15], v[6:7] op_sel_hi:[0,1,1] neg_lo:[1,0,0] neg_hi:[1,0,0]
	v_pk_fma_f32 v[4:5], v[20:21], v[16:17], v[4:5] op_sel_hi:[0,1,1] neg_lo:[1,0,0] neg_hi:[1,0,0]
	s_cbranch_scc1 .LBB15_35
; %bb.34:                               ;   in Loop: Header=BB15_32 Depth=1
	v_mov_b32_e32 v9, s11
	ds_read2_b32 v[18:19], v1 offset0:72 offset1:84
	ds_read_b128 v[10:13], v9 offset:288
	ds_read_b128 v[14:17], v9 offset:336
	s_waitcnt lgkmcnt(2)
	v_mov_b32_e32 v20, v19
	s_waitcnt lgkmcnt(1)
	v_pk_fma_f32 v[4:5], v[18:19], v[12:13], v[4:5] op_sel_hi:[0,1,1] neg_lo:[1,0,0] neg_hi:[1,0,0]
	v_pk_fma_f32 v[6:7], v[18:19], v[10:11], v[6:7] op_sel_hi:[0,1,1] neg_lo:[1,0,0] neg_hi:[1,0,0]
	s_waitcnt lgkmcnt(0)
	v_pk_fma_f32 v[6:7], v[20:21], v[14:15], v[6:7] op_sel_hi:[0,1,1] neg_lo:[1,0,0] neg_hi:[1,0,0]
	v_pk_fma_f32 v[4:5], v[20:21], v[16:17], v[4:5] op_sel_hi:[0,1,1] neg_lo:[1,0,0] neg_hi:[1,0,0]
.LBB15_35:                              ;   in Loop: Header=BB15_32 Depth=1
	v_mov_b32_e32 v9, s10
	ds_read_b128 v[10:13], v9
	ds_read2_b32 v[14:15], v9 offset0:13 offset1:14
	s_add_i32 s15, s14, 4
	s_addk_i32 s10, 0xd0
	s_add_i32 s11, s11, 16
	s_waitcnt lgkmcnt(1)
	v_div_scale_f32 v16, s[20:21], v10, v10, v6
	v_rcp_f32_e32 v17, v16
	v_div_scale_f32 v18, vcc, v6, v10, v6
	s_add_i32 s14, s14, 7
	v_fma_f32 v19, -v16, v17, 1.0
	v_fmac_f32_e32 v17, v19, v17
	v_mul_f32_e32 v19, v18, v17
	v_fma_f32 v20, -v16, v19, v18
	v_fmac_f32_e32 v19, v20, v17
	v_fma_f32 v16, -v16, v19, v18
	v_div_fmas_f32 v16, v16, v17, v19
	v_div_fixup_f32 v10, v16, v10, v6
	v_fma_f32 v6, -v10, v11, v7
	s_waitcnt lgkmcnt(0)
	v_div_scale_f32 v7, s[20:21], v14, v14, v6
	v_rcp_f32_e32 v11, v7
	v_div_scale_f32 v16, vcc, v6, v14, v6
	v_fma_f32 v4, -v10, v12, v4
	v_fma_f32 v17, -v7, v11, 1.0
	v_fmac_f32_e32 v11, v17, v11
	v_mul_f32_e32 v17, v16, v11
	v_fma_f32 v18, -v7, v17, v16
	v_fmac_f32_e32 v17, v18, v11
	v_fma_f32 v7, -v7, v17, v16
	v_div_fmas_f32 v7, v7, v11, v17
	v_div_fixup_f32 v11, v7, v14, v6
	ds_read_b64 v[6:7], v9 offset:104
	ds_read_b32 v12, v9 offset:156
	v_fma_f32 v4, -v11, v15, v4
	ds_read_b32 v9, v9 offset:60
	v_fma_f32 v5, -v10, v13, v5
	s_waitcnt lgkmcnt(2)
	v_div_scale_f32 v14, s[20:21], v6, v6, v4
	v_rcp_f32_e32 v15, v14
	s_waitcnt lgkmcnt(0)
	v_fma_f32 v5, -v11, v9, v5
	ds_write2_b32 v8, v10, v11 offset1:12
	s_cmp_ge_i32 s14, s26
	v_fma_f32 v16, -v14, v15, 1.0
	v_fmac_f32_e32 v15, v16, v15
	v_div_scale_f32 v16, vcc, v4, v6, v4
	v_mul_f32_e32 v17, v16, v15
	v_fma_f32 v18, -v14, v17, v16
	v_fmac_f32_e32 v17, v18, v15
	v_fma_f32 v14, -v14, v17, v16
	v_div_fmas_f32 v14, v14, v15, v17
	v_div_fixup_f32 v4, v14, v6, v4
	v_fma_f32 v5, -v4, v7, v5
	v_div_scale_f32 v6, s[20:21], v12, v12, v5
	v_rcp_f32_e32 v7, v6
	v_fma_f32 v9, -v6, v7, 1.0
	v_fmac_f32_e32 v7, v9, v7
	v_div_scale_f32 v9, vcc, v5, v12, v5
	v_mul_f32_e32 v10, v9, v7
	v_fma_f32 v11, -v6, v10, v9
	v_fmac_f32_e32 v10, v11, v7
	v_fma_f32 v6, -v6, v10, v9
	v_div_fmas_f32 v6, v6, v7, v10
	v_div_fixup_f32 v5, v6, v12, v5
	ds_write2_b32 v8, v4, v5 offset0:24 offset1:36
	v_add_u32_e32 v8, 0xc0, v8
	s_cbranch_scc1 .LBB15_37
; %bb.36:                               ;   in Loop: Header=BB15_32 Depth=1
	s_mov_b32 s14, s15
	s_branch .LBB15_32
.LBB15_37:
	s_cmp_ge_i32 s15, s26
	s_cbranch_scc1 .LBB15_48
; %bb.38:
	v_mov_b32_e32 v1, 0x240
	s_add_i32 s10, s15, -1
	s_lshl_b32 s11, s15, 2
	v_lshl_or_b32 v1, v0, 2, v1
	s_mov_b32 s14, 0
	s_mov_b32 s19, s15
	s_branch .LBB15_40
.LBB15_39:                              ;   in Loop: Header=BB15_40 Depth=1
	s_mul_i32 s20, s15, 52
	v_mov_b32_e32 v4, s20
	ds_read_b32 v4, v4
	v_add_u32_e32 v3, 0x240, v3
	s_add_i32 s15, s15, 1
	s_add_i32 s14, s14, 1
	;; [unrolled: 1-line block ×3, first 2 shown]
	s_waitcnt lgkmcnt(0)
	v_div_scale_f32 v5, s[20:21], v4, v4, v2
	v_rcp_f32_e32 v6, v5
	v_div_scale_f32 v7, vcc, v2, v4, v2
	s_cmp_ge_i32 s15, s26
	v_fma_f32 v8, -v5, v6, 1.0
	v_fmac_f32_e32 v6, v8, v6
	v_mul_f32_e32 v8, v7, v6
	v_fma_f32 v9, -v5, v8, v7
	v_fmac_f32_e32 v8, v9, v6
	v_fma_f32 v5, -v5, v8, v7
	v_div_fmas_f32 v5, v5, v6, v8
	v_div_fixup_f32 v2, v5, v4, v2
	ds_write_b32 v3, v2
	v_add_u16_e64 v2, s19, 1
	v_readfirstlane_b32 s19, v2
	s_cbranch_scc1 .LBB15_48
.LBB15_40:                              ; =>This Loop Header: Depth=1
                                        ;     Child Loop BB15_43 Depth 2
                                        ;     Child Loop BB15_47 Depth 2
	s_mul_i32 s20, s15, 12
	v_add_lshl_u32 v3, s20, v0, 2
	ds_read_b32 v2, v3 offset:576
	s_cmp_eq_u32 s15, 0
	s_cbranch_scc1 .LBB15_39
; %bb.41:                               ;   in Loop: Header=BB15_40 Depth=1
	s_add_i32 s20, s10, s14
	s_cmp_lt_u32 s20, 7
	s_cbranch_scc1 .LBB15_45
; %bb.42:                               ;   in Loop: Header=BB15_40 Depth=1
	s_and_b32 s20, s15, -8
	s_mov_b32 s21, 0
	v_mov_b32_e32 v4, v1
	s_mov_b32 s23, s11
.LBB15_43:                              ;   Parent Loop BB15_40 Depth=1
                                        ; =>  This Inner Loop Header: Depth=2
	ds_read2_b32 v[6:7], v4 offset1:12
	v_mov_b32_e32 v5, s23
	ds_read2_b32 v[8:9], v4 offset0:24 offset1:36
	ds_read2_b32 v[10:11], v4 offset0:48 offset1:60
	;; [unrolled: 1-line block ×3, first 2 shown]
	ds_read2_b32 v[14:15], v5 offset1:12
	ds_read2_b32 v[16:17], v5 offset0:24 offset1:36
	ds_read2_b32 v[18:19], v5 offset0:48 offset1:60
	;; [unrolled: 1-line block ×3, first 2 shown]
	s_add_i32 s21, s21, 8
	s_waitcnt lgkmcnt(3)
	v_fma_f32 v2, -v6, v14, v2
	v_fma_f32 v2, -v7, v15, v2
	s_waitcnt lgkmcnt(2)
	v_fma_f32 v2, -v8, v16, v2
	v_fma_f32 v2, -v9, v17, v2
	;; [unrolled: 3-line block ×3, first 2 shown]
	s_addk_i32 s23, 0x180
	s_waitcnt lgkmcnt(0)
	v_fma_f32 v2, -v12, v20, v2
	v_add_u32_e32 v4, 0x180, v4
	s_cmp_eq_u32 s20, s21
	v_fma_f32 v2, -v13, v21, v2
	s_cbranch_scc0 .LBB15_43
; %bb.44:                               ;   in Loop: Header=BB15_40 Depth=1
	s_and_b32 s21, s15, 7
	s_cmp_eq_u32 s21, 0
	s_cbranch_scc0 .LBB15_46
	s_branch .LBB15_39
.LBB15_45:                              ;   in Loop: Header=BB15_40 Depth=1
	s_mov_b32 s20, 0
	s_and_b32 s21, s15, 7
	s_cmp_eq_u32 s21, 0
	s_cbranch_scc1 .LBB15_39
.LBB15_46:                              ;   in Loop: Header=BB15_40 Depth=1
	s_and_b32 s21, s19, 7
	s_mul_i32 s20, s20, 48
.LBB15_47:                              ;   Parent Loop BB15_40 Depth=1
                                        ; =>  This Inner Loop Header: Depth=2
	s_add_i32 s23, s11, s20
	v_add_u32_e32 v4, s20, v1
	v_mov_b32_e32 v5, s23
	ds_read_b32 v4, v4
	ds_read_b32 v5, v5
	s_add_i32 s20, s20, 48
	s_add_i32 s21, s21, -1
	s_cmp_lg_u32 s21, 0
	s_waitcnt lgkmcnt(0)
	v_fma_f32 v2, -v4, v5, v2
	s_cbranch_scc1 .LBB15_47
	s_branch .LBB15_39
.LBB15_48:
	s_mov_b64 s[10:11], 0
.LBB15_49:
	s_and_b64 vcc, exec, s[10:11]
	s_cbranch_vccz .LBB15_75
; %bb.50:
	s_andn2_b64 vcc, exec, s[8:9]
	s_mov_b32 s21, s1
	s_cbranch_vccnz .LBB15_62
; %bb.51:
	s_mul_i32 s10, s26, 52
	v_lshlrev_b32_e32 v2, 2, v0
	s_sub_i32 s14, s10, 64
	v_mad_u64_u32 v[4:5], s[10:11], s26, 48, v[2:3]
	s_lshl_b32 s10, s26, 2
	v_add_u32_e32 v1, 0x210, v4
	v_add_u32_e32 v6, 0xf0, v2
	s_add_i32 s15, s10, 0xfffffea0
	s_mov_b32 s19, 0
	s_mov_b64 s[10:11], 0
	s_mov_b32 s20, s1
.LBB15_52:                              ; =>This Loop Header: Depth=1
                                        ;     Child Loop BB15_55 Depth 2
                                        ;     Child Loop BB15_59 Depth 2
	s_mul_i32 s24, s20, 12
	s_sub_i32 s21, s24, 24
	v_add_lshl_u32 v7, s24, v0, 2
	s_add_i32 s23, s24, -12
	v_add_lshl_u32 v9, s21, v0, 2
	v_add_lshl_u32 v8, s23, v0, 2
	ds_read_b32 v5, v7 offset:576
	ds_read_b32 v4, v8 offset:576
	ds_read2_b32 v[2:3], v9 offset0:132 offset1:144
	s_cmp_le_i32 s1, s20
	s_cbranch_scc1 .LBB15_60
; %bb.53:                               ;   in Loop: Header=BB15_52 Depth=1
	s_lshl_b32 s27, s19, 2
	s_bitcmp0_b32 s27, 2
	s_cbranch_scc1 .LBB15_57
; %bb.54:                               ;   in Loop: Header=BB15_52 Depth=1
	v_cndmask_b32_e64 v10, 0, 1, s[10:11]
	v_readfirstlane_b32 s25, v10
	s_lshl_b32 s28, s25, 2
	v_mov_b32_e32 v10, v1
	s_mov_b32 s29, s14
	s_mov_b32 s25, s1
.LBB15_55:                              ;   Parent Loop BB15_52 Depth=1
                                        ; =>  This Inner Loop Header: Depth=2
	v_mov_b32_e32 v11, s29
	ds_read_b32 v12, v10
	ds_read2_b32 v[14:15], v11 offset0:2 offset1:3
	ds_read2_b32 v[16:17], v11 offset1:1
	s_add_i32 s25, s25, -1
	s_sub_i32 s29, s29, 48
	s_add_i32 s28, s28, -1
	v_subrev_u32_e32 v10, 48, v10
	s_cmp_lg_u32 s28, 0
	s_waitcnt lgkmcnt(1)
	v_pk_fma_f32 v[4:5], v[12:13], v[14:15], v[4:5] op_sel_hi:[0,1,1] neg_lo:[1,0,0] neg_hi:[1,0,0]
	s_waitcnt lgkmcnt(0)
	v_pk_fma_f32 v[2:3], v[12:13], v[16:17], v[2:3] op_sel_hi:[0,1,1] neg_lo:[1,0,0] neg_hi:[1,0,0]
	s_cbranch_scc1 .LBB15_55
; %bb.56:                               ;   in Loop: Header=BB15_52 Depth=1
	s_add_i32 s27, s27, -1
	s_cmp_lt_u32 s27, 7
	s_cbranch_scc0 .LBB15_58
	s_branch .LBB15_60
.LBB15_57:                              ;   in Loop: Header=BB15_52 Depth=1
	s_mov_b32 s25, s1
	s_add_i32 s27, s27, -1
	s_cmp_lt_u32 s27, 7
	s_cbranch_scc1 .LBB15_60
.LBB15_58:                              ;   in Loop: Header=BB15_52 Depth=1
	s_mul_i32 s27, s25, 48
	v_add_u32_e32 v10, s27, v6
	s_add_i32 s27, s15, s27
.LBB15_59:                              ;   Parent Loop BB15_52 Depth=1
                                        ; =>  This Inner Loop Header: Depth=2
	ds_read2_b32 v[12:13], v10 offset0:72 offset1:84
	ds_read2_b32 v[14:15], v10 offset0:48 offset1:60
	;; [unrolled: 1-line block ×3, first 2 shown]
	ds_read2_b32 v[18:19], v10 offset1:12
	v_mov_b32_e32 v11, s27
	ds_read2_b32 v[20:21], v11 offset0:86 offset1:87
	ds_read2_b32 v[22:23], v11 offset0:84 offset1:85
	;; [unrolled: 1-line block ×15, first 2 shown]
	ds_read2_b32 v[50:51], v11 offset1:1
	s_waitcnt lgkmcnt(14)
	v_mov_b32_e32 v54, v15
	v_mov_b32_e32 v52, v13
	v_pk_fma_f32 v[4:5], v[52:53], v[20:21], v[4:5] op_sel_hi:[0,1,1] neg_lo:[1,0,0] neg_hi:[1,0,0]
	v_pk_fma_f32 v[2:3], v[52:53], v[22:23], v[2:3] op_sel_hi:[0,1,1] neg_lo:[1,0,0] neg_hi:[1,0,0]
	s_waitcnt lgkmcnt(13)
	v_pk_fma_f32 v[4:5], v[12:13], v[24:25], v[4:5] op_sel_hi:[0,1,1] neg_lo:[1,0,0] neg_hi:[1,0,0]
	s_waitcnt lgkmcnt(12)
	;; [unrolled: 2-line block ×4, first 2 shown]
	v_pk_fma_f32 v[2:3], v[54:55], v[30:31], v[2:3] op_sel_hi:[0,1,1] neg_lo:[1,0,0] neg_hi:[1,0,0]
	v_mov_b32_e32 v56, v17
	s_waitcnt lgkmcnt(9)
	v_pk_fma_f32 v[4:5], v[14:15], v[32:33], v[4:5] op_sel_hi:[0,1,1] neg_lo:[1,0,0] neg_hi:[1,0,0]
	s_waitcnt lgkmcnt(8)
	v_pk_fma_f32 v[2:3], v[14:15], v[34:35], v[2:3] op_sel_hi:[0,1,1] neg_lo:[1,0,0] neg_hi:[1,0,0]
	;; [unrolled: 2-line block ×4, first 2 shown]
	v_mov_b32_e32 v58, v19
	s_waitcnt lgkmcnt(5)
	v_pk_fma_f32 v[4:5], v[16:17], v[40:41], v[4:5] op_sel_hi:[0,1,1] neg_lo:[1,0,0] neg_hi:[1,0,0]
	s_waitcnt lgkmcnt(4)
	v_pk_fma_f32 v[2:3], v[16:17], v[42:43], v[2:3] op_sel_hi:[0,1,1] neg_lo:[1,0,0] neg_hi:[1,0,0]
	s_add_i32 s25, s25, -8
	s_addk_i32 s27, 0xfe80
	s_waitcnt lgkmcnt(3)
	v_pk_fma_f32 v[4:5], v[58:59], v[44:45], v[4:5] op_sel_hi:[0,1,1] neg_lo:[1,0,0] neg_hi:[1,0,0]
	s_waitcnt lgkmcnt(2)
	v_pk_fma_f32 v[2:3], v[58:59], v[46:47], v[2:3] op_sel_hi:[0,1,1] neg_lo:[1,0,0] neg_hi:[1,0,0]
	v_add_u32_e32 v10, 0xfffffe80, v10
	s_cmp_le_i32 s25, s20
	s_waitcnt lgkmcnt(1)
	v_pk_fma_f32 v[4:5], v[18:19], v[48:49], v[4:5] op_sel_hi:[0,1,1] neg_lo:[1,0,0] neg_hi:[1,0,0]
	s_waitcnt lgkmcnt(0)
	v_pk_fma_f32 v[2:3], v[18:19], v[50:51], v[2:3] op_sel_hi:[0,1,1] neg_lo:[1,0,0] neg_hi:[1,0,0]
	s_cbranch_scc0 .LBB15_59
.LBB15_60:                              ;   in Loop: Header=BB15_52 Depth=1
	s_add_i32 s25, s20, s24
	s_add_i32 s27, s20, -3
	s_lshl_b32 s25, s25, 2
	s_mul_i32 s28, s20, 52
	s_add_i32 s25, s25, -4
	s_add_i32 s24, s24, s27
	s_add_i32 s23, s23, s27
	v_add_u32_e32 v10, 0x240, v7
	v_add_u32_e32 v11, 0x240, v9
	;; [unrolled: 1-line block ×3, first 2 shown]
	v_mov_b32_e32 v9, s25
	s_sub_i32 s25, s28, 52
	s_lshl_b32 s24, s24, 2
	s_lshl_b32 s23, s23, 2
	v_mov_b32_e32 v14, s25
	v_mov_b32_e32 v15, s24
	;; [unrolled: 1-line block ×3, first 2 shown]
	ds_read2_b32 v[12:13], v9 offset1:1
	ds_read_b32 v9, v14
	ds_read2_b32 v[14:15], v15 offset1:1
	ds_read2_b32 v[16:17], v16 offset1:1
	s_add_i32 s21, s21, s27
	s_waitcnt lgkmcnt(3)
	v_div_scale_f32 v18, s[24:25], v13, v13, v5
	v_rcp_f32_e32 v19, v18
	s_lshl_b32 s21, s21, 2
	v_add_u32_e32 v8, 0x240, v8
	s_add_i32 s19, s19, 1
	v_fma_f32 v20, -v18, v19, 1.0
	v_fmac_f32_e32 v19, v20, v19
	v_div_scale_f32 v20, vcc, v5, v13, v5
	v_mul_f32_e32 v21, v20, v19
	v_fma_f32 v22, -v18, v21, v20
	v_fmac_f32_e32 v21, v22, v19
	v_fma_f32 v18, -v18, v21, v20
	v_div_fmas_f32 v18, v18, v19, v21
	v_div_fixup_f32 v13, v18, v13, v5
	v_fma_f32 v4, -v13, v12, v4
	s_waitcnt lgkmcnt(2)
	v_div_scale_f32 v5, s[24:25], v9, v9, v4
	v_rcp_f32_e32 v12, v5
	s_waitcnt lgkmcnt(1)
	v_fma_f32 v3, -v13, v15, v3
	v_fma_f32 v2, -v13, v14, v2
	s_add_i32 s14, s14, -16
	v_fma_f32 v18, -v5, v12, 1.0
	v_fmac_f32_e32 v12, v18, v12
	v_div_scale_f32 v18, vcc, v4, v9, v4
	v_mul_f32_e32 v19, v18, v12
	v_fma_f32 v20, -v5, v19, v18
	v_fmac_f32_e32 v19, v20, v12
	v_fma_f32 v5, -v5, v19, v18
	v_div_fmas_f32 v5, v5, v12, v19
	v_div_fixup_f32 v9, v5, v9, v4
	v_mov_b32_e32 v4, s21
	ds_read2_b32 v[4:5], v4 offset1:1
	s_add_i32 s21, s28, 0xffffff64
	s_waitcnt lgkmcnt(1)
	v_fma_f32 v3, -v9, v17, v3
	v_mov_b32_e32 v12, s21
	ds_read_b32 v12, v12
	s_waitcnt lgkmcnt(1)
	v_div_scale_f32 v15, s[24:25], v5, v5, v3
	v_rcp_f32_e32 v17, v15
	v_fma_f32 v2, -v9, v16, v2
	s_add_i32 s21, s20, -4
	s_not_b64 s[10:11], s[10:11]
	v_fma_f32 v18, -v15, v17, 1.0
	v_fmac_f32_e32 v17, v18, v17
	v_div_scale_f32 v18, vcc, v3, v5, v3
	v_mul_f32_e32 v19, v18, v17
	v_fma_f32 v20, -v15, v19, v18
	v_fmac_f32_e32 v19, v20, v17
	v_fma_f32 v15, -v15, v19, v18
	v_div_fmas_f32 v15, v15, v17, v19
	v_div_fixup_f32 v3, v15, v5, v3
	v_fma_f32 v2, -v3, v4, v2
	s_waitcnt lgkmcnt(0)
	v_div_scale_f32 v4, s[24:25], v12, v12, v2
	v_rcp_f32_e32 v5, v4
	ds_write_b32 v10, v13
	ds_write_b32 v8, v9
	;; [unrolled: 1-line block ×3, first 2 shown]
	s_add_i32 s15, s15, -16
	s_cmp_lt_i32 s20, 7
	v_fma_f32 v3, -v4, v5, 1.0
	v_fmac_f32_e32 v5, v3, v5
	v_div_scale_f32 v3, vcc, v2, v12, v2
	v_mul_f32_e32 v8, v3, v5
	v_fma_f32 v9, -v4, v8, v3
	v_fmac_f32_e32 v8, v9, v5
	v_fma_f32 v3, -v4, v8, v3
	v_div_fmas_f32 v3, v3, v5, v8
	v_div_fixup_f32 v2, v3, v12, v2
	ds_write_b32 v7, v2
	s_cbranch_scc1 .LBB15_62
; %bb.61:                               ;   in Loop: Header=BB15_52 Depth=1
	s_mov_b32 s20, s21
	s_branch .LBB15_52
.LBB15_62:
	s_cmp_lt_i32 s21, 0
	s_cbranch_scc1 .LBB15_75
; %bb.63:
	s_bitcmp1_b32 s21, 0
	s_cselect_b64 s[10:11], -1, 0
	s_and_b64 vcc, exec, s[10:11]
	s_mov_b32 s10, s21
	s_cbranch_vccnz .LBB15_68
; %bb.64:
	s_mul_i32 s10, s21, 12
	v_add_lshl_u32 v2, s10, v0, 2
	ds_read_b32 v1, v2 offset:576
	s_cmp_le_i32 s1, s21
	s_cbranch_scc1 .LBB15_67
; %bb.65:
	s_mul_i32 s11, s26, 48
	s_lshl_b32 s10, s21, 2
	s_add_i32 s10, s11, s10
	v_lshl_add_u32 v3, v0, 2, s11
	s_sub_i32 s10, s10, 48
	v_add_u32_e32 v3, 0x210, v3
	s_mov_b32 s11, s1
.LBB15_66:                              ; =>This Inner Loop Header: Depth=1
	v_mov_b32_e32 v5, s10
	ds_read_b32 v4, v3
	ds_read_b32 v5, v5
	s_add_i32 s11, s11, -1
	s_sub_i32 s10, s10, 48
	v_subrev_u32_e32 v3, 48, v3
	s_cmp_gt_i32 s11, s21
	s_waitcnt lgkmcnt(0)
	v_fma_f32 v1, -v4, v5, v1
	s_cbranch_scc1 .LBB15_66
.LBB15_67:
	s_mul_i32 s10, s21, 52
	v_mov_b32_e32 v3, s10
	ds_read_b32 v3, v3
	v_add_u32_e32 v2, 0x240, v2
	s_waitcnt lgkmcnt(0)
	v_div_scale_f32 v4, s[10:11], v3, v3, v1
	v_rcp_f32_e32 v5, v4
	v_div_scale_f32 v6, vcc, v1, v3, v1
	s_add_i32 s10, s21, -1
	v_fma_f32 v7, -v4, v5, 1.0
	v_fmac_f32_e32 v5, v7, v5
	v_mul_f32_e32 v7, v6, v5
	v_fma_f32 v8, -v4, v7, v6
	v_fmac_f32_e32 v7, v8, v5
	v_fma_f32 v4, -v4, v7, v6
	v_div_fmas_f32 v4, v4, v5, v7
	v_div_fixup_f32 v1, v4, v3, v1
	ds_write_b32 v2, v1
.LBB15_68:
	s_cmp_eq_u32 s21, 0
	s_cbranch_scc1 .LBB15_75
; %bb.69:
	s_mul_i32 s14, s26, 48
	s_lshl_b32 s11, s10, 2
	s_add_i32 s15, s14, s11
	v_lshl_add_u32 v1, v0, 2, s14
	s_sub_i32 s11, s15, 48
	v_add_u32_e32 v1, 0x210, v1
	s_sub_i32 s14, s15, 52
	s_branch .LBB15_71
.LBB15_70:                              ;   in Loop: Header=BB15_71 Depth=1
	s_sub_i32 s15, s15, 52
	v_mov_b32_e32 v4, s15
	ds_read_b32 v4, v4
	s_add_i32 s15, s10, -2
	s_add_i32 s11, s11, -8
	;; [unrolled: 1-line block ×3, first 2 shown]
	s_cmp_lt_i32 s10, 2
	s_waitcnt lgkmcnt(0)
	v_div_scale_f32 v5, s[20:21], v4, v4, v3
	v_rcp_f32_e32 v6, v5
	v_div_scale_f32 v7, vcc, v3, v4, v3
	s_mov_b32 s10, s15
	v_fma_f32 v8, -v5, v6, 1.0
	v_fmac_f32_e32 v6, v8, v6
	v_mul_f32_e32 v8, v7, v6
	v_fma_f32 v9, -v5, v8, v7
	v_fmac_f32_e32 v8, v9, v6
	v_fma_f32 v5, -v5, v8, v7
	v_div_fmas_f32 v5, v5, v6, v8
	v_div_fixup_f32 v3, v5, v4, v3
	ds_write_b32 v2, v3
	s_cbranch_scc1 .LBB15_75
.LBB15_71:                              ; =>This Loop Header: Depth=1
                                        ;     Child Loop BB15_72 Depth 2
                                        ;     Child Loop BB15_74 Depth 2
	s_mul_i32 s15, s10, 12
	v_add_lshl_u32 v2, s15, v0, 2
	ds_read_b32 v4, v2 offset:576
	s_cmp_le_i32 s1, s10
	v_mov_b32_e32 v3, v1
	s_mov_b32 s15, s11
	s_mov_b32 s19, s1
	s_cbranch_scc1 .LBB15_73
.LBB15_72:                              ;   Parent Loop BB15_71 Depth=1
                                        ; =>  This Inner Loop Header: Depth=2
	v_mov_b32_e32 v6, s15
	ds_read_b32 v5, v3
	ds_read_b32 v6, v6
	s_add_i32 s19, s19, -1
	s_sub_i32 s15, s15, 48
	v_subrev_u32_e32 v3, 48, v3
	s_cmp_le_i32 s19, s10
	s_waitcnt lgkmcnt(0)
	v_fma_f32 v4, -v5, v6, v4
	s_cbranch_scc0 .LBB15_72
.LBB15_73:                              ;   in Loop: Header=BB15_71 Depth=1
	s_mul_i32 s15, s10, 52
	v_add_u32_e32 v5, 0x240, v2
	v_mov_b32_e32 v2, s15
	ds_read_b32 v6, v2
	v_subrev_u32_e32 v2, 48, v5
	ds_read_b32 v3, v2
	s_cmp_le_i32 s26, s10
	s_mov_b32 s19, s14
	s_waitcnt lgkmcnt(1)
	v_div_scale_f32 v7, s[20:21], v6, v6, v4
	v_rcp_f32_e32 v8, v7
	v_div_scale_f32 v9, vcc, v4, v6, v4
	s_mov_b32 s20, s26
	v_fma_f32 v10, -v7, v8, 1.0
	v_fmac_f32_e32 v8, v10, v8
	v_mul_f32_e32 v10, v9, v8
	v_fma_f32 v11, -v7, v10, v9
	v_fmac_f32_e32 v10, v11, v8
	v_fma_f32 v7, -v7, v10, v9
	v_div_fmas_f32 v7, v7, v8, v10
	v_div_fixup_f32 v4, v7, v6, v4
	ds_write_b32 v5, v4
	v_mov_b32_e32 v4, v1
	s_cbranch_scc1 .LBB15_70
.LBB15_74:                              ;   Parent Loop BB15_71 Depth=1
                                        ; =>  This Inner Loop Header: Depth=2
	v_mov_b32_e32 v6, s19
	ds_read_b32 v5, v4
	ds_read_b32 v6, v6
	s_add_i32 s20, s20, -1
	s_sub_i32 s19, s19, 48
	v_subrev_u32_e32 v4, 48, v4
	s_cmp_gt_i32 s20, s10
	s_waitcnt lgkmcnt(0)
	v_fma_f32 v3, -v5, v6, v3
	s_cbranch_scc1 .LBB15_74
	s_branch .LBB15_70
.LBB15_75:
	s_mov_b64 s[20:21], 0
.LBB15_76:
	s_andn2_b64 vcc, exec, s[20:21]
	s_cbranch_vccnz .LBB15_96
; %bb.77:
	s_andn2_b64 vcc, exec, s[8:9]
	s_mov_b32 s10, s1
	s_cbranch_vccnz .LBB15_83
; %bb.78:
	s_mul_i32 s9, s26, 48
	s_mul_i32 s8, s26, 52
	v_lshl_add_u32 v1, v0, 2, s9
	s_addk_i32 s8, 0xff30
	v_add_u32_e32 v1, 0x180, v1
	s_mov_b32 s9, s1
.LBB15_79:                              ; =>This Loop Header: Depth=1
                                        ;     Child Loop BB15_80 Depth 2
	s_mul_i32 s10, s9, 12
	s_add_i32 s11, s10, -12
	v_add_lshl_u32 v6, s10, v0, 2
	v_add_lshl_u32 v8, s11, v0, 2
	s_sub_i32 s11, s10, 24
	s_sub_i32 s10, s10, 36
	v_add_lshl_u32 v9, s11, v0, 2
	v_add_lshl_u32 v10, s10, v0, 2
	ds_read_b32 v5, v6 offset:576
	ds_read_b32 v4, v8 offset:576
	;; [unrolled: 1-line block ×4, first 2 shown]
	s_cmp_le_i32 s1, s9
	v_mov_b32_e32 v7, v1
	s_mov_b32 s14, s8
	s_mov_b32 s15, s1
	s_cbranch_scc1 .LBB15_81
.LBB15_80:                              ;   Parent Loop BB15_79 Depth=1
                                        ; =>  This Inner Loop Header: Depth=2
	ds_read2_b32 v[12:13], v7 offset0:24 offset1:36
	v_mov_b32_e32 v11, s14
	ds_read2_b32 v[14:15], v7 offset1:12
	ds_read2_b32 v[16:17], v11 offset0:38 offset1:39
	ds_read2_b32 v[18:19], v11 offset0:36 offset1:37
	;; [unrolled: 1-line block ×7, first 2 shown]
	ds_read2_b32 v[30:31], v11 offset1:1
	s_add_i32 s15, s15, -4
	s_waitcnt lgkmcnt(7)
	v_fma_f32 v5, -v13, v17, v5
	s_waitcnt lgkmcnt(5)
	v_fma_f32 v4, -v13, v21, v4
	;; [unrolled: 2-line block ×4, first 2 shown]
	v_fma_f32 v5, -v12, v16, v5
	v_fma_f32 v4, -v12, v20, v4
	;; [unrolled: 1-line block ×4, first 2 shown]
	s_add_i32 s14, s14, -16
	v_fma_f32 v5, -v15, v19, v5
	v_fma_f32 v4, -v15, v23, v4
	;; [unrolled: 1-line block ×3, first 2 shown]
	s_waitcnt lgkmcnt(0)
	v_fma_f32 v2, -v15, v31, v2
	v_add_u32_e32 v7, 0xffffff40, v7
	s_cmp_le_i32 s15, s9
	v_fma_f32 v5, -v14, v18, v5
	v_fma_f32 v4, -v14, v22, v4
	;; [unrolled: 1-line block ×4, first 2 shown]
	s_cbranch_scc0 .LBB15_80
.LBB15_81:                              ;   in Loop: Header=BB15_79 Depth=1
	s_add_i32 s11, s11, s9
	s_mul_i32 s19, s9, 52
	s_lshl_b32 s11, s11, 2
	s_sub_i32 s14, s19, 52
	v_mov_b32_e32 v12, s11
	s_add_i32 s11, s19, 0xffffff98
	v_add_u32_e32 v7, 0x240, v6
	v_add_u32_e32 v6, 0x240, v10
	v_mov_b32_e32 v10, s19
	v_mov_b32_e32 v11, s14
	;; [unrolled: 1-line block ×3, first 2 shown]
	ds_read_b32 v14, v10
	ds_read2_b32 v[10:11], v11 offset1:1
	ds_read_b32 v15, v12
	ds_read2_b32 v[12:13], v13 offset1:1
	s_add_i32 s10, s9, s10
	s_waitcnt lgkmcnt(3)
	v_div_scale_f32 v16, s[14:15], v14, v14, v5
	v_rcp_f32_e32 v17, v16
	s_lshl_b32 s10, s10, 2
	s_add_i32 s10, s10, -4
	v_add_u32_e32 v8, 0x240, v8
	v_fma_f32 v18, -v16, v17, 1.0
	v_fmac_f32_e32 v17, v18, v17
	v_div_scale_f32 v18, vcc, v5, v14, v5
	v_mul_f32_e32 v19, v18, v17
	v_fma_f32 v20, -v16, v19, v18
	v_fmac_f32_e32 v19, v20, v17
	v_fma_f32 v16, -v16, v19, v18
	v_div_fmas_f32 v16, v16, v17, v19
	v_div_fixup_f32 v14, v16, v14, v5
	s_waitcnt lgkmcnt(2)
	v_fma_f32 v4, -v14, v11, v4
	v_div_scale_f32 v5, s[14:15], v10, v10, v4
	v_rcp_f32_e32 v11, v5
	s_waitcnt lgkmcnt(1)
	v_fma_f32 v3, -v14, v15, v3
	v_add_u32_e32 v9, 0x240, v9
	s_addk_i32 s8, 0xff40
	v_fma_f32 v16, -v5, v11, 1.0
	v_fmac_f32_e32 v11, v16, v11
	v_div_scale_f32 v16, vcc, v4, v10, v4
	v_mul_f32_e32 v17, v16, v11
	v_fma_f32 v18, -v5, v17, v16
	v_fmac_f32_e32 v17, v18, v11
	v_fma_f32 v5, -v5, v17, v16
	v_div_fmas_f32 v5, v5, v11, v17
	v_div_fixup_f32 v16, v5, v10, v4
	s_waitcnt lgkmcnt(0)
	v_fma_f32 v3, -v16, v13, v3
	v_div_scale_f32 v4, s[14:15], v12, v12, v3
	v_rcp_f32_e32 v13, v4
	v_fma_f32 v5, -v4, v13, 1.0
	v_fmac_f32_e32 v13, v5, v13
	v_div_scale_f32 v5, vcc, v3, v12, v3
	v_mul_f32_e32 v15, v5, v13
	v_fma_f32 v10, -v4, v15, v5
	v_fmac_f32_e32 v15, v10, v13
	v_fma_f32 v17, -v4, v15, v5
	v_mov_b32_e32 v4, s10
	s_add_i32 s10, s19, 0xffffff64
	v_mov_b32_e32 v10, s10
	ds_read2_b32 v[4:5], v4 offset1:1
	ds_read2_b32 v[10:11], v10 offset1:1
	v_div_fmas_f32 v13, v17, v13, v15
	v_div_fixup_f32 v3, v13, v12, v3
	ds_write_b32 v7, v14
	ds_write_b32 v8, v16
	;; [unrolled: 1-line block ×3, first 2 shown]
	s_waitcnt lgkmcnt(4)
	v_fma_f32 v2, -v14, v5, v2
	v_fma_f32 v2, -v16, v4, v2
	s_waitcnt lgkmcnt(3)
	v_fma_f32 v2, -v3, v11, v2
	v_div_scale_f32 v4, s[10:11], v10, v10, v2
	v_rcp_f32_e32 v5, v4
	s_add_i32 s10, s9, -4
	s_cmp_lt_i32 s9, 7
	v_fma_f32 v3, -v4, v5, 1.0
	v_fmac_f32_e32 v5, v3, v5
	v_div_scale_f32 v3, vcc, v2, v10, v2
	v_mul_f32_e32 v7, v3, v5
	v_fma_f32 v8, -v4, v7, v3
	v_fmac_f32_e32 v7, v8, v5
	v_fma_f32 v3, -v4, v7, v3
	v_div_fmas_f32 v3, v3, v5, v7
	v_div_fixup_f32 v2, v3, v10, v2
	ds_write_b32 v6, v2
	s_cbranch_scc1 .LBB15_83
; %bb.82:                               ;   in Loop: Header=BB15_79 Depth=1
	s_mov_b32 s9, s10
	s_branch .LBB15_79
.LBB15_83:
	s_cmp_lt_i32 s10, 0
	s_cbranch_scc1 .LBB15_96
; %bb.84:
	s_bitcmp1_b32 s10, 0
	s_cselect_b64 s[8:9], -1, 0
	s_and_b64 vcc, exec, s[8:9]
	s_mov_b32 s8, s10
	s_cbranch_vccnz .LBB15_89
; %bb.85:
	s_mul_i32 s8, s10, 12
	v_add_lshl_u32 v2, s8, v0, 2
	ds_read_b32 v1, v2 offset:576
	s_cmp_le_i32 s1, s10
	s_cbranch_scc1 .LBB15_88
; %bb.86:
	s_mul_i32 s8, s10, 48
	s_lshl_b32 s9, s26, 2
	s_add_i32 s8, s8, s9
	s_mul_i32 s9, s26, 48
	v_lshl_add_u32 v3, v0, 2, s9
	s_add_i32 s8, s8, -4
	v_add_u32_e32 v3, 0x210, v3
	s_mov_b32 s9, s1
.LBB15_87:                              ; =>This Inner Loop Header: Depth=1
	v_mov_b32_e32 v5, s8
	ds_read_b32 v4, v3
	ds_read_b32 v5, v5
	s_add_i32 s9, s9, -1
	s_add_i32 s8, s8, -4
	v_subrev_u32_e32 v3, 48, v3
	s_cmp_gt_i32 s9, s10
	s_waitcnt lgkmcnt(0)
	v_fma_f32 v1, -v4, v5, v1
	s_cbranch_scc1 .LBB15_87
.LBB15_88:
	s_mul_i32 s8, s10, 52
	v_mov_b32_e32 v3, s8
	ds_read_b32 v3, v3
	v_add_u32_e32 v2, 0x240, v2
	s_waitcnt lgkmcnt(0)
	v_div_scale_f32 v4, s[8:9], v3, v3, v1
	v_rcp_f32_e32 v5, v4
	v_div_scale_f32 v6, vcc, v1, v3, v1
	s_add_i32 s8, s10, -1
	v_fma_f32 v7, -v4, v5, 1.0
	v_fmac_f32_e32 v5, v7, v5
	v_mul_f32_e32 v7, v6, v5
	v_fma_f32 v8, -v4, v7, v6
	v_fmac_f32_e32 v7, v8, v5
	v_fma_f32 v4, -v4, v7, v6
	v_div_fmas_f32 v4, v4, v5, v7
	v_div_fixup_f32 v1, v4, v3, v1
	ds_write_b32 v2, v1
.LBB15_89:
	s_cmp_eq_u32 s10, 0
	s_cbranch_scc1 .LBB15_96
; %bb.90:
	s_mul_i32 s9, s8, 48
	s_lshl_b32 s10, s26, 2
	s_mul_i32 s11, s26, 48
	s_add_i32 s10, s9, s10
	v_lshl_add_u32 v1, v0, 2, s11
	s_add_i32 s9, s10, -4
	v_add_u32_e32 v1, 0x210, v1
	s_sub_i32 s10, s10, 52
	s_branch .LBB15_92
.LBB15_91:                              ;   in Loop: Header=BB15_92 Depth=1
	s_sub_i32 s11, s11, 52
	v_add_u32_e32 v3, 0x240, v4
	v_mov_b32_e32 v4, s11
	ds_read_b32 v4, v4
	s_add_i32 s11, s8, -2
	s_addk_i32 s9, 0xffa0
	s_addk_i32 s10, 0xffa0
	s_cmp_lt_i32 s8, 2
	s_waitcnt lgkmcnt(0)
	v_div_scale_f32 v5, s[14:15], v4, v4, v2
	v_rcp_f32_e32 v6, v5
	v_div_scale_f32 v7, vcc, v2, v4, v2
	s_mov_b32 s8, s11
	v_fma_f32 v8, -v5, v6, 1.0
	v_fmac_f32_e32 v6, v8, v6
	v_mul_f32_e32 v8, v7, v6
	v_fma_f32 v9, -v5, v8, v7
	v_fmac_f32_e32 v8, v9, v6
	v_fma_f32 v5, -v5, v8, v7
	v_div_fmas_f32 v5, v5, v6, v8
	v_div_fixup_f32 v2, v5, v4, v2
	ds_write_b32 v3, v2
	s_cbranch_scc1 .LBB15_96
.LBB15_92:                              ; =>This Loop Header: Depth=1
                                        ;     Child Loop BB15_93 Depth 2
                                        ;     Child Loop BB15_95 Depth 2
	s_mul_i32 s14, s8, 12
	v_add_lshl_u32 v2, s14, v0, 2
	ds_read_b32 v3, v2 offset:576
	s_cmp_le_i32 s1, s8
	v_mov_b32_e32 v4, v1
	s_mov_b32 s11, s9
	s_mov_b32 s15, s1
	s_cbranch_scc1 .LBB15_94
.LBB15_93:                              ;   Parent Loop BB15_92 Depth=1
                                        ; =>  This Inner Loop Header: Depth=2
	v_mov_b32_e32 v6, s11
	ds_read_b32 v5, v4
	ds_read_b32 v6, v6
	s_add_i32 s15, s15, -1
	s_add_i32 s11, s11, -4
	v_subrev_u32_e32 v4, 48, v4
	s_cmp_le_i32 s15, s8
	s_waitcnt lgkmcnt(0)
	v_fma_f32 v3, -v5, v6, v3
	s_cbranch_scc0 .LBB15_93
.LBB15_94:                              ;   in Loop: Header=BB15_92 Depth=1
	s_mul_i32 s11, s8, 52
	v_add_u32_e32 v5, 0x240, v2
	v_mov_b32_e32 v2, s11
	ds_read_b32 v6, v2
	s_add_i32 s14, s14, -12
	v_add_lshl_u32 v4, s14, v0, 2
	ds_read_b32 v2, v4 offset:576
	s_cmp_le_i32 s26, s8
	s_waitcnt lgkmcnt(1)
	v_div_scale_f32 v7, s[14:15], v6, v6, v3
	v_rcp_f32_e32 v8, v7
	v_div_scale_f32 v9, vcc, v3, v6, v3
	s_mov_b32 s14, s10
	v_fma_f32 v10, -v7, v8, 1.0
	v_fmac_f32_e32 v8, v10, v8
	v_mul_f32_e32 v10, v9, v8
	v_fma_f32 v11, -v7, v10, v9
	v_fmac_f32_e32 v10, v11, v8
	v_fma_f32 v7, -v7, v10, v9
	v_div_fmas_f32 v7, v7, v8, v10
	v_div_fixup_f32 v3, v7, v6, v3
	ds_write_b32 v5, v3
	v_mov_b32_e32 v3, v1
	s_mov_b32 s15, s26
	s_cbranch_scc1 .LBB15_91
.LBB15_95:                              ;   Parent Loop BB15_92 Depth=1
                                        ; =>  This Inner Loop Header: Depth=2
	v_mov_b32_e32 v6, s14
	ds_read_b32 v5, v3
	ds_read_b32 v6, v6
	s_add_i32 s15, s15, -1
	s_add_i32 s14, s14, -4
	v_subrev_u32_e32 v3, 48, v3
	s_cmp_gt_i32 s15, s8
	s_waitcnt lgkmcnt(0)
	v_fma_f32 v2, -v5, v6, v2
	s_cbranch_scc1 .LBB15_95
	s_branch .LBB15_91
.LBB15_96:
	s_mov_b64 s[20:21], 0
.LBB15_97:
	s_andn2_b64 vcc, exec, s[20:21]
	s_cbranch_vccnz .LBB15_116
; %bb.98:
	s_cmp_lt_i32 s18, 4
	s_mov_b32 s9, 0
	s_cbranch_scc1 .LBB15_105
; %bb.99:
	v_mov_b32_e32 v1, 0x240
	v_lshl_or_b32 v1, v0, 2, v1
	s_mov_b32 s1, 0
	s_mov_b32 s8, 0
.LBB15_100:                             ; =>This Loop Header: Depth=1
                                        ;     Child Loop BB15_102 Depth 2
	s_mul_i32 s9, s8, 12
	v_add_lshl_u32 v6, s9, v0, 2
	s_add_i32 s11, s9, 12
	s_add_i32 s10, s9, 24
	s_add_i32 s9, s9, 36
	v_add_lshl_u32 v8, s11, v0, 2
	v_add_lshl_u32 v9, s10, v0, 2
	;; [unrolled: 1-line block ×3, first 2 shown]
	ds_read_b32 v5, v6 offset:576
	ds_read_b32 v4, v8 offset:576
	;; [unrolled: 1-line block ×4, first 2 shown]
	s_cmp_eq_u32 s8, 0
	s_cbranch_scc1 .LBB15_103
; %bb.101:                              ;   in Loop: Header=BB15_100 Depth=1
	s_mov_b32 s14, 0
	v_mov_b32_e32 v7, v1
	s_mov_b32 s15, s1
.LBB15_102:                             ;   Parent Loop BB15_100 Depth=1
                                        ; =>  This Inner Loop Header: Depth=2
	v_mov_b32_e32 v11, s15
	ds_read2_b32 v[28:29], v7 offset1:12
	ds_read2_b32 v[30:31], v7 offset0:24 offset1:36
	ds_read_b128 v[12:15], v11
	ds_read_b128 v[16:19], v11 offset:48
	ds_read_b128 v[20:23], v11 offset:96
	;; [unrolled: 1-line block ×3, first 2 shown]
	s_add_i32 s14, s14, 4
	s_add_i32 s15, s15, 16
	s_waitcnt lgkmcnt(3)
	v_fma_f32 v5, -v28, v12, v5
	s_waitcnt lgkmcnt(2)
	v_fma_f32 v4, -v28, v16, v4
	s_waitcnt lgkmcnt(1)
	v_fma_f32 v3, -v28, v20, v3
	s_waitcnt lgkmcnt(0)
	v_fma_f32 v2, -v28, v24, v2
	v_fma_f32 v5, -v29, v13, v5
	v_fma_f32 v4, -v29, v17, v4
	;; [unrolled: 1-line block ×8, first 2 shown]
	v_add_u32_e32 v7, 0xc0, v7
	s_cmp_ge_u32 s14, s8
	v_fma_f32 v5, -v31, v15, v5
	v_fma_f32 v4, -v31, v19, v4
	;; [unrolled: 1-line block ×4, first 2 shown]
	s_cbranch_scc0 .LBB15_102
.LBB15_103:                             ;   in Loop: Header=BB15_100 Depth=1
	s_mul_i32 s14, s8, 52
	v_add_u32_e32 v7, 0x240, v6
	v_add_u32_e32 v6, 0x240, v10
	v_mov_b32_e32 v10, s14
	ds_read_b32 v15, v10
	s_add_i32 s11, s11, s8
	s_add_i32 s10, s10, s8
	s_lshl_b32 s11, s11, 2
	s_lshl_b32 s10, s10, 2
	v_mov_b32_e32 v11, s11
	v_mov_b32_e32 v12, s10
	s_waitcnt lgkmcnt(0)
	v_div_scale_f32 v16, s[10:11], v15, v15, v5
	v_rcp_f32_e32 v17, v16
	ds_read_b64 v[10:11], v11
	ds_read_b96 v[12:14], v12
	s_add_i32 s9, s9, s8
	s_lshl_b32 s9, s9, 2
	v_fma_f32 v18, -v16, v17, 1.0
	v_fmac_f32_e32 v17, v18, v17
	v_div_scale_f32 v18, vcc, v5, v15, v5
	v_mul_f32_e32 v19, v18, v17
	v_fma_f32 v20, -v16, v19, v18
	v_fmac_f32_e32 v19, v20, v17
	v_fma_f32 v16, -v16, v19, v18
	v_div_fmas_f32 v16, v16, v17, v19
	v_div_fixup_f32 v5, v16, v15, v5
	s_waitcnt lgkmcnt(1)
	v_fma_f32 v4, -v5, v10, v4
	v_div_scale_f32 v10, s[10:11], v11, v11, v4
	v_rcp_f32_e32 v15, v10
	s_waitcnt lgkmcnt(0)
	v_fma_f32 v3, -v5, v12, v3
	v_add_u32_e32 v8, 0x240, v8
	v_add_u32_e32 v9, 0x240, v9
	v_fma_f32 v16, -v10, v15, 1.0
	v_fmac_f32_e32 v15, v16, v15
	v_div_scale_f32 v16, vcc, v4, v11, v4
	v_mul_f32_e32 v17, v16, v15
	v_fma_f32 v18, -v10, v17, v16
	v_fmac_f32_e32 v17, v18, v15
	v_fma_f32 v10, -v10, v17, v16
	v_div_fmas_f32 v10, v10, v15, v17
	v_div_fixup_f32 v4, v10, v11, v4
	v_fma_f32 v3, -v4, v13, v3
	v_div_scale_f32 v15, s[10:11], v14, v14, v3
	v_rcp_f32_e32 v16, v15
	v_div_scale_f32 v17, vcc, v3, v14, v3
	s_addk_i32 s1, 0xc0
	v_fma_f32 v10, -v15, v16, 1.0
	v_fmac_f32_e32 v16, v10, v16
	v_mul_f32_e32 v18, v17, v16
	v_fma_f32 v10, -v15, v18, v17
	v_fmac_f32_e32 v18, v10, v16
	v_mov_b32_e32 v10, s9
	ds_read_b128 v[10:13], v10
	v_fma_f32 v15, -v15, v18, v17
	v_div_fmas_f32 v15, v15, v16, v18
	v_div_fixup_f32 v3, v15, v14, v3
	ds_write_b32 v7, v5
	ds_write_b32 v8, v4
	;; [unrolled: 1-line block ×3, first 2 shown]
	s_waitcnt lgkmcnt(3)
	v_fma_f32 v2, -v5, v10, v2
	v_fma_f32 v2, -v4, v11, v2
	;; [unrolled: 1-line block ×3, first 2 shown]
	v_div_scale_f32 v10, s[10:11], v13, v13, v2
	v_rcp_f32_e32 v11, v10
	s_add_i32 s9, s8, 4
	s_add_i32 s8, s8, 7
	s_cmp_ge_i32 s8, s26
	v_fma_f32 v3, -v10, v11, 1.0
	v_fmac_f32_e32 v11, v3, v11
	v_div_scale_f32 v3, vcc, v2, v13, v2
	v_mul_f32_e32 v4, v3, v11
	v_fma_f32 v5, -v10, v4, v3
	v_fmac_f32_e32 v4, v5, v11
	v_fma_f32 v3, -v10, v4, v3
	v_div_fmas_f32 v3, v3, v11, v4
	v_div_fixup_f32 v2, v3, v13, v2
	ds_write_b32 v6, v2
	s_cbranch_scc1 .LBB15_105
; %bb.104:                              ;   in Loop: Header=BB15_100 Depth=1
	s_mov_b32 s8, s9
	s_branch .LBB15_100
.LBB15_105:
	s_cmp_ge_i32 s9, s26
	s_cbranch_scc1 .LBB15_116
; %bb.106:
	v_mov_b32_e32 v1, 0x240
	s_add_i32 s1, s9, -1
	s_mul_i32 s8, s9, 48
	v_lshl_or_b32 v2, v0, 2, v1
	s_mov_b32 s10, 0
	s_mov_b32 s11, s9
	s_branch .LBB15_108
.LBB15_107:                             ;   in Loop: Header=BB15_108 Depth=1
	s_mul_i32 s14, s9, 52
	v_mov_b32_e32 v4, s14
	ds_read_b32 v4, v4
	v_add_u32_e32 v3, 0x240, v3
	s_add_i32 s9, s9, 1
	s_add_i32 s10, s10, 1
	;; [unrolled: 1-line block ×3, first 2 shown]
	s_waitcnt lgkmcnt(0)
	v_div_scale_f32 v5, s[14:15], v4, v4, v1
	v_rcp_f32_e32 v6, v5
	v_div_scale_f32 v7, vcc, v1, v4, v1
	s_cmp_ge_i32 s9, s26
	v_fma_f32 v8, -v5, v6, 1.0
	v_fmac_f32_e32 v6, v8, v6
	v_mul_f32_e32 v8, v7, v6
	v_fma_f32 v9, -v5, v8, v7
	v_fmac_f32_e32 v8, v9, v6
	v_fma_f32 v5, -v5, v8, v7
	v_div_fmas_f32 v5, v5, v6, v8
	v_div_fixup_f32 v1, v5, v4, v1
	ds_write_b32 v3, v1
	v_add_u16_e64 v1, s11, 1
	v_readfirstlane_b32 s11, v1
	s_cbranch_scc1 .LBB15_116
.LBB15_108:                             ; =>This Loop Header: Depth=1
                                        ;     Child Loop BB15_111 Depth 2
                                        ;     Child Loop BB15_115 Depth 2
	s_mul_i32 s14, s9, 12
	v_add_lshl_u32 v3, s14, v0, 2
	ds_read_b32 v1, v3 offset:576
	s_cmp_eq_u32 s9, 0
	s_cbranch_scc1 .LBB15_107
; %bb.109:                              ;   in Loop: Header=BB15_108 Depth=1
	s_add_i32 s14, s1, s10
	s_cmp_lt_u32 s14, 7
	s_cbranch_scc1 .LBB15_113
; %bb.110:                              ;   in Loop: Header=BB15_108 Depth=1
	s_and_b32 s14, s9, -8
	s_mov_b32 s15, 0
	v_mov_b32_e32 v4, v2
	s_mov_b32 s19, s8
.LBB15_111:                             ;   Parent Loop BB15_108 Depth=1
                                        ; =>  This Inner Loop Header: Depth=2
	v_mov_b32_e32 v5, s19
	ds_read2_b32 v[14:15], v4 offset1:12
	ds_read2_b32 v[16:17], v4 offset0:24 offset1:36
	ds_read2_b32 v[18:19], v4 offset0:48 offset1:60
	;; [unrolled: 1-line block ×3, first 2 shown]
	ds_read_b128 v[6:9], v5
	ds_read_b128 v[10:13], v5 offset:16
	s_add_i32 s15, s15, 8
	s_add_i32 s19, s19, 32
	v_add_u32_e32 v4, 0x180, v4
	s_waitcnt lgkmcnt(1)
	v_fma_f32 v1, -v14, v6, v1
	v_fma_f32 v1, -v15, v7, v1
	;; [unrolled: 1-line block ×4, first 2 shown]
	s_waitcnt lgkmcnt(0)
	v_fma_f32 v1, -v18, v10, v1
	v_fma_f32 v1, -v19, v11, v1
	v_fma_f32 v1, -v20, v12, v1
	s_cmp_eq_u32 s14, s15
	v_fma_f32 v1, -v21, v13, v1
	s_cbranch_scc0 .LBB15_111
; %bb.112:                              ;   in Loop: Header=BB15_108 Depth=1
	s_and_b32 s15, s9, 7
	s_cmp_eq_u32 s15, 0
	s_cbranch_scc0 .LBB15_114
	s_branch .LBB15_107
.LBB15_113:                             ;   in Loop: Header=BB15_108 Depth=1
	s_mov_b32 s14, 0
	s_and_b32 s15, s9, 7
	s_cmp_eq_u32 s15, 0
	s_cbranch_scc1 .LBB15_107
.LBB15_114:                             ;   in Loop: Header=BB15_108 Depth=1
	s_and_b32 s15, s11, 7
	s_lshl_b32 s19, s14, 2
	v_mad_u64_u32 v[4:5], s[20:21], s14, 48, v[2:3]
.LBB15_115:                             ;   Parent Loop BB15_108 Depth=1
                                        ; =>  This Inner Loop Header: Depth=2
	s_add_i32 s14, s8, s19
	v_mov_b32_e32 v6, s14
	ds_read_b32 v5, v4
	ds_read_b32 v6, v6
	s_add_i32 s19, s19, 4
	s_add_i32 s15, s15, -1
	v_add_u32_e32 v4, 48, v4
	s_cmp_lg_u32 s15, 0
	s_waitcnt lgkmcnt(0)
	v_fma_f32 v1, -v5, v6, v1
	s_cbranch_scc1 .LBB15_115
	s_branch .LBB15_107
.LBB15_116:
	s_and_saveexec_b64 s[8:9], s[4:5]
	s_cbranch_execz .LBB15_128
; %bb.117:
	s_cmp_lt_u32 s18, 2
	s_cselect_b64 s[4:5], -1, 0
	s_cmp_lg_u32 s0, 1
	s_cselect_b64 s[8:9], -1, 0
	s_or_b64 s[4:5], s[4:5], s[8:9]
	s_mov_b32 s1, 1
	s_and_b64 vcc, exec, s[4:5]
	s_cbranch_vccnz .LBB15_125
; %bb.118:
	s_add_i32 s4, s18, -2
	s_lshr_b32 s5, s4, 1
	s_add_i32 s5, s5, 1
	s_mov_b32 s8, 0
	s_cmp_lt_u32 s4, 14
	s_mov_b32 s4, s8
	s_cbranch_scc1 .LBB15_121
; %bb.119:
	s_mul_i32 s1, s13, s7
	s_mul_hi_u32 s4, s12, s7
	s_add_i32 s11, s4, s1
	s_mul_i32 s10, s12, s7
	s_and_b32 s9, s5, -8
	s_lshl_b64 s[10:11], s[10:11], 2
	s_add_u32 s1, s10, s6
	s_addc_u32 s4, s11, s22
	s_lshl_b64 s[10:11], s[16:17], 2
	s_add_u32 s1, s1, s10
	s_addc_u32 s4, s4, s11
	s_add_u32 s1, s2, s1
	v_lshlrev_b32_e32 v1, 2, v0
	s_addc_u32 s4, s3, s4
	v_mov_b32_e32 v2, s4
	v_add_co_u32_e32 v1, vcc, s1, v1
	v_addc_co_u32_e32 v3, vcc, 0, v2, vcc
	v_add_co_u32_e32 v2, vcc, 56, v1
	v_addc_co_u32_e32 v3, vcc, 0, v3, vcc
	s_mov_b32 s1, 1
	s_mov_b32 s4, 0
.LBB15_120:                             ; =>This Inner Loop Header: Depth=1
	s_mul_i32 s10, s1, 12
	s_mul_i32 s11, s8, 12
	v_add_lshl_u32 v1, s11, v0, 2
	v_add_lshl_u32 v5, s10, v0, 2
	s_add_i32 s14, s10, 24
	s_add_i32 s15, s11, 24
	s_add_i32 s19, s10, 48
	s_add_i32 s20, s11, 48
	s_add_i32 s21, s10, 0x48
	s_add_i32 s23, s11, 0x48
	s_add_i32 s24, s10, 0x60
	s_add_i32 s25, s11, 0x60
	s_add_i32 s26, s10, 0x78
	s_add_i32 s27, s11, 0x78
	s_add_i32 s28, s10, 0x90
	s_add_i32 s29, s11, 0x90
	s_addk_i32 s10, 0xa8
	s_addk_i32 s11, 0xa8
	v_add_lshl_u32 v6, s15, v0, 2
	v_add_lshl_u32 v7, s14, v0, 2
	;; [unrolled: 1-line block ×14, first 2 shown]
	ds_read_b32 v4, v1 offset:576
	ds_read_b32 v5, v5 offset:576
	;; [unrolled: 1-line block ×16, first 2 shown]
	s_add_i32 s4, s4, 16
	s_add_i32 s1, s1, 16
	;; [unrolled: 1-line block ×3, first 2 shown]
	s_add_i32 s9, s9, -8
	s_waitcnt lgkmcnt(12)
	global_store_dwordx4 v[2:3], v[4:7], off offset:-56
	s_waitcnt lgkmcnt(8)
	global_store_dwordx4 v[2:3], v[8:11], off offset:-40
	;; [unrolled: 2-line block ×4, first 2 shown]
	v_add_co_u32_e32 v2, vcc, 64, v2
	s_cmp_lg_u32 s9, 0
	v_addc_co_u32_e32 v3, vcc, 0, v3, vcc
	s_cbranch_scc1 .LBB15_120
.LBB15_121:
	s_and_b32 s9, s5, 7
	s_cmp_eq_u32 s9, 0
	s_mov_b32 s5, 0
	s_cbranch_scc1 .LBB15_124
; %bb.122:
	s_mul_i32 s10, s13, s7
	s_mul_hi_u32 s11, s12, s7
	s_add_i32 s11, s11, s10
	s_mul_i32 s10, s12, s7
	s_lshl_b64 s[10:11], s[10:11], 2
	s_add_u32 s14, s10, s6
	s_addc_u32 s15, s11, s22
	s_lshl_b64 s[10:11], s[16:17], 2
	s_add_u32 s10, s14, s10
	s_addc_u32 s11, s15, s11
	;; [unrolled: 3-line block ×3, first 2 shown]
	s_add_u32 s4, s4, s10
	v_lshlrev_b32_e32 v1, 2, v0
	s_addc_u32 s5, s5, s11
	v_mov_b32_e32 v3, s5
	v_add_co_u32_e32 v2, vcc, s4, v1
	v_addc_co_u32_e32 v3, vcc, 0, v3, vcc
.LBB15_123:                             ; =>This Inner Loop Header: Depth=1
	s_mul_i32 s4, s1, 12
	s_mul_i32 s5, s8, 12
	v_add_lshl_u32 v1, s5, v0, 2
	v_add_lshl_u32 v5, s4, v0, 2
	ds_read_b32 v4, v1 offset:576
	ds_read_b32 v5, v5 offset:576
	s_add_i32 s1, s1, 2
	s_add_i32 s8, s8, 2
	s_add_i32 s9, s9, -1
	s_cmp_lg_u32 s9, 0
	s_waitcnt lgkmcnt(0)
	global_store_dwordx2 v[2:3], v[4:5], off
	v_add_co_u32_e32 v2, vcc, 8, v2
	v_addc_co_u32_e32 v3, vcc, 0, v3, vcc
	s_cbranch_scc1 .LBB15_123
.LBB15_124:
	s_and_b32 s8, s18, 0x7ffffffe
	s_cmp_lg_u32 s8, s18
	s_cselect_b64 s[4:5], -1, 0
	s_and_b64 vcc, exec, s[4:5]
	s_cbranch_vccnz .LBB15_126
	s_branch .LBB15_128
.LBB15_125:
	s_mov_b32 s8, 0
	s_cbranch_execz .LBB15_128
.LBB15_126:
	s_mul_i32 s5, s8, 48
	v_lshl_add_u32 v1, v0, 2, s5
	s_mul_i32 s5, s13, s7
	s_mul_hi_u32 s9, s12, s7
	s_sub_i32 s4, s18, s8
	s_add_i32 s11, s9, s5
	s_mul_i32 s10, s12, s7
	s_mul_hi_i32 s9, s0, s8
	s_mul_i32 s8, s0, s8
	s_ashr_i32 s1, s0, 31
	s_lshl_b64 s[10:11], s[10:11], 2
	s_lshl_b64 s[8:9], s[8:9], 2
	s_add_u32 s5, s10, s8
	s_addc_u32 s7, s11, s9
	s_add_u32 s5, s5, s6
	s_addc_u32 s8, s7, s22
	s_lshl_b64 s[6:7], s[16:17], 2
	s_add_u32 s5, s5, s6
	s_addc_u32 s6, s8, s7
	s_add_u32 s2, s2, s5
	v_lshlrev_b32_e32 v0, 2, v0
	s_addc_u32 s3, s3, s6
	v_add_u32_e32 v2, 0x240, v1
	v_mov_b32_e32 v1, s3
	v_add_co_u32_e32 v0, vcc, s2, v0
	s_lshl_b64 s[0:1], s[0:1], 2
	v_addc_co_u32_e32 v1, vcc, 0, v1, vcc
	v_mov_b32_e32 v3, s1
.LBB15_127:                             ; =>This Inner Loop Header: Depth=1
	ds_read_b32 v4, v2
	s_add_i32 s4, s4, -1
	v_add_u32_e32 v2, 48, v2
	s_cmp_lg_u32 s4, 0
	s_waitcnt lgkmcnt(0)
	global_store_dword v[0:1], v4, off
	v_add_co_u32_e32 v0, vcc, s0, v0
	v_addc_co_u32_e32 v1, vcc, v1, v3, vcc
	s_cbranch_scc1 .LBB15_127
.LBB15_128:
	s_endpgm
	.section	.rodata,"a",@progbits
	.p2align	6, 0x0
	.amdhsa_kernel _ZL31rocblas_trsm_small_right_deviceIffPKfPfLi12EEv13rocblas_fill_18rocblas_operation_17rocblas_diagonal_iiT0_T1_lilT2_lili
		.amdhsa_group_segment_fixed_size 1152
		.amdhsa_private_segment_fixed_size 0
		.amdhsa_kernarg_size 352
		.amdhsa_user_sgpr_count 6
		.amdhsa_user_sgpr_private_segment_buffer 1
		.amdhsa_user_sgpr_dispatch_ptr 0
		.amdhsa_user_sgpr_queue_ptr 0
		.amdhsa_user_sgpr_kernarg_segment_ptr 1
		.amdhsa_user_sgpr_dispatch_id 0
		.amdhsa_user_sgpr_flat_scratch_init 0
		.amdhsa_user_sgpr_kernarg_preload_length 0
		.amdhsa_user_sgpr_kernarg_preload_offset 0
		.amdhsa_user_sgpr_private_segment_size 0
		.amdhsa_uses_dynamic_stack 0
		.amdhsa_system_sgpr_private_segment_wavefront_offset 0
		.amdhsa_system_sgpr_workgroup_id_x 1
		.amdhsa_system_sgpr_workgroup_id_y 0
		.amdhsa_system_sgpr_workgroup_id_z 1
		.amdhsa_system_sgpr_workgroup_info 0
		.amdhsa_system_vgpr_workitem_id 0
		.amdhsa_next_free_vgpr 60
		.amdhsa_next_free_sgpr 44
		.amdhsa_accum_offset 60
		.amdhsa_reserve_vcc 1
		.amdhsa_reserve_flat_scratch 0
		.amdhsa_float_round_mode_32 0
		.amdhsa_float_round_mode_16_64 0
		.amdhsa_float_denorm_mode_32 3
		.amdhsa_float_denorm_mode_16_64 3
		.amdhsa_dx10_clamp 1
		.amdhsa_ieee_mode 1
		.amdhsa_fp16_overflow 0
		.amdhsa_tg_split 0
		.amdhsa_exception_fp_ieee_invalid_op 0
		.amdhsa_exception_fp_denorm_src 0
		.amdhsa_exception_fp_ieee_div_zero 0
		.amdhsa_exception_fp_ieee_overflow 0
		.amdhsa_exception_fp_ieee_underflow 0
		.amdhsa_exception_fp_ieee_inexact 0
		.amdhsa_exception_int_div_zero 0
	.end_amdhsa_kernel
	.section	.text._ZL31rocblas_trsm_small_right_deviceIffPKfPfLi12EEv13rocblas_fill_18rocblas_operation_17rocblas_diagonal_iiT0_T1_lilT2_lili,"axG",@progbits,_ZL31rocblas_trsm_small_right_deviceIffPKfPfLi12EEv13rocblas_fill_18rocblas_operation_17rocblas_diagonal_iiT0_T1_lilT2_lili,comdat
.Lfunc_end15:
	.size	_ZL31rocblas_trsm_small_right_deviceIffPKfPfLi12EEv13rocblas_fill_18rocblas_operation_17rocblas_diagonal_iiT0_T1_lilT2_lili, .Lfunc_end15-_ZL31rocblas_trsm_small_right_deviceIffPKfPfLi12EEv13rocblas_fill_18rocblas_operation_17rocblas_diagonal_iiT0_T1_lilT2_lili
                                        ; -- End function
	.section	.AMDGPU.csdata,"",@progbits
; Kernel info:
; codeLenInByte = 10080
; NumSgprs: 48
; NumVgprs: 60
; NumAgprs: 0
; TotalNumVgprs: 60
; ScratchSize: 0
; MemoryBound: 0
; FloatMode: 240
; IeeeMode: 1
; LDSByteSize: 1152 bytes/workgroup (compile time only)
; SGPRBlocks: 5
; VGPRBlocks: 7
; NumSGPRsForWavesPerEU: 48
; NumVGPRsForWavesPerEU: 60
; AccumOffset: 60
; Occupancy: 8
; WaveLimiterHint : 0
; COMPUTE_PGM_RSRC2:SCRATCH_EN: 0
; COMPUTE_PGM_RSRC2:USER_SGPR: 6
; COMPUTE_PGM_RSRC2:TRAP_HANDLER: 0
; COMPUTE_PGM_RSRC2:TGID_X_EN: 1
; COMPUTE_PGM_RSRC2:TGID_Y_EN: 0
; COMPUTE_PGM_RSRC2:TGID_Z_EN: 1
; COMPUTE_PGM_RSRC2:TIDIG_COMP_CNT: 0
; COMPUTE_PGM_RSRC3_GFX90A:ACCUM_OFFSET: 14
; COMPUTE_PGM_RSRC3_GFX90A:TG_SPLIT: 0
	.section	.text._ZL38rocblas_trsm_small_left_device_sharedBILi16ELi16ELb0EffPKfPfEv13rocblas_fill_18rocblas_operation_17rocblas_diagonal_iiT3_T4_lilT5_lili,"axG",@progbits,_ZL38rocblas_trsm_small_left_device_sharedBILi16ELi16ELb0EffPKfPfEv13rocblas_fill_18rocblas_operation_17rocblas_diagonal_iiT3_T4_lilT5_lili,comdat
	.globl	_ZL38rocblas_trsm_small_left_device_sharedBILi16ELi16ELb0EffPKfPfEv13rocblas_fill_18rocblas_operation_17rocblas_diagonal_iiT3_T4_lilT5_lili ; -- Begin function _ZL38rocblas_trsm_small_left_device_sharedBILi16ELi16ELb0EffPKfPfEv13rocblas_fill_18rocblas_operation_17rocblas_diagonal_iiT3_T4_lilT5_lili
	.p2align	8
	.type	_ZL38rocblas_trsm_small_left_device_sharedBILi16ELi16ELb0EffPKfPfEv13rocblas_fill_18rocblas_operation_17rocblas_diagonal_iiT3_T4_lilT5_lili,@function
_ZL38rocblas_trsm_small_left_device_sharedBILi16ELi16ELb0EffPKfPfEv13rocblas_fill_18rocblas_operation_17rocblas_diagonal_iiT3_T4_lilT5_lili: ; @_ZL38rocblas_trsm_small_left_device_sharedBILi16ELi16ELb0EffPKfPfEv13rocblas_fill_18rocblas_operation_17rocblas_diagonal_iiT3_T4_lilT5_lili
; %bb.0:
	s_load_dwordx4 s[8:11], s[4:5], 0x4
	s_load_dword s16, s[4:5], 0x14
	s_load_dwordx4 s[0:3], s[4:5], 0x30
	s_load_dwordx2 s[18:19], s[4:5], 0x40
	s_mov_b32 s27, 0
	s_waitcnt lgkmcnt(0)
	s_min_i32 s26, s10, 16
	v_cmp_gt_i32_e32 vcc, s26, v0
	s_and_saveexec_b64 s[20:21], vcc
	s_cbranch_execz .LBB16_15
; %bb.1:
	s_load_dword s22, s[4:5], 0x28
	s_load_dwordx4 s[12:15], s[4:5], 0x18
	s_cmp_gt_u32 s26, 1
	s_cselect_b64 s[24:25], -1, 0
	s_mov_b32 s17, 1
	s_waitcnt lgkmcnt(0)
	s_cmp_eq_u32 s22, 1
	s_cselect_b64 s[28:29], -1, 0
	s_and_b64 s[28:29], s[24:25], s[28:29]
	s_mov_b64 s[24:25], -1
	s_and_b64 vcc, exec, s[28:29]
	s_cbranch_vccz .LBB16_9
; %bb.2:
	s_add_i32 s24, s26, -2
	s_lshr_b32 s25, s24, 1
	s_add_i32 s25, s25, 1
	s_mov_b32 s23, 0
	s_cmp_lt_u32 s24, 14
	s_mov_b32 s24, s23
	s_cbranch_scc1 .LBB16_5
; %bb.3:
	s_mul_i32 s17, s1, s7
	s_mul_hi_u32 s23, s0, s7
	s_add_i32 s29, s23, s17
	s_mul_i32 s28, s0, s7
	s_and_b32 s27, s25, -8
	s_lshl_b64 s[28:29], s[28:29], 2
	s_lshl_b64 s[30:31], s[14:15], 2
	s_add_u32 s17, s28, s30
	s_addc_u32 s23, s29, s31
	s_add_u32 s17, s12, s17
	v_lshlrev_b32_e32 v1, 2, v0
	s_addc_u32 s23, s13, s23
	v_mov_b32_e32 v2, s23
	v_add_co_u32_e32 v1, vcc, s17, v1
	v_addc_co_u32_e32 v3, vcc, 0, v2, vcc
	v_add_co_u32_e32 v2, vcc, 56, v1
	v_addc_co_u32_e32 v3, vcc, 0, v3, vcc
	s_mov_b32 s17, 1
	s_mov_b32 s24, 0
	;; [unrolled: 1-line block ×3, first 2 shown]
.LBB16_4:                               ; =>This Inner Loop Header: Depth=1
	global_load_dwordx4 v[4:7], v[2:3], off offset:-56
	global_load_dwordx4 v[8:11], v[2:3], off offset:-40
	;; [unrolled: 1-line block ×4, first 2 shown]
	s_lshl_b32 s28, s23, 4
	s_lshl_b32 s29, s17, 4
	s_add_i32 s24, s24, 16
	s_add_i32 s17, s17, 16
	;; [unrolled: 1-line block ×3, first 2 shown]
	s_add_i32 s27, s27, -8
	v_add_co_u32_e32 v2, vcc, 64, v2
	v_or_b32_e32 v1, s29, v0
	v_or_b32_e32 v20, s28, v0
	s_add_i32 s30, s28, 32
	s_add_i32 s31, s29, 32
	;; [unrolled: 1-line block ×12, first 2 shown]
	s_addk_i32 s28, 0xe0
	s_addk_i32 s29, 0xe0
	v_addc_co_u32_e32 v3, vcc, 0, v3, vcc
	v_lshlrev_b32_e32 v20, 2, v20
	v_or_b32_e32 v21, s31, v0
	v_or_b32_e32 v22, s30, v0
	;; [unrolled: 1-line block ×14, first 2 shown]
	s_cmp_lg_u32 s27, 0
	v_lshlrev_b32_e32 v1, 2, v1
	v_lshlrev_b32_e32 v22, 2, v22
	;; [unrolled: 1-line block ×15, first 2 shown]
	s_waitcnt vmcnt(3)
	ds_write_b32 v20, v4
	ds_write_b32 v1, v5
	ds_write_b32 v22, v6
	ds_write_b32 v21, v7
	s_waitcnt vmcnt(2)
	ds_write_b32 v24, v8
	ds_write_b32 v23, v9
	ds_write_b32 v26, v10
	ds_write_b32 v25, v11
	;; [unrolled: 5-line block ×4, first 2 shown]
	s_cbranch_scc1 .LBB16_4
.LBB16_5:
	s_and_b32 s27, s25, 7
	s_cmp_eq_u32 s27, 0
	s_mov_b32 s25, 0
	s_cbranch_scc1 .LBB16_8
; %bb.6:
	s_mul_i32 s28, s1, s7
	s_mul_hi_u32 s29, s0, s7
	s_add_i32 s29, s29, s28
	s_mul_i32 s28, s0, s7
	s_lshl_b64 s[28:29], s[28:29], 2
	s_lshl_b64 s[30:31], s[14:15], 2
	s_add_u32 s28, s28, s30
	s_addc_u32 s29, s29, s31
	s_lshl_b64 s[24:25], s[24:25], 2
	s_add_u32 s24, s12, s24
	s_addc_u32 s25, s13, s25
	s_add_u32 s24, s24, s28
	v_lshlrev_b32_e32 v1, 2, v0
	s_addc_u32 s25, s25, s29
	v_mov_b32_e32 v3, s25
	v_add_co_u32_e32 v2, vcc, s24, v1
	v_addc_co_u32_e32 v3, vcc, 0, v3, vcc
	s_lshl_b32 s24, s27, 3
.LBB16_7:                               ; =>This Inner Loop Header: Depth=1
	global_load_dwordx2 v[4:5], v[2:3], off
	v_lshl_or_b32 v6, s23, 6, v1
	v_lshl_or_b32 v7, s17, 6, v1
	s_add_i32 s17, s17, 2
	s_add_i32 s23, s23, 2
	v_add_co_u32_e32 v2, vcc, 8, v2
	s_add_i32 s24, s24, -8
	v_addc_co_u32_e32 v3, vcc, 0, v3, vcc
	s_cmp_lg_u32 s24, 0
	s_waitcnt vmcnt(0)
	ds_write_b32 v6, v4
	ds_write_b32 v7, v5
	s_cbranch_scc1 .LBB16_7
.LBB16_8:
	s_and_b32 s27, s26, -2
	s_cmp_lg_u32 s26, s27
	s_cselect_b64 s[24:25], -1, 0
.LBB16_9:
	s_and_b64 vcc, exec, s[24:25]
	s_cbranch_vccz .LBB16_12
; %bb.10:
	s_ashr_i32 s23, s22, 31
	s_mul_i32 s1, s1, s7
	s_mul_hi_u32 s17, s0, s7
	s_add_i32 s1, s17, s1
	s_mul_hi_u32 s17, s22, s27
	s_mul_i32 s24, s23, s27
	s_mul_i32 s0, s0, s7
	s_add_i32 s25, s17, s24
	s_mul_i32 s24, s22, s27
	s_lshl_b64 s[0:1], s[0:1], 2
	s_lshl_b64 s[24:25], s[24:25], 2
	s_add_u32 s17, s0, s24
	s_addc_u32 s24, s1, s25
	s_lshl_b64 s[0:1], s[14:15], 2
	s_add_u32 s0, s17, s0
	s_addc_u32 s1, s24, s1
	s_add_u32 s0, s12, s0
	v_lshlrev_b32_e32 v1, 2, v0
	s_addc_u32 s1, s13, s1
	v_mov_b32_e32 v3, s1
	v_add_co_u32_e32 v2, vcc, s0, v1
	s_lshl_b64 s[0:1], s[22:23], 2
	v_addc_co_u32_e32 v3, vcc, 0, v3, vcc
	v_lshl_or_b32 v1, s27, 6, v1
	s_sub_i32 s12, s26, s27
	v_mov_b32_e32 v4, s1
.LBB16_11:                              ; =>This Inner Loop Header: Depth=1
	global_load_dword v5, v[2:3], off
	v_add_co_u32_e32 v2, vcc, s0, v2
	s_add_i32 s12, s12, -1
	v_addc_co_u32_e32 v3, vcc, v3, v4, vcc
	s_cmp_eq_u32 s12, 0
	s_waitcnt vmcnt(0)
	ds_write_b32 v1, v5
	v_add_u32_e32 v1, 64, v1
	s_cbranch_scc0 .LBB16_11
.LBB16_12:
	v_mul_u32_u24_e32 v1, 17, v0
	s_cmpk_lg_i32 s9, 0x84
	v_lshlrev_b32_e32 v1, 2, v1
	v_mov_b32_e32 v2, 1.0
	s_cbranch_scc0 .LBB16_14
; %bb.13:
	ds_read_b32 v2, v1
	s_waitcnt lgkmcnt(0)
	v_div_scale_f32 v3, s[0:1], v2, v2, 1.0
	v_rcp_f32_e32 v4, v3
	v_div_scale_f32 v5, vcc, 1.0, v2, 1.0
	v_fma_f32 v6, -v3, v4, 1.0
	v_fmac_f32_e32 v4, v6, v4
	v_mul_f32_e32 v6, v5, v4
	v_fma_f32 v7, -v3, v6, v5
	v_fmac_f32_e32 v6, v7, v4
	v_fma_f32 v3, -v3, v6, v5
	v_div_fmas_f32 v3, v3, v4, v6
	v_div_fixup_f32 v2, v3, v2, 1.0
.LBB16_14:
	ds_write_b32 v1, v2
.LBB16_15:
	s_or_b64 exec, exec, s[20:21]
	s_load_dword s9, s[4:5], 0x60
	s_load_dword s20, s[4:5], 0x48
	s_load_dwordx2 s[0:1], s[4:5], 0x50
	s_waitcnt lgkmcnt(0)
	s_ashr_i32 s21, s20, 31
	s_mul_i32 s1, s7, s1
	s_mul_hi_u32 s4, s7, s0
	s_mul_i32 s0, s7, s0
	s_add_i32 s1, s4, s1
	s_lshl_b64 s[0:1], s[0:1], 2
	s_add_u32 s7, s2, s0
	s_addc_u32 s12, s3, s1
	s_lshl_b64 s[4:5], s[18:19], 2
	s_add_u32 s14, s7, s4
	s_addc_u32 s15, s12, s5
	s_lshl_b32 s12, s6, 4
	s_add_i32 s9, s9, -1
	s_sub_i32 s7, s11, s12
	s_cmp_ge_u32 s6, s9
	s_cselect_b32 s9, s7, 16
	s_mul_hi_i32 s7, s20, s12
	s_mul_i32 s6, s20, s12
	s_ashr_i32 s13, s12, 31
	s_lshl_b64 s[6:7], s[6:7], 2
	s_add_u32 s11, s14, s6
	s_addc_u32 s22, s15, s7
	s_cmp_gt_i32 s10, 0
	v_cmp_gt_i32_e32 vcc, s9, v0
	s_cselect_b64 s[6:7], -1, 0
	s_mov_b32 s9, 0
	s_and_b64 s[6:7], vcc, s[6:7]
	s_and_saveexec_b64 s[14:15], s[6:7]
	s_cbranch_execz .LBB16_29
; %bb.16:
	s_cmp_lt_i32 s10, 2
	s_mov_b64 s[18:19], -1
	s_cbranch_scc1 .LBB16_26
; %bb.17:
	v_mad_i64_i32 v[2:3], s[18:19], s20, v0, 0
	v_lshlrev_b64 v[2:3], 2, v[2:3]
	v_mov_b32_e32 v1, s22
	v_add_co_u32_e32 v2, vcc, s11, v2
	v_addc_co_u32_e32 v3, vcc, v1, v3, vcc
	global_load_dwordx2 v[6:7], v[2:3], off
	s_and_b32 s9, s26, 30
	v_lshlrev_b32_e32 v1, 2, v0
	v_add_u32_e32 v4, 0x400, v1
	s_cmp_eq_u32 s9, 2
	s_waitcnt vmcnt(0)
	v_pk_mul_f32 v[6:7], v[6:7], s[16:17] op_sel_hi:[1,0]
	ds_write2_b32 v4, v6, v7 offset1:16
	s_cbranch_scc1 .LBB16_25
; %bb.18:
	global_load_dwordx2 v[6:7], v[2:3], off offset:8
	s_mov_b32 s17, s16
	s_cmp_eq_u32 s9, 4
	s_waitcnt vmcnt(0)
	v_pk_mul_f32 v[6:7], v[6:7], s[16:17]
	ds_write2_b32 v4, v6, v7 offset0:32 offset1:48
	s_cbranch_scc1 .LBB16_25
; %bb.19:
	global_load_dwordx2 v[4:5], v[2:3], off offset:16
	s_cmp_eq_u32 s9, 6
	s_waitcnt vmcnt(0)
	v_pk_mul_f32 v[4:5], v[4:5], s[16:17]
	ds_write_b32 v1, v4 offset:1280
	ds_write_b32 v1, v5 offset:1344
	s_cbranch_scc1 .LBB16_25
; %bb.20:
	global_load_dwordx2 v[4:5], v[2:3], off offset:24
	s_cmp_eq_u32 s9, 8
	s_waitcnt vmcnt(0)
	v_pk_mul_f32 v[4:5], v[4:5], s[16:17]
	ds_write_b32 v1, v4 offset:1408
	ds_write_b32 v1, v5 offset:1472
	s_cbranch_scc1 .LBB16_25
; %bb.21:
	global_load_dwordx2 v[4:5], v[2:3], off offset:32
	s_cmp_eq_u32 s9, 10
	s_waitcnt vmcnt(0)
	v_pk_mul_f32 v[4:5], v[4:5], s[16:17]
	ds_write_b32 v1, v4 offset:1536
	ds_write_b32 v1, v5 offset:1600
	s_cbranch_scc1 .LBB16_25
; %bb.22:
	global_load_dwordx2 v[4:5], v[2:3], off offset:40
	s_cmp_eq_u32 s9, 12
	s_waitcnt vmcnt(0)
	v_pk_mul_f32 v[4:5], v[4:5], s[16:17]
	ds_write_b32 v1, v4 offset:1664
	ds_write_b32 v1, v5 offset:1728
	s_cbranch_scc1 .LBB16_25
; %bb.23:
	global_load_dwordx2 v[4:5], v[2:3], off offset:48
	s_cmp_eq_u32 s9, 14
	s_waitcnt vmcnt(0)
	v_pk_mul_f32 v[4:5], v[4:5], s[16:17]
	ds_write_b32 v1, v4 offset:1792
	ds_write_b32 v1, v5 offset:1856
	s_cbranch_scc1 .LBB16_25
; %bb.24:
	global_load_dwordx2 v[2:3], v[2:3], off offset:56
	s_waitcnt vmcnt(0)
	v_pk_mul_f32 v[2:3], v[2:3], s[16:17]
	ds_write_b32 v1, v2 offset:1920
	ds_write_b32 v1, v3 offset:1984
.LBB16_25:
	s_cmp_lg_u32 s26, s9
	s_cselect_b64 s[18:19], -1, 0
.LBB16_26:
	s_and_b64 vcc, exec, s[18:19]
	s_cbranch_vccz .LBB16_29
; %bb.27:
	v_lshlrev_b32_e32 v2, 2, v0
	v_lshl_or_b32 v1, s9, 6, v2
	s_sub_i32 s17, s26, s9
	s_lshl_b64 s[18:19], s[12:13], 2
	s_lshl_b32 s9, s9, 2
	s_add_u32 s9, s2, s9
	v_add_co_u32_e32 v4, vcc, s18, v2
	s_addc_u32 s18, s3, 0
	s_add_u32 s9, s9, s4
	v_mov_b32_e32 v3, s19
	s_addc_u32 s19, s18, s5
	s_add_u32 s18, s9, s0
	s_addc_u32 s19, s19, s1
	v_addc_co_u32_e32 v5, vcc, 0, v3, vcc
	v_pk_mov_b32 v[2:3], s[18:19], s[18:19] op_sel:[0,1]
	v_mad_u64_u32 v[2:3], s[18:19], v4, s20, v[2:3]
	v_mul_lo_u32 v4, v4, s21
	v_mul_lo_u32 v5, v5, s20
	v_add_u32_e32 v1, 0x400, v1
	v_add3_u32 v3, v5, v3, v4
.LBB16_28:                              ; =>This Inner Loop Header: Depth=1
	global_load_dword v4, v[2:3], off
	s_add_i32 s17, s17, -1
	v_add_co_u32_e32 v2, vcc, 4, v2
	v_addc_co_u32_e32 v3, vcc, 0, v3, vcc
	s_cmp_lg_u32 s17, 0
	s_waitcnt vmcnt(0)
	v_mul_f32_e32 v4, s16, v4
	ds_write_b32 v1, v4
	v_add_u32_e32 v1, 64, v1
	s_cbranch_scc1 .LBB16_28
.LBB16_29:
	s_or_b64 exec, exec, s[14:15]
	s_cmpk_eq_i32 s8, 0x6f
	s_mov_b64 s[8:9], -1
	s_waitcnt lgkmcnt(0)
	; wave barrier
	s_waitcnt lgkmcnt(0)
	s_cbranch_scc1 .LBB16_54
; %bb.30:
	s_cmp_gt_i32 s10, 15
	s_cselect_b64 s[8:9], -1, 0
	s_and_b64 vcc, exec, s[8:9]
	s_cbranch_vccz .LBB16_32
; %bb.31:
	v_lshlrev_b32_e32 v1, 2, v0
	v_add_u32_e32 v1, 0x400, v1
	v_mov_b32_e32 v24, 0
	ds_read2_b32 v[4:5], v1 offset1:16
	ds_read2_b32 v[12:13], v1 offset0:32 offset1:48
	ds_read2_b32 v[14:15], v1 offset0:64 offset1:80
	;; [unrolled: 1-line block ×5, first 2 shown]
	ds_read_b32 v11, v24
	ds_read_b64 v[6:7], v24 offset:64
	ds_read2_b32 v[22:23], v1 offset0:192 offset1:208
	ds_read2_b32 v[2:3], v1 offset0:224 offset1:240
	ds_read_b96 v[8:10], v24 offset:128
	s_waitcnt lgkmcnt(4)
	v_mul_f32_e32 v25, v4, v11
	s_waitcnt lgkmcnt(3)
	v_fma_f32 v4, -v25, v6, v5
	v_mul_f32_e32 v26, v4, v7
	ds_read_b128 v[4:7], v24 offset:192
	s_waitcnt lgkmcnt(1)
	v_fma_f32 v8, -v25, v8, v12
	v_fma_f32 v8, -v26, v9, v8
	v_mul_f32_e32 v27, v8, v10
	ds_read_b128 v[8:11], v24 offset:256
	s_waitcnt lgkmcnt(1)
	v_fma_f32 v4, -v25, v4, v13
	v_fma_f32 v4, -v26, v5, v4
	;; [unrolled: 1-line block ×3, first 2 shown]
	v_mul_f32_e32 v28, v4, v7
	ds_write2_b32 v1, v25, v26 offset1:16
	ds_write2_b32 v1, v27, v28 offset0:32 offset1:48
	s_waitcnt lgkmcnt(2)
	v_fma_f32 v8, -v25, v8, v14
	ds_read_b32 v12, v24 offset:272
	ds_read_b128 v[4:7], v24 offset:320
	v_fma_f32 v8, -v26, v9, v8
	v_fma_f32 v8, -v27, v10, v8
	;; [unrolled: 1-line block ×3, first 2 shown]
	s_waitcnt lgkmcnt(1)
	v_mul_f32_e32 v29, v8, v12
	ds_read_b64 v[12:13], v24 offset:336
	ds_read_b128 v[8:11], v24 offset:384
	s_waitcnt lgkmcnt(2)
	v_fma_f32 v4, -v25, v4, v15
	v_fma_f32 v4, -v26, v5, v4
	v_fma_f32 v4, -v27, v6, v4
	v_fma_f32 v4, -v28, v7, v4
	s_waitcnt lgkmcnt(1)
	v_fma_f32 v4, -v29, v12, v4
	v_mul_f32_e32 v30, v4, v13
	ds_read_b96 v[12:14], v24 offset:400
	s_waitcnt lgkmcnt(1)
	v_fma_f32 v4, -v25, v8, v16
	v_fma_f32 v4, -v26, v9, v4
	;; [unrolled: 1-line block ×3, first 2 shown]
	ds_read_b128 v[4:7], v24 offset:448
	v_fma_f32 v8, -v28, v11, v8
	s_waitcnt lgkmcnt(1)
	v_fma_f32 v8, -v29, v12, v8
	v_fma_f32 v8, -v30, v13, v8
	v_mul_f32_e32 v16, v8, v14
	ds_read_b128 v[8:11], v24 offset:464
	s_waitcnt lgkmcnt(1)
	v_fma_f32 v4, -v25, v4, v17
	v_fma_f32 v4, -v26, v5, v4
	;; [unrolled: 1-line block ×4, first 2 shown]
	ds_read_b128 v[4:7], v24 offset:512
	s_waitcnt lgkmcnt(1)
	v_fma_f32 v8, -v29, v8, v12
	v_fma_f32 v8, -v30, v9, v8
	;; [unrolled: 1-line block ×3, first 2 shown]
	v_mul_f32_e32 v17, v8, v11
	ds_write2_b32 v1, v29, v30 offset0:64 offset1:80
	ds_write2_b32 v1, v16, v17 offset0:96 offset1:112
	ds_read_b128 v[8:11], v24 offset:528
	ds_read_b32 v12, v24 offset:544
	s_waitcnt lgkmcnt(4)
	v_fma_f32 v4, -v25, v4, v18
	v_fma_f32 v4, -v26, v5, v4
	;; [unrolled: 1-line block ×4, first 2 shown]
	s_waitcnt lgkmcnt(1)
	v_fma_f32 v4, -v29, v8, v4
	v_fma_f32 v8, -v30, v9, v4
	ds_read_b128 v[4:7], v24 offset:576
	v_fma_f32 v8, -v16, v10, v8
	v_fma_f32 v8, -v17, v11, v8
	s_waitcnt lgkmcnt(1)
	v_mul_f32_e32 v18, v8, v12
	ds_read_b128 v[8:11], v24 offset:592
	s_waitcnt lgkmcnt(1)
	v_fma_f32 v4, -v25, v4, v19
	v_fma_f32 v4, -v26, v5, v4
	v_fma_f32 v4, -v27, v6, v4
	v_fma_f32 v4, -v28, v7, v4
	s_waitcnt lgkmcnt(0)
	v_fma_f32 v4, -v29, v8, v4
	ds_read_b64 v[12:13], v24 offset:608
	v_fma_f32 v4, -v30, v9, v4
	v_fma_f32 v8, -v16, v10, v4
	ds_read_b128 v[4:7], v24 offset:640
	v_fma_f32 v8, -v17, v11, v8
	s_waitcnt lgkmcnt(1)
	v_fma_f32 v8, -v18, v12, v8
	v_mul_f32_e32 v19, v8, v13
	ds_read_b128 v[8:11], v24 offset:656
	ds_read_b96 v[12:14], v24 offset:672
	s_waitcnt lgkmcnt(2)
	v_fma_f32 v4, -v25, v4, v20
	v_fma_f32 v4, -v26, v5, v4
	;; [unrolled: 1-line block ×4, first 2 shown]
	s_waitcnt lgkmcnt(1)
	v_fma_f32 v4, -v29, v8, v4
	v_fma_f32 v4, -v30, v9, v4
	;; [unrolled: 1-line block ×4, first 2 shown]
	ds_read_b128 v[4:7], v24 offset:704
	s_waitcnt lgkmcnt(1)
	v_fma_f32 v8, -v18, v12, v8
	v_fma_f32 v8, -v19, v13, v8
	v_mul_f32_e32 v20, v8, v14
	ds_read_b128 v[8:11], v24 offset:720
	s_waitcnt lgkmcnt(1)
	v_fma_f32 v4, -v25, v4, v21
	v_fma_f32 v4, -v26, v5, v4
	;; [unrolled: 1-line block ×4, first 2 shown]
	s_waitcnt lgkmcnt(0)
	v_fma_f32 v8, -v29, v8, v4
	ds_read_b128 v[4:7], v24 offset:736
	v_fma_f32 v8, -v30, v9, v8
	v_fma_f32 v8, -v16, v10, v8
	v_fma_f32 v12, -v17, v11, v8
	ds_read_b128 v[8:11], v24 offset:768
	s_waitcnt lgkmcnt(1)
	v_fma_f32 v4, -v18, v4, v12
	v_fma_f32 v4, -v19, v5, v4
	;; [unrolled: 1-line block ×3, first 2 shown]
	v_mul_f32_e32 v21, v4, v7
	ds_write2_b32 v1, v18, v19 offset0:128 offset1:144
	ds_write2_b32 v1, v20, v21 offset0:160 offset1:176
	ds_read_b128 v[4:7], v24 offset:784
	ds_read_b128 v[12:15], v24 offset:800
	s_waitcnt lgkmcnt(4)
	v_fma_f32 v8, -v25, v8, v22
	v_fma_f32 v8, -v26, v9, v8
	;; [unrolled: 1-line block ×4, first 2 shown]
	s_waitcnt lgkmcnt(1)
	v_fma_f32 v4, -v29, v4, v8
	v_fma_f32 v4, -v30, v5, v4
	;; [unrolled: 1-line block ×4, first 2 shown]
	s_waitcnt lgkmcnt(0)
	v_fma_f32 v8, -v18, v12, v4
	ds_read_b32 v9, v24 offset:816
	ds_read_b128 v[4:7], v24 offset:832
	v_fma_f32 v8, -v19, v13, v8
	v_fma_f32 v8, -v20, v14, v8
	;; [unrolled: 1-line block ×3, first 2 shown]
	s_waitcnt lgkmcnt(1)
	v_mul_f32_e32 v15, v8, v9
	ds_read_b128 v[8:11], v24 offset:848
	s_waitcnt lgkmcnt(1)
	v_fma_f32 v4, -v25, v4, v23
	v_fma_f32 v4, -v26, v5, v4
	;; [unrolled: 1-line block ×4, first 2 shown]
	ds_read_b128 v[4:7], v24 offset:864
	s_waitcnt lgkmcnt(1)
	v_fma_f32 v8, -v29, v8, v12
	v_fma_f32 v8, -v30, v9, v8
	;; [unrolled: 1-line block ×4, first 2 shown]
	ds_read_b64 v[12:13], v24 offset:880
	s_waitcnt lgkmcnt(1)
	v_fma_f32 v4, -v18, v4, v8
	ds_read_b128 v[8:11], v24 offset:896
	v_fma_f32 v4, -v19, v5, v4
	v_fma_f32 v4, -v20, v6, v4
	v_fma_f32 v4, -v21, v7, v4
	s_waitcnt lgkmcnt(1)
	v_fma_f32 v4, -v15, v12, v4
	v_mul_f32_e32 v22, v4, v13
	ds_read_b128 v[4:7], v24 offset:912
	s_waitcnt lgkmcnt(1)
	v_fma_f32 v2, -v25, v8, v2
	v_fma_f32 v2, -v26, v9, v2
	;; [unrolled: 1-line block ×4, first 2 shown]
	ds_read_b128 v[8:11], v24 offset:928
	s_waitcnt lgkmcnt(1)
	v_fma_f32 v2, -v29, v4, v2
	v_fma_f32 v2, -v30, v5, v2
	;; [unrolled: 1-line block ×4, first 2 shown]
	ds_read_b96 v[12:14], v24 offset:944
	ds_read_b128 v[4:7], v24 offset:960
	s_waitcnt lgkmcnt(2)
	v_fma_f32 v2, -v18, v8, v2
	v_fma_f32 v2, -v19, v9, v2
	;; [unrolled: 1-line block ×4, first 2 shown]
	s_waitcnt lgkmcnt(1)
	v_fma_f32 v2, -v15, v12, v2
	v_fma_f32 v2, -v22, v13, v2
	ds_read_b128 v[8:11], v24 offset:976
	v_mul_f32_e32 v12, v2, v14
	s_waitcnt lgkmcnt(1)
	v_fma_f32 v2, -v25, v4, v3
	v_fma_f32 v2, -v26, v5, v2
	;; [unrolled: 1-line block ×4, first 2 shown]
	ds_read_b128 v[2:5], v24 offset:992
	s_waitcnt lgkmcnt(1)
	v_fma_f32 v6, -v29, v8, v6
	v_fma_f32 v6, -v30, v9, v6
	;; [unrolled: 1-line block ×4, first 2 shown]
	ds_read_b128 v[6:9], v24 offset:1008
	s_waitcnt lgkmcnt(1)
	v_fma_f32 v2, -v18, v2, v10
	v_fma_f32 v2, -v19, v3, v2
	v_fma_f32 v2, -v20, v4, v2
	v_fma_f32 v2, -v21, v5, v2
	s_waitcnt lgkmcnt(0)
	v_fma_f32 v2, -v15, v6, v2
	v_fma_f32 v2, -v22, v7, v2
	;; [unrolled: 1-line block ×3, first 2 shown]
	v_mul_f32_e32 v2, v2, v9
	s_mov_b32 s14, 16
	ds_write2_b32 v1, v15, v22 offset0:192 offset1:208
	ds_write2_b32 v1, v12, v2 offset0:224 offset1:240
	s_cmp_lt_i32 s14, s26
	s_cbranch_scc1 .LBB16_33
	s_branch .LBB16_53
.LBB16_32:
	s_mov_b32 s14, 0
	s_cmp_lt_i32 s14, s26
	s_cbranch_scc0 .LBB16_53
.LBB16_33:
	s_or_b32 s16, s14, 11
	s_cmp_ge_u32 s16, s26
	s_cbranch_scc1 .LBB16_42
; %bb.34:
	s_lshl_b32 s15, s14, 4
	v_or_b32_e32 v1, s15, v0
	v_lshlrev_b32_e32 v10, 2, v1
	v_add_u32_e32 v1, 0x400, v10
	ds_read2_b32 v[12:13], v1 offset1:16
	ds_read2_b32 v[8:9], v1 offset0:32 offset1:48
	ds_read2_b32 v[4:5], v1 offset0:64 offset1:80
	;; [unrolled: 1-line block ×4, first 2 shown]
	s_lshl_b32 s16, s16, 4
	v_or_b32_e32 v11, s16, v0
	v_lshlrev_b32_e32 v14, 2, v11
	ds_read_b32 v10, v10 offset:1664
	ds_read_b32 v11, v14 offset:1024
	s_andn2_b64 vcc, exec, s[8:9]
	s_cbranch_vccnz .LBB16_41
; %bb.35:
	s_max_u32 s9, s14, 1
	s_cmp_eq_u32 s9, 1
	s_cbranch_scc1 .LBB16_38
; %bb.36:
	v_mov_b32_e32 v15, 0x400
	s_and_b32 s8, s9, 16
	s_lshl_b32 s17, s14, 6
	v_lshl_or_b32 v15, v0, 2, v15
	s_mov_b32 s18, 0
.LBB16_37:                              ; =>This Inner Loop Header: Depth=1
	v_mov_b32_e32 v36, s17
	ds_read2_b32 v[40:41], v15 offset1:16
	ds_read2_b64 v[16:19], v36 offset0:80 offset1:88
	ds_read2_b64 v[20:23], v36 offset1:8
	ds_read2_b64 v[24:27], v36 offset0:16 offset1:24
	ds_read2_b64 v[28:31], v36 offset0:32 offset1:40
	;; [unrolled: 1-line block ×4, first 2 shown]
	s_add_i32 s18, s18, 2
	s_add_i32 s17, s17, 8
	s_waitcnt lgkmcnt(5)
	v_fma_f32 v10, -v40, v16, v10
	s_waitcnt lgkmcnt(4)
	v_fma_f32 v12, -v40, v20, v12
	v_fma_f32 v13, -v40, v22, v13
	s_waitcnt lgkmcnt(3)
	v_fma_f32 v8, -v40, v24, v8
	;; [unrolled: 3-line block ×5, first 2 shown]
	v_fma_f32 v3, -v40, v38, v3
	v_fma_f32 v11, -v40, v18, v11
	v_add_u32_e32 v15, 0x80, v15
	s_cmp_lg_u32 s8, s18
	v_fma_f32 v12, -v41, v21, v12
	v_fma_f32 v13, -v41, v23, v13
	;; [unrolled: 1-line block ×12, first 2 shown]
	s_cbranch_scc1 .LBB16_37
	s_branch .LBB16_39
.LBB16_38:
	s_mov_b32 s8, 0
.LBB16_39:
	s_bitcmp0_b32 s9, 0
	s_cbranch_scc1 .LBB16_41
; %bb.40:
	s_add_i32 s9, s15, s8
	v_lshlrev_b32_e32 v15, 2, v0
	s_lshl_b32 s9, s9, 2
	v_lshl_or_b32 v15, s8, 6, v15
	v_mov_b32_e32 v22, s9
	ds_read2_b32 v[16:17], v22 offset1:16
	ds_read2_b32 v[18:19], v22 offset0:32 offset1:48
	ds_read_b32 v15, v15 offset:1024
	s_add_i32 s8, s16, s8
	s_lshl_b32 s8, s8, 2
	v_mov_b32_e32 v20, s8
	ds_read_b32 v23, v22 offset:640
	ds_read_b32 v24, v20
	s_waitcnt lgkmcnt(2)
	v_fma_f32 v12, -v15, v16, v12
	v_fma_f32 v13, -v15, v17, v13
	ds_read2_b32 v[16:17], v22 offset0:64 offset1:80
	v_fma_f32 v8, -v15, v18, v8
	ds_read2_b32 v[20:21], v22 offset0:96 offset1:112
	v_fma_f32 v9, -v15, v19, v9
	ds_read2_b32 v[18:19], v22 offset0:128 offset1:144
	s_waitcnt lgkmcnt(2)
	v_fma_f32 v4, -v15, v16, v4
	v_fma_f32 v5, -v15, v17, v5
	s_waitcnt lgkmcnt(1)
	v_fma_f32 v6, -v15, v20, v6
	v_fma_f32 v7, -v15, v21, v7
	;; [unrolled: 3-line block ×3, first 2 shown]
	v_fma_f32 v10, -v15, v23, v10
	v_fma_f32 v11, -v15, v24, v11
.LBB16_41:
	s_mul_i32 s8, s14, 0x44
	s_or_b32 s9, s15, 16
	v_mov_b32_e32 v17, s8
	s_add_i32 s8, s9, s14
	s_lshl_b32 s8, s8, 2
	v_mov_b32_e32 v18, s8
	s_or_b32 s8, s15, 32
	s_or_b32 s17, s8, s14
	s_lshl_b32 s17, s17, 2
	v_mov_b32_e32 v19, s17
	s_or_b32 s17, s15, 0xa0
	v_add_u32_e32 v16, 0x400, v14
	ds_read2_b32 v[14:15], v17 offset1:68
	s_or_b32 s18, s17, s14
	s_lshl_b32 s18, s18, 2
	ds_read_b64 v[22:23], v18
	ds_read_b96 v[26:28], v19
	v_mov_b32_e32 v33, s18
	ds_read_b128 v[18:21], v33
	s_waitcnt lgkmcnt(3)
	v_mul_f32_e32 v40, v12, v14
	s_waitcnt lgkmcnt(2)
	v_fma_f32 v12, -v40, v22, v13
	s_or_b32 s23, s15, 0x50
	v_mul_f32_e32 v41, v12, v23
	ds_read_b128 v[22:25], v33 offset:16
	s_or_b32 s18, s15, 48
	s_add_i32 s24, s23, s14
	s_add_i32 s16, s16, s14
	s_waitcnt lgkmcnt(1)
	v_pk_mul_f32 v[18:19], v[40:41], v[18:19]
	s_add_i32 s19, s18, s14
	s_lshl_b32 s24, s24, 2
	s_lshl_b32 s16, s16, 2
	v_sub_f32_e32 v14, v10, v18
	s_lshl_b32 s19, s19, 2
	v_mov_b32_e32 v52, s16
	v_mov_b32_e32 v18, s24
	s_or_b32 s16, s15, 0x70
	ds_read_b96 v[30:32], v52
	ds_read2_b32 v[42:43], v52 offset0:3 offset1:4
	ds_read_b96 v[34:36], v18
	v_mov_b32_e32 v10, s19
	s_add_i32 s19, s16, s14
	s_lshl_b32 s19, s19, 2
	v_mov_b32_e32 v54, s19
	s_or_b32 s19, s15, 0x90
	s_add_i32 s24, s19, s14
	s_lshl_b32 s24, s24, 2
	s_waitcnt lgkmcnt(2)
	v_fma_f32 v53, -v40, v30, v11
	ds_read_b128 v[10:13], v10
	s_waitcnt lgkmcnt(1)
	v_mov_b32_e32 v45, v36
	v_mov_b32_e32 v55, s24
	ds_read_b96 v[36:38], v54
	v_mov_b32_e32 v46, v31
	v_mov_b32_e32 v47, v32
	ds_read2_b32 v[48:49], v18 offset0:3 offset1:4
	ds_read_b96 v[30:32], v55
	v_pk_mul_f32 v[26:27], v[40:41], v[26:27]
	s_or_b32 s24, s15, 64
	v_mov_b32_e32 v44, v35
	s_or_b32 s25, s24, s14
	s_waitcnt lgkmcnt(0)
	v_mov_b32_e32 v35, v32
	v_fma_f32 v32, -v40, v36, v7
	v_fma_f32 v36, -v40, v30, v3
	v_sub_f32_e32 v3, v8, v26
	v_sub_f32_e32 v3, v3, v27
	s_lshl_b32 s25, s25, 2
	s_or_b32 s27, s15, 0x60
	v_mov_b32_e32 v50, v37
	v_fma_f32 v37, -v40, v34, v5
	v_mov_b32_e32 v34, v31
	v_mov_b32_e32 v26, v11
	;; [unrolled: 1-line block ×3, first 2 shown]
	s_or_b32 s28, s27, s14
	ds_write_b32 v1, v40
	v_mov_b32_e32 v1, s25
	v_mul_f32_e32 v31, v3, v28
	v_mov_b32_e32 v30, v41
	v_mov_b32_e32 v51, v38
	ds_read2_b32 v[38:39], v55 offset0:3 offset1:4
	s_lshl_b32 s28, s28, 2
	v_fma_f32 v5, -v40, v10, v9
	ds_read_b128 v[8:11], v1
	v_pk_mul_f32 v[26:27], v[30:31], v[26:27]
	v_mov_b32_e32 v18, s28
	v_sub_f32_e32 v1, v5, v26
	v_sub_f32_e32 v1, v1, v27
	ds_read_b128 v[26:29], v18
	s_waitcnt lgkmcnt(1)
	v_pk_mul_f32 v[8:9], v[40:41], v[8:9]
	v_sub_f32_e32 v3, v4, v8
	v_mul_f32_e32 v13, v1, v13
	v_sub_f32_e32 v1, v3, v9
	ds_read_b64 v[8:9], v33 offset:32
	s_waitcnt lgkmcnt(1)
	v_pk_mul_f32 v[4:5], v[40:41], v[26:27]
	s_bitset1_b32 s15, 7
	v_sub_f32_e32 v3, v6, v4
	v_or_b32_e32 v4, s9, v0
	s_or_b32 s9, s15, s14
	s_lshl_b32 s9, s9, 2
	v_lshlrev_b32_e32 v4, 2, v4
	v_mov_b32_e32 v26, s9
	ds_write_b32 v4, v41 offset:1024
	v_sub_f32_e32 v56, v3, v5
	ds_read_b128 v[4:7], v26
	v_sub_f32_e32 v58, v14, v19
	v_mov_b32_e32 v12, v31
	v_pk_mul_f32 v[10:11], v[12:13], v[10:11]
	v_pk_mul_f32 v[20:21], v[12:13], v[20:21]
	s_waitcnt lgkmcnt(0)
	v_pk_mul_f32 v[4:5], v[40:41], v[4:5]
	v_sub_f32_e32 v2, v2, v4
	v_sub_f32_e32 v57, v2, v5
	ds_read_b128 v[2:5], v26 offset:16
	ds_read_b64 v[18:19], v18 offset:16
	v_pk_mul_f32 v[26:27], v[30:31], v[44:45]
	v_sub_f32_e32 v14, v37, v26
	v_or_b32_e32 v26, s18, v0
	v_sub_f32_e32 v44, v14, v27
	v_lshlrev_b32_e32 v37, 2, v26
	v_pk_mul_f32 v[26:27], v[12:13], v[28:29]
	v_or_b32_e32 v28, s24, v0
	v_lshlrev_b32_e32 v45, 2, v28
	v_pk_mul_f32 v[28:29], v[30:31], v[50:51]
	v_or_b32_e32 v14, s8, v0
	v_sub_f32_e32 v28, v32, v28
	v_or_b32_e32 v32, s23, v0
	v_lshlrev_b32_e32 v14, 2, v14
	v_lshlrev_b32_e32 v51, 2, v32
	v_pk_mul_f32 v[6:7], v[12:13], v[6:7]
	v_or_b32_e32 v32, s27, v0
	v_or_b32_e32 v12, s19, v0
	v_lshlrev_b32_e32 v59, 2, v32
	v_pk_mul_f32 v[32:33], v[30:31], v[34:35]
	ds_write_b32 v14, v31 offset:1024
	v_pk_mul_f32 v[30:31], v[30:31], v[46:47]
	v_lshlrev_b32_e32 v46, 2, v12
	v_or_b32_e32 v12, s17, v0
	v_sub_f32_e32 v1, v1, v10
	v_sub_f32_e32 v50, v28, v29
	ds_read2_b32 v[28:29], v17 offset0:85 offset1:102
	v_sub_f32_e32 v32, v36, v32
	v_or_b32_e32 v34, s16, v0
	v_or_b32_e32 v14, s15, v0
	v_lshlrev_b32_e32 v47, 2, v12
	v_sub_f32_e32 v12, v53, v30
	ds_write_b32 v37, v13 offset:1024
	v_sub_f32_e32 v1, v1, v11
	v_sub_f32_e32 v60, v32, v33
	ds_read2_b32 v[32:33], v17 offset0:119 offset1:136
	v_lshlrev_b32_e32 v61, 2, v34
	v_lshlrev_b32_e32 v62, 2, v14
	ds_read2_b32 v[34:35], v17 offset0:153 offset1:170
	v_sub_f32_e32 v53, v12, v31
	ds_read2_b32 v[30:31], v55 offset0:7 offset1:8
	ds_read2_b32 v[36:37], v55 offset0:5 offset1:6
	v_mul_f32_e32 v11, v1, v15
	ds_read2_b32 v[14:15], v54 offset0:5 offset1:6
	ds_read2_b32 v[40:41], v54 offset0:3 offset1:4
	v_mov_b32_e32 v10, v13
	v_pk_mul_f32 v[12:13], v[10:11], v[48:49]
	v_sub_f32_e32 v12, v44, v12
	v_sub_f32_e32 v12, v12, v13
	;; [unrolled: 1-line block ×4, first 2 shown]
	s_waitcnt lgkmcnt(7)
	v_mul_f32_e32 v13, v12, v28
	v_mov_b32_e32 v12, v11
	v_sub_f32_e32 v1, v1, v27
	s_waitcnt lgkmcnt(0)
	v_pk_mul_f32 v[26:27], v[10:11], v[40:41]
	v_sub_f32_e32 v40, v6, v7
	v_pk_mul_f32 v[6:7], v[10:11], v[38:39]
	v_pk_mul_f32 v[18:19], v[12:13], v[18:19]
	v_sub_f32_e32 v20, v58, v20
	v_sub_f32_e32 v6, v60, v6
	ds_write_b32 v45, v11 offset:1024
	v_sub_f32_e32 v1, v1, v18
	v_pk_mul_f32 v[10:11], v[10:11], v[42:43]
	v_sub_f32_e32 v20, v20, v21
	v_sub_f32_e32 v21, v6, v7
	v_pk_mul_f32 v[6:7], v[12:13], v[22:23]
	v_sub_f32_e32 v10, v53, v10
	v_sub_f32_e32 v1, v1, v19
	;; [unrolled: 1-line block ×3, first 2 shown]
	v_pk_mul_f32 v[2:3], v[12:13], v[2:3]
	v_sub_f32_e32 v6, v20, v6
	v_sub_f32_e32 v20, v10, v11
	v_mul_f32_e32 v11, v1, v29
	v_mov_b32_e32 v10, v13
	v_sub_f32_e32 v18, v26, v27
	v_sub_f32_e32 v2, v40, v2
	ds_write_b32 v51, v13 offset:1024
	v_pk_mul_f32 v[12:13], v[10:11], v[14:15]
	v_sub_f32_e32 v1, v18, v12
	v_sub_f32_e32 v12, v2, v3
	v_pk_mul_f32 v[2:3], v[10:11], v[36:37]
	v_sub_f32_e32 v2, v21, v2
	v_sub_f32_e32 v21, v2, v3
	ds_read2_b32 v[2:3], v52 offset0:5 offset1:6
	v_sub_f32_e32 v1, v1, v13
	v_sub_f32_e32 v14, v6, v7
	v_mul_f32_e32 v7, v1, v32
	v_mov_b32_e32 v6, v11
	v_pk_mul_f32 v[4:5], v[6:7], v[4:5]
	v_sub_f32_e32 v1, v12, v4
	s_waitcnt lgkmcnt(0)
	v_pk_mul_f32 v[2:3], v[10:11], v[2:3]
	v_sub_f32_e32 v2, v20, v2
	v_sub_f32_e32 v1, v1, v5
	;; [unrolled: 1-line block ×3, first 2 shown]
	v_mul_f32_e32 v3, v1, v33
	v_mov_b32_e32 v2, v7
	ds_write_b32 v59, v11 offset:1024
	v_pk_mul_f32 v[12:13], v[6:7], v[24:25]
	v_pk_mul_f32 v[4:5], v[2:3], v[30:31]
	v_sub_f32_e32 v6, v14, v12
	ds_read2_b32 v[14:15], v52 offset0:7 offset1:8
	ds_read2_b32 v[18:19], v52 offset0:9 offset1:10
	v_sub_f32_e32 v1, v21, v4
	v_sub_f32_e32 v1, v1, v5
	v_mul_f32_e32 v5, v1, v34
	v_mov_b32_e32 v4, v3
	ds_write_b32 v61, v7 offset:1024
	v_sub_f32_e32 v11, v6, v13
	v_pk_mul_f32 v[6:7], v[4:5], v[8:9]
	ds_write_b32 v62, v3 offset:1024
	v_sub_f32_e32 v1, v11, v6
	s_waitcnt lgkmcnt(3)
	v_pk_mul_f32 v[2:3], v[2:3], v[14:15]
	v_sub_f32_e32 v2, v10, v2
	v_sub_f32_e32 v1, v1, v7
	;; [unrolled: 1-line block ×3, first 2 shown]
	v_mul_f32_e32 v3, v1, v35
	ds_read_b32 v1, v17 offset:748
	v_mov_b32_e32 v2, v5
	ds_write_b32 v47, v3 offset:1024
	s_waitcnt lgkmcnt(4)
	v_pk_mul_f32 v[2:3], v[2:3], v[18:19]
	v_sub_f32_e32 v2, v4, v2
	v_sub_f32_e32 v2, v2, v3
	s_waitcnt lgkmcnt(1)
	v_mul_f32_e32 v1, v2, v1
	s_or_b32 s14, s14, 12
	ds_write_b32 v46, v5 offset:1024
	ds_write_b32 v16, v1
.LBB16_42:
	s_cmp_ge_i32 s14, s26
	s_cbranch_scc1 .LBB16_53
; %bb.43:
	v_mov_b32_e32 v1, 0x400
	s_add_i32 s8, s14, -1
	v_lshl_or_b32 v1, v0, 2, v1
	s_lshl_b32 s9, s14, 6
	s_mov_b32 s15, 0
	v_lshlrev_b32_e32 v3, 2, v0
	s_mov_b32 s16, s14
	s_branch .LBB16_45
.LBB16_44:                              ;   in Loop: Header=BB16_45 Depth=1
	s_mul_i32 s17, s14, 0x44
	v_mov_b32_e32 v5, s17
	ds_read_b32 v5, v5
	s_add_i32 s14, s14, 1
	s_add_i32 s15, s15, 1
	;; [unrolled: 1-line block ×3, first 2 shown]
	v_add_u16_e64 v6, s16, 1
	v_add_u32_e32 v4, 0x400, v4
	s_waitcnt lgkmcnt(0)
	v_mul_f32_e32 v2, v2, v5
	s_cmp_ge_i32 s14, s26
	v_readfirstlane_b32 s16, v6
	ds_write_b32 v4, v2
	s_cbranch_scc1 .LBB16_53
.LBB16_45:                              ; =>This Loop Header: Depth=1
                                        ;     Child Loop BB16_48 Depth 2
                                        ;     Child Loop BB16_52 Depth 2
	v_lshl_or_b32 v4, s14, 6, v3
	ds_read_b32 v2, v4 offset:1024
	s_cmp_eq_u32 s14, 0
	s_cbranch_scc1 .LBB16_44
; %bb.46:                               ;   in Loop: Header=BB16_45 Depth=1
	s_add_i32 s17, s8, s15
	s_cmp_lt_u32 s17, 7
	s_cbranch_scc1 .LBB16_50
; %bb.47:                               ;   in Loop: Header=BB16_45 Depth=1
	s_and_b32 s17, s14, -8
	s_mov_b32 s18, 0
	s_mov_b32 s19, s9
	v_mov_b32_e32 v5, v1
.LBB16_48:                              ;   Parent Loop BB16_45 Depth=1
                                        ; =>  This Inner Loop Header: Depth=2
	v_mov_b32_e32 v10, s19
	ds_read2_b32 v[14:15], v5 offset1:16
	ds_read2_b32 v[16:17], v5 offset0:32 offset1:48
	ds_read2_b32 v[18:19], v5 offset0:64 offset1:80
	ds_read2_b32 v[20:21], v5 offset0:96 offset1:112
	ds_read_b128 v[6:9], v10
	ds_read_b128 v[10:13], v10 offset:16
	s_add_i32 s18, s18, 8
	s_add_i32 s19, s19, 32
	v_add_u32_e32 v5, 0x200, v5
	s_waitcnt lgkmcnt(1)
	v_fma_f32 v2, -v14, v6, v2
	v_fma_f32 v2, -v15, v7, v2
	;; [unrolled: 1-line block ×4, first 2 shown]
	s_waitcnt lgkmcnt(0)
	v_fma_f32 v2, -v18, v10, v2
	v_fma_f32 v2, -v19, v11, v2
	;; [unrolled: 1-line block ×3, first 2 shown]
	s_cmp_lg_u32 s17, s18
	v_fma_f32 v2, -v21, v13, v2
	s_cbranch_scc1 .LBB16_48
; %bb.49:                               ;   in Loop: Header=BB16_45 Depth=1
	s_and_b32 s18, s14, 7
	s_cmp_eq_u32 s18, 0
	s_cbranch_scc0 .LBB16_51
	s_branch .LBB16_44
.LBB16_50:                              ;   in Loop: Header=BB16_45 Depth=1
	s_mov_b32 s17, 0
	s_and_b32 s18, s14, 7
	s_cmp_eq_u32 s18, 0
	s_cbranch_scc1 .LBB16_44
.LBB16_51:                              ;   in Loop: Header=BB16_45 Depth=1
	s_and_b32 s18, s16, 7
	s_lshl_b32 s19, s17, 2
	v_lshl_add_u32 v5, s17, 6, v1
.LBB16_52:                              ;   Parent Loop BB16_45 Depth=1
                                        ; =>  This Inner Loop Header: Depth=2
	s_add_i32 s17, s9, s19
	v_mov_b32_e32 v7, s17
	ds_read_b32 v6, v5
	ds_read_b32 v7, v7
	s_add_i32 s19, s19, 4
	s_add_i32 s18, s18, -1
	v_add_u32_e32 v5, 64, v5
	s_cmp_lg_u32 s18, 0
	s_waitcnt lgkmcnt(0)
	v_fma_f32 v2, -v6, v7, v2
	s_cbranch_scc1 .LBB16_52
	s_branch .LBB16_44
.LBB16_53:
	s_mov_b64 s[8:9], 0
.LBB16_54:
	s_and_b64 vcc, exec, s[8:9]
	s_cbranch_vccz .LBB16_76
; %bb.55:
	s_add_i32 s8, s26, -1
	s_cmp_gt_i32 s10, 15
	s_cbranch_scc0 .LBB16_57
; %bb.56:
	s_lshl_b32 s23, s8, 4
	s_lshl_b32 s24, s26, 4
	v_or_b32_e32 v1, s23, v0
	s_sub_i32 s9, s24, 32
	s_sub_i32 s19, s24, 48
	v_lshlrev_b32_e32 v6, 2, v1
	v_or_b32_e32 v1, s9, v0
	v_or_b32_e32 v2, s19, v0
	s_sub_i32 s9, s24, 64
	s_add_i32 s18, s24, 0xffffffb0
	v_lshlrev_b32_e32 v9, 2, v2
	v_or_b32_e32 v2, s9, v0
	v_or_b32_e32 v3, s18, v0
	s_add_i32 s9, s24, 0xffffffa0
	s_add_i32 s16, s24, 0xffffff90
	v_lshlrev_b32_e32 v20, 2, v3
	v_or_b32_e32 v3, s9, v0
	v_or_b32_e32 v4, s16, v0
	s_add_i32 s9, s24, 0xffffff80
	v_lshlrev_b32_e32 v1, 2, v1
	v_lshlrev_b32_e32 v24, 2, v4
	v_or_b32_e32 v4, s9, v0
	s_add_i32 s17, s24, 0xffffff70
	v_lshlrev_b32_e32 v2, 2, v2
	v_lshlrev_b32_e32 v3, 2, v3
	;; [unrolled: 1-line block ×3, first 2 shown]
	ds_read_b32 v14, v6 offset:1024
	ds_read_b32 v15, v1 offset:1024
	;; [unrolled: 1-line block ×8, first 2 shown]
	v_or_b32_e32 v1, s17, v0
	s_add_i32 s9, s24, 0xffffff60
	v_lshlrev_b32_e32 v28, 2, v1
	v_or_b32_e32 v1, s9, v0
	s_add_i32 s15, s24, 0xffffff50
	v_lshlrev_b32_e32 v2, 2, v1
	;; [unrolled: 3-line block ×5, first 2 shown]
	v_or_b32_e32 v1, s9, v0
	s_add_i32 s9, s24, 0xffffff10
	s_addk_i32 s24, 0xff00
	v_or_b32_e32 v5, s24, v0
	s_add_i32 s24, s26, -2
	s_add_i32 s25, s24, s23
	v_lshlrev_b32_e32 v4, 2, v1
	v_or_b32_e32 v1, s9, v0
	s_mul_i32 s29, s8, 0x44
	s_lshl_b32 s25, s25, 2
	v_lshlrev_b32_e32 v1, 2, v1
	v_lshlrev_b32_e32 v5, 2, v5
	ds_read_b32 v27, v28 offset:1024
	ds_read_b32 v29, v2 offset:1024
	;; [unrolled: 1-line block ×8, first 2 shown]
	v_mov_b32_e32 v3, s25
	s_add_i32 s25, s29, 0xffffffbc
	v_mov_b32_e32 v10, s25
	s_add_i32 s25, s26, -4
	s_add_i32 s27, s25, s23
	ds_read2_b32 v[4:5], v3 offset1:1
	s_lshl_b32 s24, s24, 4
	s_lshl_b32 s27, s27, 2
	v_mov_b32_e32 v11, s27
	s_add_i32 s27, s25, s24
	s_lshl_b32 s27, s27, 2
	v_mov_b32_e32 v3, s27
	ds_read_b32 v17, v10
	ds_read2_b32 v[10:11], v11 offset1:1
	ds_read2_b32 v[12:13], v3 offset1:1
	s_waitcnt lgkmcnt(3)
	v_mul_f32_e32 v3, v14, v5
	s_add_i32 s27, s25, s19
	v_fma_f32 v4, -v3, v4, v15
	v_or_b32_e32 v5, s24, v0
	s_lshl_b32 s27, s27, 2
	ds_write_b32 v6, v3 offset:1024
	s_waitcnt lgkmcnt(3)
	v_mul_f32_e32 v4, v4, v17
	v_lshlrev_b32_e32 v5, 2, v5
	v_mov_b32_e32 v6, s27
	s_add_i32 s27, s29, 0xffffff34
	ds_write_b32 v5, v4 offset:1024
	s_waitcnt lgkmcnt(3)
	v_fma_f32 v5, -v3, v11, v16
	v_mov_b32_e32 v11, s27
	s_add_i32 s27, s26, -6
	s_add_i32 s28, s27, s23
	s_lshl_b32 s28, s28, 2
	s_waitcnt lgkmcnt(2)
	v_fma_f32 v5, -v4, v13, v5
	v_mov_b32_e32 v13, s28
	s_add_i32 s28, s27, s24
	ds_read2_b32 v[14:15], v6 offset1:1
	s_lshl_b32 s28, s28, 2
	v_mov_b32_e32 v6, s28
	s_add_i32 s28, s27, s19
	s_lshl_b32 s25, s25, 4
	s_lshl_b32 s28, s28, 2
	ds_read_b32 v11, v11
	ds_read2_b32 v[16:17], v13 offset1:1
	ds_read2_b32 v[18:19], v6 offset1:1
	v_fma_f32 v6, -v3, v10, v21
	v_mov_b32_e32 v10, s28
	s_add_i32 s28, s27, s25
	s_waitcnt lgkmcnt(3)
	v_mul_f32_e32 v5, v5, v15
	v_fma_f32 v6, -v4, v12, v6
	s_lshl_b32 s28, s28, 2
	ds_write_b32 v9, v5 offset:1024
	v_fma_f32 v6, -v5, v14, v6
	v_or_b32_e32 v9, s25, v0
	v_mov_b32_e32 v12, s28
	s_add_i32 s28, s27, s18
	s_waitcnt lgkmcnt(3)
	v_mul_f32_e32 v6, v6, v11
	v_lshlrev_b32_e32 v9, 2, v9
	s_lshl_b32 s28, s28, 2
	ds_write_b32 v9, v6 offset:1024
	v_mov_b32_e32 v14, s28
	ds_read2_b32 v[10:11], v10 offset1:1
	ds_read2_b32 v[12:13], v12 offset1:1
	;; [unrolled: 1-line block ×3, first 2 shown]
	s_waitcnt lgkmcnt(6)
	v_fma_f32 v9, -v3, v17, v22
	s_add_i32 s28, s29, 0xfffffeac
	s_waitcnt lgkmcnt(5)
	v_fma_f32 v9, -v4, v19, v9
	v_mov_b32_e32 v17, s28
	ds_read_b32 v17, v17
	s_waitcnt lgkmcnt(3)
	v_fma_f32 v9, -v5, v11, v9
	v_fma_f32 v11, -v3, v16, v23
	;; [unrolled: 1-line block ×3, first 2 shown]
	s_waitcnt lgkmcnt(2)
	v_fma_f32 v9, -v6, v13, v9
	v_fma_f32 v10, -v5, v10, v11
	s_waitcnt lgkmcnt(1)
	v_mul_f32_e32 v9, v9, v15
	v_fma_f32 v10, -v6, v12, v10
	s_lshl_b32 s27, s27, 4
	s_add_i32 s28, s26, -8
	v_fma_f32 v10, -v9, v14, v10
	v_or_b32_e32 v11, s27, v0
	s_add_i32 s30, s28, s23
	s_waitcnt lgkmcnt(0)
	v_mul_f32_e32 v10, v10, v17
	v_lshlrev_b32_e32 v11, 2, v11
	s_lshl_b32 s30, s30, 2
	ds_write_b32 v11, v10 offset:1024
	v_mov_b32_e32 v11, s30
	s_add_i32 s30, s28, s24
	s_lshl_b32 s30, s30, 2
	v_mov_b32_e32 v14, s30
	s_add_i32 s30, s28, s19
	ds_write_b32 v20, v9 offset:1024
	s_lshl_b32 s30, s30, 2
	v_mov_b32_e32 v16, s30
	s_add_i32 s30, s28, s25
	ds_read2_b32 v[12:13], v11 offset1:1
	ds_read2_b32 v[14:15], v14 offset1:1
	s_lshl_b32 s30, s30, 2
	v_mov_b32_e32 v11, s30
	s_add_i32 s30, s28, s18
	s_lshl_b32 s30, s30, 2
	ds_read2_b32 v[16:17], v16 offset1:1
	ds_read2_b32 v[18:19], v11 offset1:1
	s_waitcnt lgkmcnt(3)
	v_fma_f32 v11, -v3, v13, v25
	v_mov_b32_e32 v13, s30
	s_add_i32 s30, s28, s27
	s_lshl_b32 s30, s30, 2
	s_waitcnt lgkmcnt(2)
	v_fma_f32 v11, -v4, v15, v11
	v_mov_b32_e32 v15, s30
	s_add_i32 s30, s29, 0xfffffe68
	ds_read2_b32 v[20:21], v13 offset1:1
	ds_read2_b32 v[22:23], v15 offset1:1
	v_mov_b32_e32 v13, s30
	ds_read_b32 v13, v13
	s_waitcnt lgkmcnt(4)
	v_fma_f32 v11, -v5, v17, v11
	s_waitcnt lgkmcnt(3)
	v_fma_f32 v11, -v6, v19, v11
	;; [unrolled: 2-line block ×3, first 2 shown]
	s_add_i32 s30, s28, s16
	s_waitcnt lgkmcnt(1)
	v_fma_f32 v11, -v10, v23, v11
	s_lshl_b32 s30, s30, 2
	s_waitcnt lgkmcnt(0)
	v_mul_f32_e32 v11, v11, v13
	v_fma_f32 v12, -v3, v12, v26
	v_mov_b32_e32 v13, s30
	s_add_i32 s30, s29, 0xfffffe24
	v_fma_f32 v12, -v4, v14, v12
	ds_read_b32 v13, v13
	v_mov_b32_e32 v14, s30
	v_fma_f32 v12, -v5, v16, v12
	ds_read_b32 v14, v14
	v_fma_f32 v12, -v6, v18, v12
	v_fma_f32 v12, -v9, v20, v12
	;; [unrolled: 1-line block ×3, first 2 shown]
	s_add_i32 s30, s26, -10
	s_waitcnt lgkmcnt(1)
	v_fma_f32 v12, -v11, v13, v12
	s_lshl_b32 s28, s28, 4
	s_add_i32 s31, s30, s23
	s_waitcnt lgkmcnt(0)
	v_mul_f32_e32 v43, v12, v14
	v_or_b32_e32 v12, s28, v0
	s_lshl_b32 s31, s31, 2
	v_lshlrev_b32_e32 v20, 2, v12
	v_mov_b32_e32 v12, s31
	s_add_i32 s31, s30, s24
	s_lshl_b32 s31, s31, 2
	v_mov_b32_e32 v14, s31
	s_add_i32 s31, s30, s19
	s_lshl_b32 s31, s31, 2
	;; [unrolled: 3-line block ×3, first 2 shown]
	ds_write_b32 v24, v11 offset:1024
	v_mov_b32_e32 v18, s31
	ds_read2_b32 v[12:13], v12 offset1:1
	ds_read2_b32 v[14:15], v14 offset1:1
	;; [unrolled: 1-line block ×4, first 2 shown]
	s_add_i32 s31, s30, s18
	s_waitcnt lgkmcnt(3)
	v_fma_f32 v13, -v3, v13, v27
	s_lshl_b32 s31, s31, 2
	s_waitcnt lgkmcnt(2)
	v_fma_f32 v13, -v4, v15, v13
	v_mov_b32_e32 v15, s31
	s_add_i32 s31, s30, s27
	s_lshl_b32 s31, s31, 2
	s_waitcnt lgkmcnt(1)
	v_fma_f32 v13, -v5, v17, v13
	v_mov_b32_e32 v17, s31
	s_add_i32 s31, s30, s16
	;; [unrolled: 5-line block ×3, first 2 shown]
	s_lshl_b32 s31, s31, 2
	ds_write_b32 v20, v43 offset:1024
	v_mov_b32_e32 v26, s31
	s_add_i32 s31, s29, 0xfffffde0
	ds_read2_b32 v[20:21], v15 offset1:1
	ds_read2_b32 v[22:23], v17 offset1:1
	;; [unrolled: 1-line block ×4, first 2 shown]
	v_mov_b32_e32 v15, s31
	ds_read_b32 v15, v15
	s_waitcnt lgkmcnt(4)
	v_fma_f32 v13, -v9, v21, v13
	s_waitcnt lgkmcnt(3)
	v_fma_f32 v13, -v10, v23, v13
	;; [unrolled: 2-line block ×3, first 2 shown]
	v_fma_f32 v12, -v3, v12, v29
	s_add_i32 s31, s30, s17
	s_waitcnt lgkmcnt(1)
	v_fma_f32 v13, -v43, v27, v13
	v_fma_f32 v12, -v4, v14, v12
	s_lshl_b32 s31, s31, 2
	s_waitcnt lgkmcnt(0)
	v_mul_f32_e32 v44, v13, v15
	v_fma_f32 v12, -v5, v16, v12
	v_mov_b32_e32 v13, s31
	s_addk_i32 s29, 0xfd9c
	v_fma_f32 v12, -v6, v18, v12
	ds_read_b32 v13, v13
	v_mov_b32_e32 v14, s29
	v_fma_f32 v12, -v9, v20, v12
	ds_read_b32 v14, v14
	v_fma_f32 v12, -v10, v22, v12
	v_fma_f32 v12, -v11, v24, v12
	;; [unrolled: 1-line block ×3, first 2 shown]
	s_waitcnt lgkmcnt(1)
	v_fma_f32 v12, -v44, v13, v12
	s_lshl_b32 s29, s30, 4
	s_add_i32 s31, s26, -12
	s_waitcnt lgkmcnt(0)
	v_mul_f32_e32 v45, v12, v14
	v_or_b32_e32 v12, s29, v0
	s_add_i32 s30, s31, s23
	v_lshlrev_b32_e32 v12, 2, v12
	s_lshl_b32 s30, s30, 2
	ds_write_b32 v12, v45 offset:1024
	v_mov_b32_e32 v12, s30
	s_add_i32 s30, s31, s24
	s_lshl_b32 s30, s30, 2
	v_mov_b32_e32 v14, s30
	s_add_i32 s30, s31, s19
	s_lshl_b32 s30, s30, 2
	ds_write_b32 v28, v44 offset:1024
	v_mov_b32_e32 v16, s30
	s_add_i32 s30, s31, s25
	ds_read2_b32 v[12:13], v12 offset1:1
	ds_read2_b32 v[14:15], v14 offset1:1
	ds_read2_b32 v[16:17], v16 offset1:1
	s_lshl_b32 s30, s30, 2
	v_mov_b32_e32 v18, s30
	s_add_i32 s30, s31, s18
	s_waitcnt lgkmcnt(2)
	v_fma_f32 v13, -v3, v13, v30
	s_lshl_b32 s30, s30, 2
	s_waitcnt lgkmcnt(1)
	v_fma_f32 v13, -v4, v15, v13
	v_mov_b32_e32 v15, s30
	s_add_i32 s30, s31, s27
	s_lshl_b32 s30, s30, 2
	s_waitcnt lgkmcnt(0)
	v_fma_f32 v13, -v5, v17, v13
	v_mov_b32_e32 v17, s30
	s_add_i32 s30, s31, s16
	s_lshl_b32 s30, s30, 2
	v_mov_b32_e32 v24, s30
	s_add_i32 s30, s31, s28
	s_lshl_b32 s30, s30, 2
	ds_read2_b32 v[18:19], v18 offset1:1
	v_mov_b32_e32 v26, s30
	s_add_i32 s30, s31, s17
	s_lshl_b32 s30, s30, 2
	ds_read2_b32 v[20:21], v15 offset1:1
	ds_read2_b32 v[22:23], v17 offset1:1
	;; [unrolled: 1-line block ×4, first 2 shown]
	v_mov_b32_e32 v15, s30
	s_add_i32 s30, s31, s29
	s_lshl_b32 s30, s30, 2
	v_fma_f32 v12, -v3, v12, v35
	v_mov_b32_e32 v17, s30
	s_add_i32 s30, s31, s15
	v_fma_f32 v12, -v4, v14, v12
	s_waitcnt lgkmcnt(4)
	v_fma_f32 v13, -v6, v19, v13
	s_lshl_b32 s30, s30, 2
	v_fma_f32 v12, -v5, v16, v12
	s_waitcnt lgkmcnt(3)
	v_fma_f32 v13, -v9, v21, v13
	v_mov_b32_e32 v19, s30
	s_mul_i32 s30, s26, 0x44
	v_fma_f32 v12, -v6, v18, v12
	s_waitcnt lgkmcnt(2)
	v_fma_f32 v13, -v10, v23, v13
	s_add_i32 s33, s30, 0xfffffcd0
	ds_read2_b32 v[28:29], v15 offset1:1
	ds_read2_b32 v[30:31], v17 offset1:1
	;; [unrolled: 1-line block ×3, first 2 shown]
	v_fma_f32 v12, -v9, v20, v12
	s_waitcnt lgkmcnt(4)
	v_fma_f32 v13, -v11, v25, v13
	v_mov_b32_e32 v15, s33
	v_fma_f32 v12, -v10, v22, v12
	s_waitcnt lgkmcnt(3)
	v_fma_f32 v13, -v43, v27, v13
	ds_read_b32 v15, v15
	v_fma_f32 v12, -v11, v24, v12
	s_waitcnt lgkmcnt(3)
	v_fma_f32 v13, -v44, v29, v13
	v_fma_f32 v12, -v43, v26, v12
	s_waitcnt lgkmcnt(2)
	v_fma_f32 v13, -v45, v31, v13
	v_fma_f32 v12, -v44, v28, v12
	s_waitcnt lgkmcnt(1)
	v_mul_f32_e32 v46, v13, v33
	v_fma_f32 v12, -v45, v30, v12
	s_add_i32 s33, s26, -14
	v_fma_f32 v12, -v46, v32, v12
	s_lshl_b32 s31, s31, 4
	s_add_i32 s34, s33, s23
	s_waitcnt lgkmcnt(0)
	v_mul_f32_e32 v47, v12, v15
	v_or_b32_e32 v12, s31, v0
	s_lshl_b32 s34, s34, 2
	v_lshlrev_b32_e32 v20, 2, v12
	v_mov_b32_e32 v12, s34
	s_add_i32 s34, s33, s24
	s_lshl_b32 s34, s34, 2
	v_mov_b32_e32 v14, s34
	s_add_i32 s34, s33, s19
	s_lshl_b32 s34, s34, 2
	;; [unrolled: 3-line block ×3, first 2 shown]
	ds_write_b32 v34, v46 offset:1024
	v_mov_b32_e32 v18, s34
	ds_read2_b32 v[12:13], v12 offset1:1
	ds_read2_b32 v[14:15], v14 offset1:1
	;; [unrolled: 1-line block ×4, first 2 shown]
	s_add_i32 s34, s33, s18
	s_waitcnt lgkmcnt(3)
	v_fma_f32 v13, -v3, v13, v36
	s_lshl_b32 s34, s34, 2
	s_waitcnt lgkmcnt(2)
	v_fma_f32 v13, -v4, v15, v13
	v_mov_b32_e32 v15, s34
	s_add_i32 s34, s33, s27
	s_lshl_b32 s34, s34, 2
	s_waitcnt lgkmcnt(1)
	v_fma_f32 v13, -v5, v17, v13
	v_mov_b32_e32 v17, s34
	s_add_i32 s34, s33, s16
	;; [unrolled: 5-line block ×3, first 2 shown]
	ds_write_b32 v20, v47 offset:1024
	s_lshl_b32 s34, s34, 2
	ds_read2_b32 v[20:21], v15 offset1:1
	ds_read2_b32 v[22:23], v17 offset1:1
	;; [unrolled: 1-line block ×3, first 2 shown]
	v_mov_b32_e32 v15, s34
	s_add_i32 s34, s33, s17
	s_lshl_b32 s34, s34, 2
	ds_read2_b32 v[26:27], v15 offset1:1
	v_mov_b32_e32 v15, s34
	s_add_i32 s34, s33, s29
	s_lshl_b32 s34, s34, 2
	v_mov_b32_e32 v17, s34
	s_add_i32 s34, s33, s15
	s_lshl_b32 s34, s34, 2
	v_mov_b32_e32 v19, s34
	s_add_i32 s34, s33, s31
	s_lshl_b32 s34, s34, 2
	s_waitcnt lgkmcnt(3)
	v_fma_f32 v13, -v9, v21, v13
	v_mov_b32_e32 v21, s34
	s_add_i32 s34, s33, s14
	s_waitcnt lgkmcnt(2)
	v_fma_f32 v13, -v10, v23, v13
	s_lshl_b32 s34, s34, 2
	s_waitcnt lgkmcnt(1)
	v_fma_f32 v13, -v11, v25, v13
	ds_read2_b32 v[28:29], v15 offset1:1
	ds_read2_b32 v[30:31], v17 offset1:1
	;; [unrolled: 1-line block ×4, first 2 shown]
	v_mov_b32_e32 v15, s34
	s_waitcnt lgkmcnt(4)
	v_fma_f32 v13, -v43, v27, v13
	s_add_i32 s34, s30, 0xfffffc48
	ds_read2_b32 v[36:37], v15 offset1:1
	s_waitcnt lgkmcnt(4)
	v_fma_f32 v13, -v44, v29, v13
	v_mov_b32_e32 v17, s34
	s_add_i32 s34, s26, -16
	s_waitcnt lgkmcnt(3)
	v_fma_f32 v13, -v45, v31, v13
	s_add_i32 s23, s34, s23
	s_waitcnt lgkmcnt(2)
	v_fma_f32 v13, -v46, v33, v13
	s_lshl_b32 s23, s23, 2
	s_waitcnt lgkmcnt(1)
	v_fma_f32 v13, -v47, v35, v13
	v_mov_b32_e32 v19, s23
	s_add_i32 s23, s34, s24
	s_lshl_b32 s23, s23, 2
	s_waitcnt lgkmcnt(0)
	v_mul_f32_e32 v48, v13, v37
	v_mov_b32_e32 v15, s23
	ds_read_b32 v17, v17
	ds_read2_b32 v[38:39], v19 offset1:1
	ds_read2_b32 v[40:41], v15 offset1:1
	ds_write_b32 v7, v48 offset:1024
	v_fma_f32 v7, -v3, v12, v42
	v_fma_f32 v7, -v4, v14, v7
	;; [unrolled: 1-line block ×12, first 2 shown]
	s_lshl_b32 s23, s33, 4
	v_fma_f32 v7, -v48, v36, v7
	v_or_b32_e32 v12, s23, v0
	s_add_i32 s19, s34, s19
	s_waitcnt lgkmcnt(3)
	v_mul_f32_e32 v7, v7, v17
	v_lshlrev_b32_e32 v12, 2, v12
	s_lshl_b32 s19, s19, 2
	ds_write_b32 v12, v7 offset:1024
	v_mov_b32_e32 v12, s19
	s_add_i32 s19, s34, s25
	s_add_i32 s18, s34, s18
	s_lshl_b32 s19, s19, 2
	s_lshl_b32 s18, s18, 2
	v_mov_b32_e32 v14, s19
	v_mov_b32_e32 v16, s18
	ds_read2_b32 v[12:13], v12 offset1:1
	ds_read2_b32 v[14:15], v14 offset1:1
	;; [unrolled: 1-line block ×3, first 2 shown]
	s_waitcnt lgkmcnt(6)
	v_fma_f32 v8, -v3, v39, v8
	s_add_i32 s16, s34, s16
	s_waitcnt lgkmcnt(5)
	v_fma_f32 v8, -v4, v41, v8
	s_lshl_b32 s16, s16, 2
	s_add_i32 s18, s34, s27
	s_waitcnt lgkmcnt(2)
	v_fma_f32 v8, -v5, v13, v8
	v_mov_b32_e32 v13, s16
	s_add_i32 s16, s34, s28
	s_lshl_b32 s18, s18, 2
	s_lshl_b32 s16, s16, 2
	v_mov_b32_e32 v18, s18
	s_waitcnt lgkmcnt(1)
	v_fma_f32 v8, -v6, v15, v8
	v_mov_b32_e32 v15, s16
	s_add_i32 s16, s34, s17
	ds_read2_b32 v[18:19], v18 offset1:1
	s_lshl_b32 s16, s16, 2
	s_waitcnt lgkmcnt(1)
	v_fma_f32 v8, -v9, v17, v8
	v_mov_b32_e32 v17, s16
	s_add_i32 s16, s34, s29
	s_lshl_b32 s16, s16, 2
	v_mov_b32_e32 v26, s16
	s_add_i32 s15, s34, s15
	s_add_i32 s14, s34, s14
	ds_read2_b32 v[20:21], v13 offset1:1
	ds_read2_b32 v[22:23], v15 offset1:1
	;; [unrolled: 1-line block ×4, first 2 shown]
	s_lshl_b32 s15, s15, 2
	s_lshl_b32 s14, s14, 2
	s_waitcnt lgkmcnt(4)
	v_fma_f32 v8, -v10, v19, v8
	v_mov_b32_e32 v13, s15
	s_add_i32 s15, s34, s31
	v_mov_b32_e32 v17, s14
	s_add_i32 s14, s34, s23
	s_waitcnt lgkmcnt(3)
	v_fma_f32 v8, -v11, v21, v8
	s_lshl_b32 s15, s15, 2
	s_lshl_b32 s14, s14, 2
	s_add_i32 s9, s34, s9
	s_waitcnt lgkmcnt(2)
	v_fma_f32 v8, -v43, v23, v8
	v_mov_b32_e32 v15, s15
	ds_read2_b32 v[28:29], v13 offset1:1
	ds_read2_b32 v[30:31], v15 offset1:1
	;; [unrolled: 1-line block ×3, first 2 shown]
	v_mov_b32_e32 v13, s14
	s_lshl_b32 s9, s9, 2
	s_waitcnt lgkmcnt(4)
	v_fma_f32 v8, -v44, v25, v8
	ds_read2_b32 v[34:35], v13 offset1:1
	v_mov_b32_e32 v13, s9
	s_waitcnt lgkmcnt(4)
	v_fma_f32 v8, -v45, v27, v8
	ds_read2_b32 v[36:37], v13 offset1:1
	s_waitcnt lgkmcnt(4)
	v_fma_f32 v8, -v46, v29, v8
	s_waitcnt lgkmcnt(3)
	v_fma_f32 v8, -v47, v31, v8
	;; [unrolled: 2-line block ×4, first 2 shown]
	s_waitcnt lgkmcnt(0)
	v_mul_f32_e32 v8, v8, v37
	ds_write_b32 v1, v8 offset:1024
	v_fma_f32 v1, -v3, v38, v2
	v_fma_f32 v1, -v4, v40, v1
	;; [unrolled: 1-line block ×8, first 2 shown]
	s_add_i32 s9, s30, 0xfffffbc0
	v_fma_f32 v1, -v44, v24, v1
	v_mov_b32_e32 v13, s9
	v_fma_f32 v1, -v45, v26, v1
	ds_read_b32 v13, v13
	v_fma_f32 v1, -v46, v28, v1
	v_fma_f32 v1, -v47, v30, v1
	v_fma_f32 v1, -v48, v32, v1
	v_fma_f32 v1, -v7, v34, v1
	v_fma_f32 v1, -v8, v36, v1
	v_lshlrev_b32_e32 v2, 2, v0
	s_waitcnt lgkmcnt(0)
	v_mul_f32_e32 v1, v1, v13
	v_lshl_or_b32 v2, s34, 6, v2
	s_sub_i32 s9, s26, 17
	ds_write_b32 v2, v1 offset:1024
	s_cmp_gt_i32 s9, -1
	s_cbranch_scc1 .LBB16_58
	s_branch .LBB16_76
.LBB16_57:
	s_mov_b32 s9, s8
	s_cmp_gt_i32 s9, -1
	s_cbranch_scc0 .LBB16_76
.LBB16_58:
	s_cmp_lt_u32 s9, 11
	s_cbranch_scc1 .LBB16_63
; %bb.59:
	s_lshl_b32 s14, s9, 4
	v_or_b32_e32 v1, s14, v0
	v_lshlrev_b32_e32 v1, 2, v1
	v_add_u32_e32 v4, 0x200, v1
	ds_read2_b32 v[2:3], v1 offset0:208 offset1:224
	ds_read2_b32 v[4:5], v4 offset0:112 offset1:128
	;; [unrolled: 1-line block ×5, first 2 shown]
	s_waitcnt lgkmcnt(4)
	v_mov_b32_e32 v10, v3
	v_mov_b32_e32 v11, v2
	ds_read2_b32 v[2:3], v1 offset0:144 offset1:160
	s_waitcnt lgkmcnt(4)
	v_mov_b32_e32 v12, v5
	v_mov_b32_e32 v13, v4
	s_waitcnt lgkmcnt(3)
	v_mov_b32_e32 v8, v7
	v_mov_b32_e32 v9, v6
	;; [unrolled: 3-line block ×3, first 2 shown]
	v_mov_b32_e32 v4, v15
	v_mov_b32_e32 v5, v14
	;; [unrolled: 1-line block ×3, first 2 shown]
	s_cmp_le_i32 s8, s9
	v_mov_b32_e32 v3, v16
	s_cbranch_scc1 .LBB16_62
; %bb.60:
	s_lshl_b32 s16, s26, 6
	s_lshl_b32 s15, s9, 2
	s_add_i32 s15, s16, s15
	v_lshl_or_b32 v14, v0, 2, s16
	s_addk_i32 s15, 0xff94
	v_add_u32_e32 v14, 0x3c0, v14
	s_mov_b32 s16, s8
.LBB16_61:                              ; =>This Inner Loop Header: Depth=1
	v_mov_b32_e32 v15, s15
	ds_read_b32 v16, v14
	ds_read2_b32 v[18:19], v15 offset0:10 offset1:11
	ds_read2_b32 v[20:21], v15 offset0:8 offset1:9
	;; [unrolled: 1-line block ×5, first 2 shown]
	ds_read2_b32 v[28:29], v15 offset1:1
	s_add_i32 s16, s16, -1
	s_sub_i32 s15, s15, 64
	v_subrev_u32_e32 v14, 64, v14
	s_waitcnt lgkmcnt(5)
	v_pk_mul_f32 v[18:19], v[16:17], v[18:19] op_sel_hi:[0,1]
	s_waitcnt lgkmcnt(4)
	v_pk_mul_f32 v[20:21], v[16:17], v[20:21] op_sel_hi:[0,1]
	s_waitcnt lgkmcnt(3)
	v_pk_mul_f32 v[22:23], v[16:17], v[22:23] op_sel_hi:[0,1]
	s_waitcnt lgkmcnt(2)
	v_pk_mul_f32 v[24:25], v[16:17], v[24:25] op_sel_hi:[0,1]
	s_waitcnt lgkmcnt(1)
	v_pk_mul_f32 v[26:27], v[16:17], v[26:27] op_sel_hi:[0,1]
	s_waitcnt lgkmcnt(0)
	v_pk_mul_f32 v[16:17], v[16:17], v[28:29] op_sel_hi:[0,1]
	s_cmp_gt_i32 s16, s9
	v_pk_add_f32 v[12:13], v[12:13], v[18:19] op_sel:[0,1] op_sel_hi:[1,0] neg_lo:[0,1] neg_hi:[0,1]
	v_pk_add_f32 v[10:11], v[10:11], v[20:21] op_sel:[0,1] op_sel_hi:[1,0] neg_lo:[0,1] neg_hi:[0,1]
	;; [unrolled: 1-line block ×6, first 2 shown]
	s_cbranch_scc1 .LBB16_61
.LBB16_62:
	s_add_i32 s16, s9, -1
	s_add_i32 s17, s16, s14
	s_mul_i32 s15, s9, 0x44
	s_lshl_b32 s17, s17, 2
	v_mov_b32_e32 v14, s17
	s_add_i32 s17, s15, 0xffffffbc
	s_add_i32 s18, s9, -3
	v_mov_b32_e32 v16, s17
	s_add_i32 s17, s18, s14
	s_lshl_b32 s16, s16, 4
	s_lshl_b32 s17, s17, 2
	ds_read2_b32 v[14:15], v14 offset1:1
	v_mov_b32_e32 v17, s17
	s_add_i32 s17, s18, s16
	s_lshl_b32 s17, s17, 2
	v_mov_b32_e32 v18, s17
	ds_read_b32 v20, v16
	ds_read2_b32 v[16:17], v17 offset1:1
	ds_read2_b32 v[18:19], v18 offset1:1
	v_add_u32_e32 v1, 0x400, v1
	s_waitcnt lgkmcnt(3)
	v_mul_f32_e32 v26, v12, v15
	s_sub_i32 s17, s14, 32
	ds_write_b32 v1, v26
	v_fma_f32 v1, -v26, v14, v13
	v_or_b32_e32 v12, s16, v0
	s_add_i32 s19, s18, s17
	s_waitcnt lgkmcnt(3)
	v_mul_f32_e32 v1, v1, v20
	v_lshlrev_b32_e32 v12, 2, v12
	s_lshl_b32 s19, s19, 2
	ds_write_b32 v12, v1 offset:1024
	v_mov_b32_e32 v12, s19
	ds_read2_b32 v[12:13], v12 offset1:1
	s_add_i32 s19, s15, 0xffffff34
	s_add_i32 s23, s9, -5
	s_waitcnt lgkmcnt(4)
	v_fma_f32 v10, -v26, v17, v10
	v_mov_b32_e32 v14, s19
	s_add_i32 s19, s23, s14
	s_waitcnt lgkmcnt(3)
	v_fma_f32 v10, -v1, v19, v10
	s_lshl_b32 s19, s19, 2
	v_mov_b32_e32 v15, s19
	s_add_i32 s19, s23, s16
	s_waitcnt lgkmcnt(0)
	v_mul_f32_e32 v27, v10, v13
	v_or_b32_e32 v10, s17, v0
	s_lshl_b32 s19, s19, 2
	v_lshlrev_b32_e32 v10, 2, v10
	v_mov_b32_e32 v17, s19
	ds_read_b32 v19, v14
	ds_read2_b32 v[14:15], v15 offset1:1
	ds_read2_b32 v[20:21], v17 offset1:1
	ds_write_b32 v10, v27 offset:1024
	v_fma_f32 v10, -v26, v16, v11
	v_fma_f32 v10, -v1, v18, v10
	;; [unrolled: 1-line block ×3, first 2 shown]
	s_lshl_b32 s18, s18, 4
	s_waitcnt lgkmcnt(3)
	v_mul_f32_e32 v28, v10, v19
	v_or_b32_e32 v10, s18, v0
	s_add_i32 s19, s23, s17
	v_lshlrev_b32_e32 v10, 2, v10
	s_lshl_b32 s19, s19, 2
	ds_write_b32 v10, v28 offset:1024
	v_mov_b32_e32 v10, s19
	s_add_i32 s19, s23, s18
	s_lshl_b32 s19, s19, 2
	v_mov_b32_e32 v12, s19
	s_sub_i32 s19, s14, 64
	s_add_i32 s24, s23, s19
	s_lshl_b32 s24, s24, 2
	s_waitcnt lgkmcnt(3)
	v_fma_f32 v8, -v26, v15, v8
	v_mov_b32_e32 v15, s24
	ds_read2_b32 v[10:11], v10 offset1:1
	ds_read2_b32 v[12:13], v12 offset1:1
	;; [unrolled: 1-line block ×3, first 2 shown]
	s_waitcnt lgkmcnt(5)
	v_fma_f32 v8, -v1, v21, v8
	s_add_i32 s24, s15, 0xfffffeac
	s_waitcnt lgkmcnt(2)
	v_fma_f32 v8, -v27, v11, v8
	s_waitcnt lgkmcnt(1)
	v_fma_f32 v8, -v28, v13, v8
	s_waitcnt lgkmcnt(0)
	v_mul_f32_e32 v29, v8, v17
	v_or_b32_e32 v8, s19, v0
	v_mov_b32_e32 v15, s24
	v_lshlrev_b32_e32 v8, 2, v8
	ds_read_b32 v15, v15
	ds_write_b32 v8, v29 offset:1024
	v_fma_f32 v8, -v26, v14, v9
	v_fma_f32 v8, -v1, v20, v8
	;; [unrolled: 1-line block ×5, first 2 shown]
	s_lshl_b32 s23, s23, 4
	s_add_i32 s24, s9, -7
	s_waitcnt lgkmcnt(1)
	v_mul_f32_e32 v30, v8, v15
	v_or_b32_e32 v8, s23, v0
	s_add_i32 s25, s24, s14
	v_lshlrev_b32_e32 v8, 2, v8
	s_lshl_b32 s25, s25, 2
	ds_write_b32 v8, v30 offset:1024
	v_mov_b32_e32 v8, s25
	s_add_i32 s25, s24, s16
	s_lshl_b32 s25, s25, 2
	v_mov_b32_e32 v10, s25
	s_add_i32 s25, s24, s17
	s_lshl_b32 s25, s25, 2
	;; [unrolled: 3-line block ×3, first 2 shown]
	ds_read2_b32 v[8:9], v8 offset1:1
	ds_read2_b32 v[10:11], v10 offset1:1
	;; [unrolled: 1-line block ×3, first 2 shown]
	v_mov_b32_e32 v14, s25
	s_add_i32 s25, s24, s19
	s_lshl_b32 s25, s25, 2
	s_waitcnt lgkmcnt(2)
	v_fma_f32 v6, -v26, v9, v6
	v_mov_b32_e32 v9, s25
	s_add_i32 s25, s24, s23
	ds_read2_b32 v[14:15], v14 offset1:1
	s_lshl_b32 s25, s25, 2
	s_waitcnt lgkmcnt(2)
	v_fma_f32 v6, -v1, v11, v6
	v_mov_b32_e32 v11, s25
	s_add_i32 s25, s15, 0xfffffe68
	ds_read2_b32 v[16:17], v9 offset1:1
	ds_read2_b32 v[18:19], v11 offset1:1
	v_mov_b32_e32 v9, s25
	ds_read_b32 v9, v9
	s_waitcnt lgkmcnt(4)
	v_fma_f32 v6, -v27, v13, v6
	s_waitcnt lgkmcnt(3)
	v_fma_f32 v6, -v28, v15, v6
	;; [unrolled: 2-line block ×4, first 2 shown]
	s_add_i32 s25, s14, 0xffffffa0
	s_waitcnt lgkmcnt(0)
	v_mul_f32_e32 v31, v6, v9
	v_or_b32_e32 v6, s25, v0
	s_add_i32 s27, s24, s25
	v_lshlrev_b32_e32 v6, 2, v6
	s_lshl_b32 s27, s27, 2
	ds_write_b32 v6, v31 offset:1024
	v_fma_f32 v6, -v26, v8, v7
	v_mov_b32_e32 v7, s27
	s_add_i32 s27, s15, 0xfffffe24
	v_fma_f32 v6, -v1, v10, v6
	ds_read_b32 v7, v7
	v_mov_b32_e32 v8, s27
	v_fma_f32 v6, -v27, v12, v6
	ds_read_b32 v8, v8
	v_fma_f32 v6, -v28, v14, v6
	v_fma_f32 v6, -v29, v16, v6
	;; [unrolled: 1-line block ×3, first 2 shown]
	s_add_i32 s27, s9, -9
	s_waitcnt lgkmcnt(1)
	v_fma_f32 v6, -v31, v7, v6
	s_lshl_b32 s24, s24, 4
	s_add_i32 s28, s27, s14
	s_waitcnt lgkmcnt(0)
	v_mul_f32_e32 v32, v6, v8
	v_or_b32_e32 v6, s24, v0
	s_lshl_b32 s28, s28, 2
	v_lshlrev_b32_e32 v14, 2, v6
	v_mov_b32_e32 v6, s28
	s_add_i32 s28, s27, s16
	s_lshl_b32 s28, s28, 2
	v_mov_b32_e32 v8, s28
	s_add_i32 s28, s27, s17
	s_lshl_b32 s28, s28, 2
	;; [unrolled: 3-line block ×3, first 2 shown]
	v_mov_b32_e32 v12, s28
	ds_read2_b32 v[6:7], v6 offset1:1
	ds_read2_b32 v[8:9], v8 offset1:1
	;; [unrolled: 1-line block ×4, first 2 shown]
	s_add_i32 s28, s27, s19
	s_lshl_b32 s28, s28, 2
	s_waitcnt lgkmcnt(3)
	v_fma_f32 v4, -v26, v7, v4
	v_mov_b32_e32 v7, s28
	s_add_i32 s28, s27, s23
	s_lshl_b32 s28, s28, 2
	s_waitcnt lgkmcnt(2)
	v_fma_f32 v4, -v1, v9, v4
	v_mov_b32_e32 v9, s28
	s_add_i32 s28, s27, s25
	s_lshl_b32 s28, s28, 2
	ds_write_b32 v14, v32 offset:1024
	s_waitcnt lgkmcnt(2)
	v_fma_f32 v4, -v27, v11, v4
	v_mov_b32_e32 v11, s28
	s_add_i32 s28, s27, s24
	ds_read2_b32 v[14:15], v7 offset1:1
	s_lshl_b32 s28, s28, 2
	v_mov_b32_e32 v7, s28
	s_add_i32 s28, s15, 0xfffffde0
	ds_read2_b32 v[16:17], v9 offset1:1
	ds_read2_b32 v[18:19], v11 offset1:1
	;; [unrolled: 1-line block ×3, first 2 shown]
	v_mov_b32_e32 v7, s28
	s_waitcnt lgkmcnt(5)
	v_fma_f32 v4, -v28, v13, v4
	ds_read_b32 v7, v7
	s_waitcnt lgkmcnt(4)
	v_fma_f32 v4, -v29, v15, v4
	s_waitcnt lgkmcnt(3)
	v_fma_f32 v4, -v30, v17, v4
	;; [unrolled: 2-line block ×4, first 2 shown]
	s_add_i32 s28, s14, 0xffffff80
	s_waitcnt lgkmcnt(0)
	v_mul_f32_e32 v33, v4, v7
	v_or_b32_e32 v4, s28, v0
	v_lshlrev_b32_e32 v4, 2, v4
	ds_write_b32 v4, v33 offset:1024
	v_fma_f32 v4, -v26, v6, v5
	s_add_i32 s29, s27, s28
	v_fma_f32 v4, -v1, v8, v4
	s_lshl_b32 s29, s29, 2
	v_fma_f32 v4, -v27, v10, v4
	v_mov_b32_e32 v5, s29
	s_add_i32 s29, s15, 0xfffffd9c
	v_fma_f32 v4, -v28, v12, v4
	ds_read_b32 v5, v5
	v_mov_b32_e32 v6, s29
	v_fma_f32 v4, -v29, v14, v4
	ds_read_b32 v6, v6
	v_fma_f32 v4, -v30, v16, v4
	v_fma_f32 v4, -v31, v18, v4
	s_add_i32 s29, s9, -11
	v_fma_f32 v4, -v32, v20, v4
	s_add_i32 s16, s29, s16
	s_waitcnt lgkmcnt(1)
	v_fma_f32 v4, -v33, v5, v4
	s_lshl_b32 s27, s27, 4
	s_lshl_b32 s16, s16, 2
	s_waitcnt lgkmcnt(0)
	v_mul_f32_e32 v34, v4, v6
	v_or_b32_e32 v4, s27, v0
	s_add_i32 s30, s29, s14
	v_mov_b32_e32 v6, s16
	s_add_i32 s16, s29, s17
	v_lshlrev_b32_e32 v4, 2, v4
	s_lshl_b32 s30, s30, 2
	s_lshl_b32 s16, s16, 2
	ds_write_b32 v4, v34 offset:1024
	v_mov_b32_e32 v4, s30
	v_mov_b32_e32 v8, s16
	s_add_i32 s16, s29, s18
	s_lshl_b32 s16, s16, 2
	ds_read2_b32 v[4:5], v4 offset1:1
	ds_read2_b32 v[6:7], v6 offset1:1
	;; [unrolled: 1-line block ×3, first 2 shown]
	v_mov_b32_e32 v10, s16
	s_add_i32 s16, s29, s19
	s_lshl_b32 s16, s16, 2
	s_waitcnt lgkmcnt(2)
	v_fma_f32 v2, -v26, v5, v2
	v_mov_b32_e32 v5, s16
	s_add_i32 s16, s29, s23
	s_lshl_b32 s16, s16, 2
	s_waitcnt lgkmcnt(1)
	v_fma_f32 v2, -v1, v7, v2
	;; [unrolled: 5-line block ×3, first 2 shown]
	v_mov_b32_e32 v9, s16
	s_add_i32 s16, s29, s24
	ds_read2_b32 v[10:11], v10 offset1:1
	s_lshl_b32 s16, s16, 2
	v_mov_b32_e32 v18, s16
	s_add_i32 s16, s29, s28
	s_lshl_b32 s16, s16, 2
	ds_read2_b32 v[12:13], v5 offset1:1
	ds_read2_b32 v[14:15], v7 offset1:1
	;; [unrolled: 1-line block ×4, first 2 shown]
	v_mov_b32_e32 v5, s16
	s_add_i32 s16, s29, s27
	v_fma_f32 v3, -v26, v4, v3
	s_lshl_b32 s16, s16, 2
	s_addk_i32 s14, 0xff60
	v_fma_f32 v1, -v1, v6, v3
	s_waitcnt lgkmcnt(4)
	v_fma_f32 v2, -v28, v11, v2
	v_mov_b32_e32 v7, s16
	s_add_i32 s16, s29, s14
	v_fma_f32 v1, -v27, v8, v1
	s_waitcnt lgkmcnt(3)
	v_fma_f32 v2, -v29, v13, v2
	s_lshl_b32 s16, s16, 2
	v_fma_f32 v1, -v28, v10, v1
	s_waitcnt lgkmcnt(2)
	v_fma_f32 v2, -v30, v15, v2
	v_mov_b32_e32 v9, s16
	s_addk_i32 s15, 0xfd14
	ds_read2_b32 v[20:21], v5 offset1:1
	ds_read2_b32 v[22:23], v7 offset1:1
	ds_read2_b32 v[24:25], v9 offset1:1
	v_fma_f32 v1, -v29, v12, v1
	s_waitcnt lgkmcnt(4)
	v_fma_f32 v2, -v31, v17, v2
	v_mov_b32_e32 v5, s15
	v_fma_f32 v1, -v30, v14, v1
	s_waitcnt lgkmcnt(3)
	v_fma_f32 v2, -v32, v19, v2
	ds_read_b32 v5, v5
	v_fma_f32 v1, -v31, v16, v1
	s_waitcnt lgkmcnt(3)
	v_fma_f32 v2, -v33, v21, v2
	v_fma_f32 v1, -v32, v18, v1
	s_waitcnt lgkmcnt(2)
	v_fma_f32 v2, -v34, v23, v2
	v_or_b32_e32 v7, s14, v0
	v_fma_f32 v1, -v33, v20, v1
	s_waitcnt lgkmcnt(1)
	v_mul_f32_e32 v2, v2, v25
	v_lshlrev_b32_e32 v7, 2, v7
	v_fma_f32 v1, -v34, v22, v1
	ds_write_b32 v7, v2 offset:1024
	v_fma_f32 v1, -v2, v24, v1
	v_lshlrev_b32_e32 v2, 2, v0
	s_waitcnt lgkmcnt(1)
	v_mul_f32_e32 v1, v1, v5
	v_lshl_or_b32 v2, s29, 6, v2
	s_add_i32 s9, s9, -12
	ds_write_b32 v2, v1 offset:1024
.LBB16_63:
	s_cmp_lt_i32 s9, 0
	s_cbranch_scc1 .LBB16_76
; %bb.64:
	s_bitcmp1_b32 s9, 0
	s_cselect_b64 s[14:15], -1, 0
	s_and_b64 vcc, exec, s[14:15]
	s_mov_b32 s14, s9
	s_cbranch_vccnz .LBB16_69
; %bb.65:
	v_lshlrev_b32_e32 v1, 2, v0
	v_lshl_or_b32 v1, s9, 6, v1
	ds_read_b32 v2, v1 offset:1024
	s_cmp_le_i32 s8, s9
	s_cbranch_scc1 .LBB16_68
; %bb.66:
	s_lshl_b32 s15, s26, 6
	s_lshl_b32 s14, s9, 2
	s_add_i32 s14, s15, s14
	v_lshl_or_b32 v3, v0, 2, s15
	s_sub_i32 s14, s14, 64
	v_add_u32_e32 v3, 0x3c0, v3
	s_mov_b32 s15, s8
.LBB16_67:                              ; =>This Inner Loop Header: Depth=1
	v_mov_b32_e32 v5, s14
	ds_read_b32 v4, v3
	ds_read_b32 v5, v5
	s_add_i32 s15, s15, -1
	s_sub_i32 s14, s14, 64
	v_subrev_u32_e32 v3, 64, v3
	s_cmp_gt_i32 s15, s9
	s_waitcnt lgkmcnt(0)
	v_fma_f32 v2, -v4, v5, v2
	s_cbranch_scc1 .LBB16_67
.LBB16_68:
	s_mul_i32 s14, s9, 0x44
	v_mov_b32_e32 v3, s14
	ds_read_b32 v3, v3
	v_add_u32_e32 v1, 0x400, v1
	s_add_i32 s14, s9, -1
	s_waitcnt lgkmcnt(0)
	v_mul_f32_e32 v2, v2, v3
	ds_write_b32 v1, v2
.LBB16_69:
	s_cmp_eq_u32 s9, 0
	s_cbranch_scc1 .LBB16_76
; %bb.70:
	s_lshl_b32 s15, s26, 6
	s_lshl_b32 s9, s14, 2
	s_add_i32 s16, s15, s9
	v_lshl_or_b32 v1, v0, 2, s15
	s_sub_i32 s9, s16, 64
	v_add_u32_e32 v1, 0x3c0, v1
	s_add_i32 s15, s16, 0xffffffbc
	v_lshlrev_b32_e32 v3, 2, v0
	s_branch .LBB16_72
.LBB16_71:                              ;   in Loop: Header=BB16_72 Depth=1
	s_addk_i32 s16, 0xffbc
	v_add_u32_e32 v4, 0x400, v5
	v_mov_b32_e32 v5, s16
	ds_read_b32 v5, v5
	s_add_i32 s16, s14, -2
	s_add_i32 s9, s9, -8
	;; [unrolled: 1-line block ×3, first 2 shown]
	s_cmp_lt_i32 s14, 2
	s_waitcnt lgkmcnt(0)
	v_mul_f32_e32 v2, v2, v5
	s_mov_b32 s14, s16
	ds_write_b32 v4, v2
	s_cbranch_scc1 .LBB16_76
.LBB16_72:                              ; =>This Loop Header: Depth=1
                                        ;     Child Loop BB16_73 Depth 2
                                        ;     Child Loop BB16_75 Depth 2
	v_lshl_or_b32 v2, s14, 6, v3
	ds_read_b32 v4, v2 offset:1024
	s_cmp_le_i32 s8, s14
	v_mov_b32_e32 v5, v1
	s_mov_b32 s16, s9
	s_mov_b32 s17, s8
	s_cbranch_scc1 .LBB16_74
.LBB16_73:                              ;   Parent Loop BB16_72 Depth=1
                                        ; =>  This Inner Loop Header: Depth=2
	v_mov_b32_e32 v7, s16
	ds_read_b32 v6, v5
	ds_read_b32 v7, v7
	s_add_i32 s17, s17, -1
	s_sub_i32 s16, s16, 64
	v_subrev_u32_e32 v5, 64, v5
	s_cmp_gt_i32 s17, s14
	s_waitcnt lgkmcnt(0)
	v_fma_f32 v4, -v6, v7, v4
	s_cbranch_scc1 .LBB16_73
.LBB16_74:                              ;   in Loop: Header=BB16_72 Depth=1
	s_mul_i32 s16, s14, 0x44
	v_add_u32_e32 v6, 0x400, v2
	v_mov_b32_e32 v2, s16
	s_lshl_b32 s17, s14, 6
	ds_read_b32 v7, v2
	s_sub_i32 s17, s17, 64
	v_lshl_or_b32 v5, v0, 2, s17
	ds_read_b32 v2, v5 offset:1024
	s_cmp_le_i32 s26, s14
	s_waitcnt lgkmcnt(1)
	v_mul_f32_e32 v4, v4, v7
	ds_write_b32 v6, v4
	v_mov_b32_e32 v4, v1
	s_mov_b32 s17, s15
	s_mov_b32 s18, s26
	s_cbranch_scc1 .LBB16_71
.LBB16_75:                              ;   Parent Loop BB16_72 Depth=1
                                        ; =>  This Inner Loop Header: Depth=2
	v_mov_b32_e32 v7, s17
	ds_read_b32 v6, v4
	ds_read_b32 v7, v7
	s_add_i32 s18, s18, -1
	s_sub_i32 s17, s17, 64
	v_subrev_u32_e32 v4, 64, v4
	s_cmp_gt_i32 s18, s14
	s_waitcnt lgkmcnt(0)
	v_fma_f32 v2, -v6, v7, v2
	s_cbranch_scc1 .LBB16_75
	s_branch .LBB16_71
.LBB16_76:
	s_waitcnt lgkmcnt(0)
	; wave barrier
	s_waitcnt lgkmcnt(0)
	s_and_saveexec_b64 s[8:9], s[6:7]
	s_cbranch_execz .LBB16_90
; %bb.77:
	s_cmp_lt_i32 s10, 2
	s_cbranch_scc1 .LBB16_87
; %bb.78:
	v_lshlrev_b32_e32 v1, 2, v0
	v_add_u32_e32 v4, 0x400, v1
	ds_read2_b32 v[6:7], v4 offset1:16
	v_mad_i64_i32 v[2:3], s[6:7], s20, v0, 0
	v_lshlrev_b64 v[2:3], 2, v[2:3]
	v_mov_b32_e32 v5, s22
	v_add_co_u32_e32 v2, vcc, s11, v2
	s_and_b32 s8, s26, 30
	v_addc_co_u32_e32 v3, vcc, v5, v3, vcc
	s_cmp_eq_u32 s8, 2
	s_waitcnt lgkmcnt(0)
	global_store_dwordx2 v[2:3], v[6:7], off
	s_cbranch_scc1 .LBB16_86
; %bb.79:
	ds_read2_b32 v[4:5], v4 offset0:32 offset1:48
	s_cmp_eq_u32 s8, 4
	s_waitcnt lgkmcnt(0)
	global_store_dwordx2 v[2:3], v[4:5], off offset:8
	s_cbranch_scc1 .LBB16_86
; %bb.80:
	ds_read_b32 v4, v1 offset:1280
	ds_read_b32 v5, v1 offset:1344
	s_cmp_eq_u32 s8, 6
	s_waitcnt lgkmcnt(0)
	global_store_dwordx2 v[2:3], v[4:5], off offset:16
	s_cbranch_scc1 .LBB16_86
; %bb.81:
	ds_read_b32 v4, v1 offset:1408
	ds_read_b32 v5, v1 offset:1472
	;; [unrolled: 7-line block ×6, first 2 shown]
	s_waitcnt lgkmcnt(0)
	global_store_dwordx2 v[2:3], v[4:5], off offset:56
.LBB16_86:
	s_cmp_lg_u32 s26, s8
	s_cselect_b64 s[6:7], -1, 0
	s_and_b64 vcc, exec, s[6:7]
	s_cbranch_vccnz .LBB16_88
	s_branch .LBB16_90
.LBB16_87:
	s_mov_b32 s8, 0
	s_cbranch_execz .LBB16_90
.LBB16_88:
	s_sub_i32 s6, s26, s8
	s_lshl_b64 s[10:11], s[12:13], 2
	s_lshl_b32 s7, s8, 2
	s_add_u32 s2, s2, s7
	s_addc_u32 s3, s3, 0
	s_add_u32 s2, s2, s4
	v_lshlrev_b32_e32 v0, 2, v0
	s_addc_u32 s3, s3, s5
	v_lshl_or_b32 v1, s8, 6, v0
	s_add_u32 s0, s2, s0
	v_add_u32_e32 v2, 0x400, v1
	v_mov_b32_e32 v1, s11
	v_add_co_u32_e32 v3, vcc, s10, v0
	s_addc_u32 s1, s3, s1
	v_addc_co_u32_e32 v4, vcc, 0, v1, vcc
	v_pk_mov_b32 v[0:1], s[0:1], s[0:1] op_sel:[0,1]
	v_mad_u64_u32 v[0:1], s[0:1], v3, s20, v[0:1]
	v_mul_lo_u32 v3, v3, s21
	v_mul_lo_u32 v4, v4, s20
	v_add3_u32 v1, v4, v1, v3
.LBB16_89:                              ; =>This Inner Loop Header: Depth=1
	ds_read_b32 v3, v2
	s_add_i32 s6, s6, -1
	v_add_u32_e32 v2, 64, v2
	s_cmp_lg_u32 s6, 0
	s_waitcnt lgkmcnt(0)
	global_store_dword v[0:1], v3, off
	v_add_co_u32_e32 v0, vcc, 4, v0
	v_addc_co_u32_e32 v1, vcc, 0, v1, vcc
	s_cbranch_scc1 .LBB16_89
.LBB16_90:
	s_endpgm
	.section	.rodata,"a",@progbits
	.p2align	6, 0x0
	.amdhsa_kernel _ZL38rocblas_trsm_small_left_device_sharedBILi16ELi16ELb0EffPKfPfEv13rocblas_fill_18rocblas_operation_17rocblas_diagonal_iiT3_T4_lilT5_lili
		.amdhsa_group_segment_fixed_size 2048
		.amdhsa_private_segment_fixed_size 0
		.amdhsa_kernarg_size 352
		.amdhsa_user_sgpr_count 6
		.amdhsa_user_sgpr_private_segment_buffer 1
		.amdhsa_user_sgpr_dispatch_ptr 0
		.amdhsa_user_sgpr_queue_ptr 0
		.amdhsa_user_sgpr_kernarg_segment_ptr 1
		.amdhsa_user_sgpr_dispatch_id 0
		.amdhsa_user_sgpr_flat_scratch_init 0
		.amdhsa_user_sgpr_kernarg_preload_length 0
		.amdhsa_user_sgpr_kernarg_preload_offset 0
		.amdhsa_user_sgpr_private_segment_size 0
		.amdhsa_uses_dynamic_stack 0
		.amdhsa_system_sgpr_private_segment_wavefront_offset 0
		.amdhsa_system_sgpr_workgroup_id_x 1
		.amdhsa_system_sgpr_workgroup_id_y 0
		.amdhsa_system_sgpr_workgroup_id_z 1
		.amdhsa_system_sgpr_workgroup_info 0
		.amdhsa_system_vgpr_workitem_id 0
		.amdhsa_next_free_vgpr 63
		.amdhsa_next_free_sgpr 43
		.amdhsa_accum_offset 64
		.amdhsa_reserve_vcc 1
		.amdhsa_reserve_flat_scratch 0
		.amdhsa_float_round_mode_32 0
		.amdhsa_float_round_mode_16_64 0
		.amdhsa_float_denorm_mode_32 3
		.amdhsa_float_denorm_mode_16_64 3
		.amdhsa_dx10_clamp 1
		.amdhsa_ieee_mode 1
		.amdhsa_fp16_overflow 0
		.amdhsa_tg_split 0
		.amdhsa_exception_fp_ieee_invalid_op 0
		.amdhsa_exception_fp_denorm_src 0
		.amdhsa_exception_fp_ieee_div_zero 0
		.amdhsa_exception_fp_ieee_overflow 0
		.amdhsa_exception_fp_ieee_underflow 0
		.amdhsa_exception_fp_ieee_inexact 0
		.amdhsa_exception_int_div_zero 0
	.end_amdhsa_kernel
	.section	.text._ZL38rocblas_trsm_small_left_device_sharedBILi16ELi16ELb0EffPKfPfEv13rocblas_fill_18rocblas_operation_17rocblas_diagonal_iiT3_T4_lilT5_lili,"axG",@progbits,_ZL38rocblas_trsm_small_left_device_sharedBILi16ELi16ELb0EffPKfPfEv13rocblas_fill_18rocblas_operation_17rocblas_diagonal_iiT3_T4_lilT5_lili,comdat
.Lfunc_end16:
	.size	_ZL38rocblas_trsm_small_left_device_sharedBILi16ELi16ELb0EffPKfPfEv13rocblas_fill_18rocblas_operation_17rocblas_diagonal_iiT3_T4_lilT5_lili, .Lfunc_end16-_ZL38rocblas_trsm_small_left_device_sharedBILi16ELi16ELb0EffPKfPfEv13rocblas_fill_18rocblas_operation_17rocblas_diagonal_iiT3_T4_lilT5_lili
                                        ; -- End function
	.section	.AMDGPU.csdata,"",@progbits
; Kernel info:
; codeLenInByte = 12812
; NumSgprs: 47
; NumVgprs: 63
; NumAgprs: 0
; TotalNumVgprs: 63
; ScratchSize: 0
; MemoryBound: 0
; FloatMode: 240
; IeeeMode: 1
; LDSByteSize: 2048 bytes/workgroup (compile time only)
; SGPRBlocks: 5
; VGPRBlocks: 7
; NumSGPRsForWavesPerEU: 47
; NumVGPRsForWavesPerEU: 63
; AccumOffset: 64
; Occupancy: 8
; WaveLimiterHint : 0
; COMPUTE_PGM_RSRC2:SCRATCH_EN: 0
; COMPUTE_PGM_RSRC2:USER_SGPR: 6
; COMPUTE_PGM_RSRC2:TRAP_HANDLER: 0
; COMPUTE_PGM_RSRC2:TGID_X_EN: 1
; COMPUTE_PGM_RSRC2:TGID_Y_EN: 0
; COMPUTE_PGM_RSRC2:TGID_Z_EN: 1
; COMPUTE_PGM_RSRC2:TIDIG_COMP_CNT: 0
; COMPUTE_PGM_RSRC3_GFX90A:ACCUM_OFFSET: 15
; COMPUTE_PGM_RSRC3_GFX90A:TG_SPLIT: 0
	.section	.text._ZL30rocblas_trsm_small_left_deviceILi16ELi16ELb0EffPKfPfEv13rocblas_fill_18rocblas_operation_17rocblas_diagonal_iiT3_T4_lilT5_lili,"axG",@progbits,_ZL30rocblas_trsm_small_left_deviceILi16ELi16ELb0EffPKfPfEv13rocblas_fill_18rocblas_operation_17rocblas_diagonal_iiT3_T4_lilT5_lili,comdat
	.globl	_ZL30rocblas_trsm_small_left_deviceILi16ELi16ELb0EffPKfPfEv13rocblas_fill_18rocblas_operation_17rocblas_diagonal_iiT3_T4_lilT5_lili ; -- Begin function _ZL30rocblas_trsm_small_left_deviceILi16ELi16ELb0EffPKfPfEv13rocblas_fill_18rocblas_operation_17rocblas_diagonal_iiT3_T4_lilT5_lili
	.p2align	8
	.type	_ZL30rocblas_trsm_small_left_deviceILi16ELi16ELb0EffPKfPfEv13rocblas_fill_18rocblas_operation_17rocblas_diagonal_iiT3_T4_lilT5_lili,@function
_ZL30rocblas_trsm_small_left_deviceILi16ELi16ELb0EffPKfPfEv13rocblas_fill_18rocblas_operation_17rocblas_diagonal_iiT3_T4_lilT5_lili: ; @_ZL30rocblas_trsm_small_left_deviceILi16ELi16ELb0EffPKfPfEv13rocblas_fill_18rocblas_operation_17rocblas_diagonal_iiT3_T4_lilT5_lili
; %bb.0:
	s_load_dwordx4 s[8:11], s[4:5], 0x4
	s_load_dword s16, s[4:5], 0x14
	s_load_dwordx4 s[0:3], s[4:5], 0x30
	s_load_dwordx2 s[20:21], s[4:5], 0x40
	s_mov_b32 s19, 0
	s_waitcnt lgkmcnt(0)
	s_min_i32 s18, s10, 16
	v_cmp_gt_i32_e32 vcc, s18, v0
	s_and_saveexec_b64 s[22:23], vcc
	s_cbranch_execz .LBB17_15
; %bb.1:
	s_load_dword s24, s[4:5], 0x28
	s_load_dwordx4 s[12:15], s[4:5], 0x18
	s_cmp_gt_u32 s18, 1
	s_cselect_b64 s[26:27], -1, 0
	s_mov_b32 s17, 1
	s_waitcnt lgkmcnt(0)
	s_cmp_eq_u32 s24, 1
	s_cselect_b64 s[28:29], -1, 0
	s_and_b64 s[28:29], s[26:27], s[28:29]
	s_mov_b64 s[26:27], -1
	s_and_b64 vcc, exec, s[28:29]
	s_cbranch_vccz .LBB17_9
; %bb.2:
	s_add_i32 s26, s18, -2
	s_lshr_b32 s25, s26, 1
	s_add_i32 s25, s25, 1
	s_cmp_lt_u32 s26, 14
	s_mov_b32 s26, s19
	s_cbranch_scc1 .LBB17_5
; %bb.3:
	s_mul_i32 s17, s1, s7
	s_mul_hi_u32 s19, s0, s7
	s_add_i32 s29, s19, s17
	s_mul_i32 s28, s0, s7
	s_and_b32 s27, s25, -8
	s_lshl_b64 s[28:29], s[28:29], 2
	s_lshl_b64 s[30:31], s[14:15], 2
	s_add_u32 s17, s28, s30
	s_addc_u32 s19, s29, s31
	s_add_u32 s17, s12, s17
	v_lshlrev_b32_e32 v1, 2, v0
	s_addc_u32 s19, s13, s19
	v_mov_b32_e32 v2, s19
	v_add_co_u32_e32 v1, vcc, s17, v1
	v_addc_co_u32_e32 v3, vcc, 0, v2, vcc
	v_add_co_u32_e32 v2, vcc, 56, v1
	v_addc_co_u32_e32 v3, vcc, 0, v3, vcc
	s_mov_b32 s17, 1
	s_mov_b32 s26, 0
	;; [unrolled: 1-line block ×3, first 2 shown]
.LBB17_4:                               ; =>This Inner Loop Header: Depth=1
	global_load_dwordx4 v[4:7], v[2:3], off offset:-56
	global_load_dwordx4 v[8:11], v[2:3], off offset:-40
	;; [unrolled: 1-line block ×4, first 2 shown]
	s_lshl_b32 s28, s19, 4
	s_lshl_b32 s29, s17, 4
	s_add_i32 s26, s26, 16
	s_add_i32 s17, s17, 16
	;; [unrolled: 1-line block ×3, first 2 shown]
	s_add_i32 s27, s27, -8
	v_add_co_u32_e32 v2, vcc, 64, v2
	v_or_b32_e32 v1, s29, v0
	v_or_b32_e32 v20, s28, v0
	s_add_i32 s30, s28, 32
	s_add_i32 s31, s29, 32
	;; [unrolled: 1-line block ×12, first 2 shown]
	s_addk_i32 s28, 0xe0
	s_addk_i32 s29, 0xe0
	v_addc_co_u32_e32 v3, vcc, 0, v3, vcc
	v_lshlrev_b32_e32 v20, 2, v20
	v_or_b32_e32 v21, s31, v0
	v_or_b32_e32 v22, s30, v0
	;; [unrolled: 1-line block ×14, first 2 shown]
	s_cmp_lg_u32 s27, 0
	v_lshlrev_b32_e32 v1, 2, v1
	v_lshlrev_b32_e32 v22, 2, v22
	;; [unrolled: 1-line block ×15, first 2 shown]
	s_waitcnt vmcnt(3)
	ds_write_b32 v20, v4
	ds_write_b32 v1, v5
	ds_write_b32 v22, v6
	ds_write_b32 v21, v7
	s_waitcnt vmcnt(2)
	ds_write_b32 v24, v8
	ds_write_b32 v23, v9
	ds_write_b32 v26, v10
	ds_write_b32 v25, v11
	;; [unrolled: 5-line block ×4, first 2 shown]
	s_cbranch_scc1 .LBB17_4
.LBB17_5:
	s_and_b32 s25, s25, 7
	s_cmp_eq_u32 s25, 0
	s_mov_b32 s27, 0
	s_cbranch_scc1 .LBB17_8
; %bb.6:
	s_mul_i32 s28, s1, s7
	s_mul_hi_u32 s29, s0, s7
	s_add_i32 s29, s29, s28
	s_mul_i32 s28, s0, s7
	s_lshl_b64 s[28:29], s[28:29], 2
	s_lshl_b64 s[30:31], s[14:15], 2
	s_add_u32 s28, s28, s30
	s_addc_u32 s29, s29, s31
	s_lshl_b64 s[26:27], s[26:27], 2
	s_add_u32 s26, s12, s26
	s_addc_u32 s27, s13, s27
	s_add_u32 s26, s26, s28
	v_lshlrev_b32_e32 v1, 2, v0
	s_addc_u32 s27, s27, s29
	v_mov_b32_e32 v3, s27
	v_add_co_u32_e32 v2, vcc, s26, v1
	v_addc_co_u32_e32 v3, vcc, 0, v3, vcc
	s_lshl_b32 s25, s25, 3
.LBB17_7:                               ; =>This Inner Loop Header: Depth=1
	global_load_dwordx2 v[4:5], v[2:3], off
	v_lshl_or_b32 v6, s19, 6, v1
	v_lshl_or_b32 v7, s17, 6, v1
	s_add_i32 s17, s17, 2
	s_add_i32 s19, s19, 2
	v_add_co_u32_e32 v2, vcc, 8, v2
	s_add_i32 s25, s25, -8
	v_addc_co_u32_e32 v3, vcc, 0, v3, vcc
	s_cmp_lg_u32 s25, 0
	s_waitcnt vmcnt(0)
	ds_write_b32 v6, v4
	ds_write_b32 v7, v5
	s_cbranch_scc1 .LBB17_7
.LBB17_8:
	s_and_b32 s19, s18, -2
	s_cmp_lg_u32 s18, s19
	s_cselect_b64 s[26:27], -1, 0
.LBB17_9:
	s_and_b64 vcc, exec, s[26:27]
	s_cbranch_vccz .LBB17_12
; %bb.10:
	s_ashr_i32 s25, s24, 31
	s_mul_i32 s1, s1, s7
	s_mul_hi_u32 s17, s0, s7
	s_add_i32 s1, s17, s1
	s_mul_hi_u32 s17, s24, s19
	s_mul_i32 s26, s25, s19
	s_mul_i32 s0, s0, s7
	s_add_i32 s27, s17, s26
	s_mul_i32 s26, s24, s19
	s_lshl_b64 s[0:1], s[0:1], 2
	s_lshl_b64 s[26:27], s[26:27], 2
	s_add_u32 s17, s0, s26
	s_addc_u32 s26, s1, s27
	s_lshl_b64 s[0:1], s[14:15], 2
	s_add_u32 s0, s17, s0
	s_addc_u32 s1, s26, s1
	s_add_u32 s0, s12, s0
	v_lshlrev_b32_e32 v1, 2, v0
	s_addc_u32 s1, s13, s1
	v_mov_b32_e32 v3, s1
	v_add_co_u32_e32 v2, vcc, s0, v1
	s_lshl_b64 s[0:1], s[24:25], 2
	v_addc_co_u32_e32 v3, vcc, 0, v3, vcc
	v_lshl_or_b32 v1, s19, 6, v1
	s_sub_i32 s12, s18, s19
	v_mov_b32_e32 v4, s1
.LBB17_11:                              ; =>This Inner Loop Header: Depth=1
	global_load_dword v5, v[2:3], off
	v_add_co_u32_e32 v2, vcc, s0, v2
	s_add_i32 s12, s12, -1
	v_addc_co_u32_e32 v3, vcc, v3, v4, vcc
	s_cmp_eq_u32 s12, 0
	s_waitcnt vmcnt(0)
	ds_write_b32 v1, v5
	v_add_u32_e32 v1, 64, v1
	s_cbranch_scc0 .LBB17_11
.LBB17_12:
	v_mul_u32_u24_e32 v1, 17, v0
	s_cmpk_lg_i32 s9, 0x84
	v_lshlrev_b32_e32 v1, 2, v1
	v_mov_b32_e32 v2, 1.0
	s_cbranch_scc0 .LBB17_14
; %bb.13:
	ds_read_b32 v2, v1
	s_waitcnt lgkmcnt(0)
	v_div_scale_f32 v3, s[0:1], v2, v2, 1.0
	v_rcp_f32_e32 v4, v3
	v_div_scale_f32 v5, vcc, 1.0, v2, 1.0
	v_fma_f32 v6, -v3, v4, 1.0
	v_fmac_f32_e32 v4, v6, v4
	v_mul_f32_e32 v6, v5, v4
	v_fma_f32 v7, -v3, v6, v5
	v_fmac_f32_e32 v6, v7, v4
	v_fma_f32 v3, -v3, v6, v5
	v_div_fmas_f32 v3, v3, v4, v6
	v_div_fixup_f32 v2, v3, v2, 1.0
.LBB17_14:
	ds_write_b32 v1, v2
.LBB17_15:
	s_or_b64 exec, exec, s[22:23]
	s_load_dword s0, s[4:5], 0x60
	s_lshl_b32 s9, s6, 4
	s_sub_i32 s1, s11, s9
	s_waitcnt lgkmcnt(0)
	; wave barrier
	s_waitcnt lgkmcnt(0)
	s_add_i32 s0, s0, -1
	s_cmp_ge_u32 s6, s0
	s_cselect_b32 s0, s1, 16
	v_cmp_gt_i32_e32 vcc, s0, v0
	s_and_saveexec_b64 s[0:1], vcc
	s_cbranch_execz .LBB17_70
; %bb.16:
	s_load_dwordx2 s[0:1], s[4:5], 0x50
	s_load_dword s6, s[4:5], 0x48
	v_add_u32_e32 v0, s9, v0
	s_waitcnt lgkmcnt(0)
	s_mul_i32 s1, s7, s1
	s_mul_hi_u32 s4, s7, s0
	s_mul_i32 s0, s7, s0
	s_add_i32 s1, s4, s1
	s_lshl_b64 s[0:1], s[0:1], 2
	s_add_u32 s7, s2, s0
	s_addc_u32 s11, s3, s1
	s_lshl_b64 s[4:5], s[20:21], 2
	s_add_u32 s12, s7, s4
	v_mad_i64_i32 v[0:1], s[6:7], s6, v0, 0
	s_addc_u32 s11, s11, s5
	v_lshlrev_b64 v[18:19], 2, v[0:1]
	v_mov_b32_e32 v0, s11
	v_add_co_u32_e32 v16, vcc, s12, v18
	v_addc_co_u32_e32 v17, vcc, v0, v19, vcc
	s_cmpk_eq_i32 s8, 0x6f
	s_mov_b64 s[6:7], -1
	s_cbranch_scc1 .LBB17_44
; %bb.17:
	s_cmp_lt_i32 s10, 16
	s_cselect_b64 s[8:9], -1, 0
	s_cmp_gt_i32 s10, 15
	s_mov_b32 s6, 16
	s_cbranch_scc0 .LBB17_19
; %bb.18:
	global_load_dwordx4 v[4:7], v[16:17], off
	global_load_dwordx4 v[8:11], v[16:17], off offset:16
	global_load_dwordx4 v[12:15], v[16:17], off offset:32
	;; [unrolled: 1-line block ×3, first 2 shown]
	v_mov_b32_e32 v51, 0
	ds_read_b32 v42, v51
	ds_read_b64 v[40:41], v51 offset:64
	ds_read_b96 v[44:46], v51 offset:128
	ds_read_b128 v[20:23], v51 offset:192
	ds_read_b128 v[24:27], v51 offset:256
	ds_read_b32 v56, v51 offset:272
	ds_read_b128 v[28:31], v51 offset:320
	ds_read_b64 v[52:53], v51 offset:336
	ds_read_b128 v[32:35], v51 offset:384
	ds_read_b96 v[48:50], v51 offset:400
	ds_read_b128 v[36:39], v51 offset:448
	s_waitcnt vmcnt(3)
	v_mul_f32_e32 v4, s16, v4
	s_waitcnt lgkmcnt(10)
	v_mul_f32_e32 v4, v4, v42
	s_waitcnt lgkmcnt(9)
	;; [unrolled: 2-line block ×3, first 2 shown]
	v_mul_f32_e32 v42, v4, v44
	v_fma_f32 v5, v5, s16, -v40
	s_waitcnt lgkmcnt(7)
	v_mul_f32_e32 v20, v4, v20
	v_fma_f32 v6, v6, s16, -v42
	v_mul_f32_e32 v5, v5, v41
	s_waitcnt lgkmcnt(6)
	v_mul_f32_e32 v24, v4, v24
	s_waitcnt lgkmcnt(4)
	v_mul_f32_e32 v28, v4, v28
	v_fma_f32 v7, v7, s16, -v20
	v_fma_f32 v6, -v5, v45, v6
	s_waitcnt lgkmcnt(0)
	v_mul_f32_e32 v20, v4, v36
	s_waitcnt vmcnt(2)
	v_fma_f32 v24, v8, s16, -v24
	v_fma_f32 v28, v9, s16, -v28
	v_mul_f32_e32 v6, v6, v46
	v_fma_f32 v7, -v5, v21, v7
	v_mul_f32_e32 v32, v4, v32
	v_fma_f32 v36, v11, s16, -v20
	v_fma_f32 v20, -v5, v25, v24
	v_fma_f32 v7, -v6, v22, v7
	;; [unrolled: 1-line block ×3, first 2 shown]
	v_fma_f32 v32, v10, s16, -v32
	ds_read_b128 v[8:11], v51 offset:464
	ds_read_b128 v[40:43], v51 offset:512
	v_fma_f32 v20, -v6, v26, v20
	v_mul_f32_e32 v7, v7, v23
	v_fma_f32 v28, -v6, v30, v28
	ds_read_b128 v[44:47], v51 offset:528
	ds_read_b32 v57, v51 offset:544
	v_fma_f32 v58, -v7, v27, v20
	ds_read_b128 v[20:23], v51 offset:576
	ds_read_b128 v[24:27], v51 offset:592
	v_fma_f32 v59, -v7, v31, v28
	ds_read_b64 v[54:55], v51 offset:608
	ds_read_b128 v[28:31], v51 offset:640
	v_fma_f32 v32, -v5, v33, v32
	v_fma_f32 v33, -v5, v37, v36
	s_waitcnt lgkmcnt(6)
	v_mul_f32_e32 v40, v4, v40
	s_waitcnt lgkmcnt(3)
	v_mul_f32_e32 v20, v4, v20
	v_fma_f32 v32, -v6, v34, v32
	v_fma_f32 v33, -v6, v38, v33
	s_waitcnt vmcnt(1)
	v_fma_f32 v12, v12, s16, -v40
	s_waitcnt lgkmcnt(0)
	v_mul_f32_e32 v28, v4, v28
	v_fma_f32 v13, v13, s16, -v20
	v_mul_f32_e32 v20, v58, v56
	v_fma_f32 v60, -v7, v35, v32
	v_fma_f32 v39, -v7, v39, v33
	ds_read_b128 v[32:35], v51 offset:656
	ds_read_b96 v[36:38], v51 offset:672
	v_fma_f32 v12, -v5, v41, v12
	v_fma_f32 v14, v14, s16, -v28
	v_fma_f32 v13, -v5, v21, v13
	v_fma_f32 v21, -v20, v52, v59
	;; [unrolled: 1-line block ×6, first 2 shown]
	v_mul_f32_e32 v21, v21, v53
	v_fma_f32 v12, -v7, v43, v12
	v_fma_f32 v14, -v6, v30, v14
	;; [unrolled: 1-line block ×9, first 2 shown]
	v_mul_f32_e32 v22, v22, v50
	s_waitcnt lgkmcnt(1)
	v_fma_f32 v14, -v20, v32, v14
	v_fma_f32 v9, -v21, v45, v12
	;; [unrolled: 1-line block ×7, first 2 shown]
	v_mul_f32_e32 v23, v8, v11
	v_fma_f32 v14, -v22, v34, v13
	v_fma_f32 v8, -v23, v47, v9
	;; [unrolled: 1-line block ×3, first 2 shown]
	ds_read_b128 v[10:13], v51 offset:704
	ds_read_b128 v[24:27], v51 offset:720
	v_mul_f32_e32 v8, v8, v57
	v_fma_f32 v9, -v8, v54, v9
	v_fma_f32 v14, -v23, v35, v14
	s_waitcnt lgkmcnt(1)
	v_mul_f32_e32 v10, v4, v10
	v_fma_f32 v10, v15, s16, -v10
	v_fma_f32 v10, -v5, v11, v10
	v_fma_f32 v10, -v6, v12, v10
	;; [unrolled: 1-line block ×3, first 2 shown]
	s_waitcnt lgkmcnt(0)
	v_fma_f32 v15, -v20, v24, v10
	ds_read_b128 v[10:13], v51 offset:736
	v_fma_f32 v15, -v21, v25, v15
	v_fma_f32 v15, -v22, v26, v15
	v_mul_f32_e32 v9, v9, v55
	v_fma_f32 v14, -v8, v36, v14
	v_fma_f32 v15, -v23, v27, v15
	ds_read_b128 v[24:27], v51 offset:768
	v_fma_f32 v14, -v9, v37, v14
	s_waitcnt lgkmcnt(1)
	v_fma_f32 v10, -v8, v10, v15
	v_fma_f32 v11, -v9, v11, v10
	v_mul_f32_e32 v10, v14, v38
	v_fma_f32 v11, -v10, v12, v11
	v_mul_f32_e32 v11, v11, v13
	global_store_dwordx4 v[16:17], v[4:7], off
	global_store_dwordx4 v[16:17], v[20:23], off offset:16
	global_store_dwordx4 v[16:17], v[8:11], off offset:32
	s_waitcnt lgkmcnt(0)
	v_mul_f32_e32 v24, v4, v24
	ds_read_b128 v[12:15], v51 offset:784
	ds_read_b128 v[28:31], v51 offset:800
	s_waitcnt vmcnt(3)
	v_fma_f32 v0, v0, s16, -v24
	v_fma_f32 v0, -v5, v25, v0
	v_fma_f32 v0, -v6, v26, v0
	;; [unrolled: 1-line block ×3, first 2 shown]
	s_waitcnt lgkmcnt(1)
	v_fma_f32 v0, -v20, v12, v0
	v_fma_f32 v0, -v21, v13, v0
	;; [unrolled: 1-line block ×4, first 2 shown]
	ds_read_b32 v32, v51 offset:816
	ds_read_b128 v[12:15], v51 offset:832
	ds_read_b128 v[24:27], v51 offset:848
	s_waitcnt lgkmcnt(3)
	v_fma_f32 v0, -v8, v28, v0
	v_fma_f32 v0, -v9, v29, v0
	;; [unrolled: 1-line block ×3, first 2 shown]
	s_waitcnt lgkmcnt(1)
	v_mul_f32_e32 v12, v4, v12
	v_fma_f32 v1, v1, s16, -v12
	v_fma_f32 v1, -v5, v13, v1
	v_fma_f32 v1, -v6, v14, v1
	;; [unrolled: 1-line block ×3, first 2 shown]
	ds_read_b128 v[12:15], v51 offset:864
	s_waitcnt lgkmcnt(1)
	v_fma_f32 v1, -v20, v24, v1
	v_fma_f32 v1, -v21, v25, v1
	;; [unrolled: 1-line block ×4, first 2 shown]
	s_waitcnt lgkmcnt(0)
	v_fma_f32 v1, -v8, v12, v1
	v_fma_f32 v1, -v9, v13, v1
	ds_read_b64 v[12:13], v51 offset:880
	ds_read_b128 v[24:27], v51 offset:896
	v_fma_f32 v0, -v11, v31, v0
	v_fma_f32 v1, -v10, v14, v1
	;; [unrolled: 1-line block ×3, first 2 shown]
	v_mul_f32_e32 v0, v0, v32
	s_waitcnt lgkmcnt(1)
	v_fma_f32 v1, -v0, v12, v1
	s_waitcnt lgkmcnt(0)
	v_mul_f32_e32 v12, v4, v24
	v_mul_f32_e32 v1, v1, v13
	v_fma_f32 v2, v2, s16, -v12
	ds_read_b128 v[12:15], v51 offset:912
	v_fma_f32 v2, -v5, v25, v2
	v_fma_f32 v2, -v6, v26, v2
	;; [unrolled: 1-line block ×3, first 2 shown]
	ds_read_b128 v[24:27], v51 offset:928
	s_waitcnt lgkmcnt(1)
	v_fma_f32 v2, -v20, v12, v2
	v_fma_f32 v2, -v21, v13, v2
	;; [unrolled: 1-line block ×4, first 2 shown]
	ds_read_b96 v[28:30], v51 offset:944
	ds_read_b128 v[12:15], v51 offset:960
	s_waitcnt lgkmcnt(2)
	v_fma_f32 v2, -v8, v24, v2
	v_fma_f32 v2, -v9, v25, v2
	;; [unrolled: 1-line block ×4, first 2 shown]
	s_waitcnt lgkmcnt(1)
	v_fma_f32 v2, -v0, v28, v2
	v_fma_f32 v28, -v1, v29, v2
	s_waitcnt lgkmcnt(0)
	v_mul_f32_e32 v2, v4, v12
	ds_read_b128 v[24:27], v51 offset:976
	v_fma_f32 v2, v3, s16, -v2
	v_fma_f32 v2, -v5, v13, v2
	v_fma_f32 v2, -v6, v14, v2
	;; [unrolled: 1-line block ×3, first 2 shown]
	ds_read_b128 v[2:5], v51 offset:992
	s_waitcnt lgkmcnt(1)
	v_fma_f32 v6, -v20, v24, v6
	v_fma_f32 v6, -v21, v25, v6
	;; [unrolled: 1-line block ×4, first 2 shown]
	ds_read_b128 v[12:15], v51 offset:1008
	s_waitcnt lgkmcnt(1)
	v_fma_f32 v2, -v8, v2, v6
	v_fma_f32 v2, -v9, v3, v2
	;; [unrolled: 1-line block ×4, first 2 shown]
	s_waitcnt lgkmcnt(0)
	v_fma_f32 v2, -v0, v12, v2
	v_fma_f32 v3, -v1, v13, v2
	v_mul_f32_e32 v2, v28, v30
	v_fma_f32 v3, -v2, v14, v3
	v_mul_f32_e32 v3, v3, v15
	global_store_dwordx4 v[16:17], v[0:3], off offset:48
	s_cmp_lt_i32 s6, s18
	s_cbranch_scc1 .LBB17_20
	s_branch .LBB17_43
.LBB17_19:
	s_mov_b32 s6, 0
	s_cmp_lt_i32 s6, s18
	s_cbranch_scc0 .LBB17_43
.LBB17_20:
	s_or_b32 s11, s6, 11
	s_cmp_ge_u32 s11, s18
	s_cbranch_scc1 .LBB17_32
; %bb.21:
	s_lshl_b32 s7, s6, 2
	v_add_co_u32_e32 v0, vcc, s7, v16
	v_addc_co_u32_e32 v1, vcc, 0, v17, vcc
	global_load_dwordx4 v[2:5], v[0:1], off
	global_load_dwordx4 v[8:11], v[0:1], off offset:16
	global_load_dwordx4 v[20:23], v[0:1], off offset:32
	s_andn2_b64 vcc, exec, s[8:9]
	s_waitcnt vmcnt(2)
	v_pk_mul_f32 v[12:13], v[2:3], s[16:17] op_sel_hi:[1,0]
	v_pk_mul_f32 v[6:7], v[4:5], s[16:17] op_sel_hi:[1,0]
	s_waitcnt vmcnt(1)
	v_pk_mul_f32 v[8:9], v[8:9], s[16:17] op_sel_hi:[1,0]
	v_pk_mul_f32 v[10:11], v[10:11], s[16:17] op_sel_hi:[1,0]
	;; [unrolled: 3-line block ×3, first 2 shown]
	s_cbranch_vccnz .LBB17_23
; %bb.22:
	s_lshl_b32 s12, s11, 4
	s_mov_b64 s[8:9], 0
	s_branch .LBB17_24
.LBB17_23:
	s_mov_b64 s[8:9], -1
                                        ; implicit-def: $sgpr12
.LBB17_24:
	s_andn2_b64 vcc, exec, s[8:9]
	s_cbranch_vccnz .LBB17_31
; %bb.25:
	s_max_u32 s9, s6, 1
	s_cmp_eq_u32 s9, 1
	s_cbranch_scc1 .LBB17_28
; %bb.26:
	s_and_b32 s8, s9, 16
	s_lshl_b32 s12, s6, 6
	s_add_u32 s13, s2, s4
	s_addc_u32 s14, s3, s5
	s_add_u32 s13, s13, s0
	s_addc_u32 s14, s14, s1
	v_mov_b32_e32 v14, s14
	v_add_co_u32_e32 v15, vcc, s13, v18
	v_addc_co_u32_e32 v20, vcc, v14, v19, vcc
	v_add_co_u32_e32 v14, vcc, 4, v15
	v_addc_co_u32_e32 v15, vcc, 0, v20, vcc
	s_mov_b32 s13, 0
.LBB17_27:                              ; =>This Inner Loop Header: Depth=1
	global_load_dwordx2 v[44:45], v[14:15], off offset:-4
	v_mov_b32_e32 v40, s12
	ds_read2_b64 v[20:23], v40 offset1:8
	ds_read2_b64 v[24:27], v40 offset0:16 offset1:24
	ds_read2_b64 v[28:31], v40 offset0:32 offset1:40
	;; [unrolled: 1-line block ×5, first 2 shown]
	s_add_i32 s13, s13, 2
	s_add_i32 s12, s12, 8
	v_add_co_u32_e32 v14, vcc, 8, v14
	v_addc_co_u32_e32 v15, vcc, 0, v15, vcc
	s_cmp_lg_u32 s8, s13
	s_waitcnt vmcnt(0) lgkmcnt(5)
	v_fma_f32 v12, -v44, v20, v12
	v_fma_f32 v13, -v44, v22, v13
	s_waitcnt lgkmcnt(4)
	v_fma_f32 v6, -v44, v24, v6
	v_fma_f32 v7, -v44, v26, v7
	s_waitcnt lgkmcnt(3)
	;; [unrolled: 3-line block ×5, first 2 shown]
	v_fma_f32 v2, -v44, v40, v2
	v_fma_f32 v3, -v44, v42, v3
	;; [unrolled: 1-line block ×14, first 2 shown]
	s_cbranch_scc1 .LBB17_27
	s_branch .LBB17_29
.LBB17_28:
	s_mov_b32 s8, 0
.LBB17_29:
	s_lshl_b32 s12, s11, 4
	s_bitcmp0_b32 s9, 0
	s_cbranch_scc1 .LBB17_31
; %bb.30:
	s_lshl_b32 s9, s8, 2
	v_add_co_u32_e32 v14, vcc, s9, v16
	v_addc_co_u32_e32 v15, vcc, 0, v17, vcc
	global_load_dword v28, v[14:15], off
	s_lshl_b32 s9, s6, 4
	s_add_i32 s11, s12, s8
	s_add_i32 s9, s9, s8
	s_lshl_b32 s8, s11, 2
	s_lshl_b32 s9, s9, 2
	v_mov_b32_e32 v29, s8
	v_mov_b32_e32 v30, s9
	ds_read2_b32 v[14:15], v30 offset1:16
	ds_read2_b32 v[20:21], v30 offset0:32 offset1:48
	ds_read2_b32 v[22:23], v30 offset0:64 offset1:80
	;; [unrolled: 1-line block ×4, first 2 shown]
	ds_read_b32 v30, v30 offset:640
	ds_read_b32 v29, v29
	s_waitcnt vmcnt(0) lgkmcnt(6)
	v_fma_f32 v12, -v28, v14, v12
	v_fma_f32 v13, -v28, v15, v13
	s_waitcnt lgkmcnt(5)
	v_fma_f32 v6, -v28, v20, v6
	v_fma_f32 v7, -v28, v21, v7
	s_waitcnt lgkmcnt(4)
	;; [unrolled: 3-line block ×5, first 2 shown]
	v_fma_f32 v2, -v28, v30, v2
	s_waitcnt lgkmcnt(0)
	v_fma_f32 v3, -v28, v29, v3
.LBB17_31:
	s_mul_i32 s8, s6, 0x44
	v_mov_b32_e32 v58, s8
	s_lshl_b32 s8, s6, 4
	s_add_i32 s8, s6, s8
	s_lshl_b32 s8, s8, 2
	v_mov_b32_e32 v59, s8
	s_lshl_b32 s8, s6, 6
	s_or_b32 s7, s8, s7
	ds_read2_b32 v[44:45], v58 offset1:68
	s_or_b32 s8, s7, 0x80
	ds_read_b96 v[24:26], v59 offset:320
	ds_read_b64 v[14:15], v59 offset:64
	ds_read_b128 v[20:23], v59 offset:192
	ds_read2_b32 v[46:47], v59 offset0:83 offset1:84
	ds_read_b96 v[28:30], v59 offset:448
	ds_read2_b32 v[50:51], v59 offset0:115 offset1:116
	ds_read_b96 v[32:34], v59 offset:576
	s_add_i32 s11, s12, s6
	v_mov_b32_e32 v27, s8
	s_lshl_b32 s11, s11, 2
	v_mov_b32_e32 v60, s11
	ds_read_b96 v[36:38], v27
	ds_read_b96 v[40:42], v60
	s_or_b32 s9, s7, 0x180
	s_or_b32 s8, s7, 0x100
	s_waitcnt lgkmcnt(2)
	v_mov_b32_e32 v56, v33
	v_mov_b32_e32 v33, s9
	v_mul_f32_e32 v12, v12, v44
	v_mov_b32_e32 v48, v25
	v_mov_b32_e32 v49, v26
	v_fma_f32 v39, -v12, v24, v9
	ds_read_b128 v[24:27], v33
	v_mov_b32_e32 v9, s8
	v_mov_b32_e32 v52, v29
	;; [unrolled: 1-line block ×4, first 2 shown]
	s_waitcnt lgkmcnt(1)
	v_mov_b32_e32 v34, v41
	v_fma_f32 v41, -v12, v28, v11
	ds_read_b128 v[28:31], v9
	v_fma_f32 v11, -v12, v14, v13
	v_mul_f32_e32 v13, v11, v15
	s_waitcnt lgkmcnt(1)
	v_pk_mul_f32 v[14:15], v[12:13], v[24:25]
	v_fma_f32 v44, -v12, v40, v3
	v_sub_f32_e32 v3, v10, v14
	s_waitcnt lgkmcnt(0)
	v_pk_mul_f32 v[10:11], v[12:13], v[28:29]
	v_mov_b32_e32 v35, v42
	v_fma_f32 v42, -v12, v32, v5
	v_sub_f32_e32 v5, v8, v10
	v_pk_mul_f32 v[8:9], v[12:13], v[36:37]
	s_or_b32 s11, s7, 0x200
	v_sub_f32_e32 v6, v6, v8
	v_mov_b32_e32 v32, s11
	v_sub_f32_e32 v6, v6, v9
	ds_read2_b32 v[54:55], v59 offset0:117 offset1:118
	v_fma_f32 v20, -v12, v20, v7
	v_mul_f32_e32 v25, v6, v38
	ds_read_b128 v[6:9], v32
	v_sub_f32_e32 v61, v5, v11
	v_mov_b32_e32 v10, v21
	v_mov_b32_e32 v11, v22
	;; [unrolled: 1-line block ×3, first 2 shown]
	s_waitcnt lgkmcnt(0)
	v_pk_mul_f32 v[6:7], v[12:13], v[6:7]
	s_or_b32 s7, s7, 0x280
	v_sub_f32_e32 v62, v3, v15
	v_sub_f32_e32 v3, v4, v6
	v_pk_mul_f32 v[4:5], v[24:25], v[10:11]
	v_mov_b32_e32 v14, s7
	v_sub_f32_e32 v4, v20, v4
	v_sub_f32_e32 v63, v3, v7
	;; [unrolled: 1-line block ×3, first 2 shown]
	ds_read_b128 v[4:7], v14
	v_mul_f32_e32 v15, v3, v23
	ds_read_b128 v[20:23], v14 offset:16
	ds_read_b64 v[10:11], v14 offset:32
	v_pk_mul_f32 v[36:37], v[24:25], v[52:53]
	s_waitcnt lgkmcnt(2)
	v_pk_mul_f32 v[4:5], v[12:13], v[4:5]
	v_sub_f32_e32 v2, v2, v4
	v_sub_f32_e32 v64, v2, v5
	ds_read_b128 v[2:5], v32 offset:16
	v_mov_b32_e32 v14, v25
	v_pk_mul_f32 v[28:29], v[14:15], v[30:31]
	v_pk_mul_f32 v[30:31], v[24:25], v[48:49]
	v_sub_f32_e32 v36, v41, v36
	v_pk_mul_f32 v[40:41], v[24:25], v[56:57]
	v_pk_mul_f32 v[34:35], v[24:25], v[34:35]
	v_sub_f32_e32 v30, v39, v30
	;; [unrolled: 3-line block ×3, first 2 shown]
	v_pk_mul_f32 v[6:7], v[14:15], v[6:7]
	v_sub_f32_e32 v14, v44, v34
	v_sub_f32_e32 v65, v30, v31
	ds_read_b64 v[30:31], v33 offset:16
	ds_read2_b32 v[32:33], v58 offset0:85 offset1:102
	v_sub_f32_e32 v52, v36, v37
	ds_read2_b32 v[36:37], v58 offset0:119 offset1:136
	ds_read2_b32 v[38:39], v58 offset0:153 offset1:170
	v_sub_f32_e32 v53, v40, v41
	ds_read2_b32 v[40:41], v59 offset0:151 offset1:152
	ds_read2_b32 v[42:43], v59 offset0:149 offset1:150
	;; [unrolled: 1-line block ×3, first 2 shown]
	v_sub_f32_e32 v28, v61, v28
	v_sub_f32_e32 v34, v14, v35
	v_mov_b32_e32 v14, v25
	global_store_dwordx4 v[0:1], v[12:15], off
	v_sub_f32_e32 v6, v64, v6
	v_sub_f32_e32 v12, v28, v29
	v_mul_f32_e32 v13, v12, v45
	v_mov_b32_e32 v12, v15
	v_sub_f32_e32 v28, v6, v7
	v_pk_mul_f32 v[6:7], v[12:13], v[46:47]
	v_sub_f32_e32 v6, v65, v6
	s_waitcnt lgkmcnt(0)
	v_pk_mul_f32 v[14:15], v[12:13], v[48:49]
	v_sub_f32_e32 v6, v6, v7
	v_sub_f32_e32 v14, v53, v14
	v_mul_f32_e32 v7, v6, v32
	v_mov_b32_e32 v6, v13
	v_pk_mul_f32 v[24:25], v[6:7], v[30:31]
	v_sub_f32_e32 v31, v14, v15
	ds_read2_b32 v[14:15], v60 offset0:3 offset1:4
	v_sub_f32_e32 v26, v62, v26
	v_sub_f32_e32 v8, v63, v8
	;; [unrolled: 1-line block ×4, first 2 shown]
	v_pk_mul_f32 v[8:9], v[12:13], v[50:51]
	v_sub_f32_e32 v8, v52, v8
	v_sub_f32_e32 v30, v8, v9
	v_pk_mul_f32 v[8:9], v[6:7], v[20:21]
	s_waitcnt lgkmcnt(0)
	v_pk_mul_f32 v[14:15], v[12:13], v[14:15]
	v_sub_f32_e32 v24, v26, v24
	v_pk_mul_f32 v[2:3], v[6:7], v[2:3]
	v_sub_f32_e32 v6, v28, v8
	v_sub_f32_e32 v8, v34, v14
	;; [unrolled: 1-line block ×6, first 2 shown]
	v_mul_f32_e32 v3, v8, v33
	v_mov_b32_e32 v2, v7
	v_sub_f32_e32 v6, v6, v9
	v_pk_mul_f32 v[8:9], v[2:3], v[54:55]
	ds_read2_b32 v[20:21], v60 offset0:5 offset1:6
	ds_read2_b32 v[26:27], v60 offset0:7 offset1:8
	;; [unrolled: 1-line block ×3, first 2 shown]
	v_sub_f32_e32 v8, v30, v8
	v_sub_f32_e32 v8, v8, v9
	v_pk_mul_f32 v[14:15], v[2:3], v[42:43]
	v_mul_f32_e32 v9, v8, v36
	v_mov_b32_e32 v8, v3
	v_sub_f32_e32 v14, v31, v14
	v_pk_mul_f32 v[4:5], v[8:9], v[4:5]
	s_waitcnt lgkmcnt(2)
	v_pk_mul_f32 v[20:21], v[2:3], v[20:21]
	v_sub_f32_e32 v4, v24, v4
	v_sub_f32_e32 v24, v14, v15
	v_pk_mul_f32 v[14:15], v[8:9], v[22:23]
	v_sub_f32_e32 v2, v12, v20
	v_sub_f32_e32 v14, v6, v14
	v_sub_f32_e32 v12, v2, v21
	v_mov_b32_e32 v6, v13
	v_sub_f32_e32 v2, v4, v5
	global_store_dwordx4 v[0:1], v[6:9], off offset:16
	s_or_b32 s6, s6, 12
	v_mul_f32_e32 v7, v2, v37
	v_mov_b32_e32 v6, v9
	v_pk_mul_f32 v[2:3], v[6:7], v[40:41]
	v_sub_f32_e32 v2, v24, v2
	v_sub_f32_e32 v2, v2, v3
	v_mul_f32_e32 v3, v2, v38
	v_mov_b32_e32 v2, v7
	v_sub_f32_e32 v8, v14, v15
	v_pk_mul_f32 v[4:5], v[2:3], v[10:11]
	v_sub_f32_e32 v2, v8, v4
	s_waitcnt lgkmcnt(1)
	v_pk_mul_f32 v[8:9], v[6:7], v[26:27]
	v_sub_f32_e32 v4, v12, v8
	v_sub_f32_e32 v2, v2, v5
	ds_read_b32 v10, v58 offset:748
	v_sub_f32_e32 v6, v4, v9
	v_mul_f32_e32 v9, v2, v39
	v_mov_b32_e32 v8, v3
	s_waitcnt lgkmcnt(1)
	v_pk_mul_f32 v[4:5], v[8:9], v[28:29]
	v_sub_f32_e32 v2, v6, v4
	v_sub_f32_e32 v2, v2, v5
	s_waitcnt lgkmcnt(0)
	v_mul_f32_e32 v5, v2, v10
	v_mov_b32_e32 v2, v7
	v_mov_b32_e32 v4, v9
	global_store_dwordx4 v[0:1], v[2:5], off offset:32
.LBB17_32:
	s_cmp_ge_i32 s6, s18
	s_cbranch_scc1 .LBB17_43
; %bb.33:
	s_add_i32 s11, s6, -1
	s_lshl_b32 s12, s6, 6
	s_add_u32 s7, s2, s4
	s_addc_u32 s8, s3, s5
	s_add_u32 s7, s7, s0
	s_addc_u32 s8, s8, s1
	v_mov_b32_e32 v0, s8
	v_add_co_u32_e32 v1, vcc, s7, v18
	v_addc_co_u32_e32 v8, vcc, v0, v19, vcc
	v_add_co_u32_e32 v2, vcc, 28, v1
	v_addc_co_u32_e32 v3, vcc, 0, v8, vcc
	s_mov_b32 s9, 0
	s_mov_b32 s14, s6
	;; [unrolled: 1-line block ×3, first 2 shown]
	s_branch .LBB17_35
.LBB17_34:                              ;   in Loop: Header=BB17_35 Depth=1
	s_mul_i32 s7, s6, 0x44
	v_mov_b32_e32 v6, s7
	ds_read_b32 v6, v6
	s_add_i32 s6, s6, 1
	s_add_i32 s13, s13, 1
	s_add_i32 s12, s12, 64
	v_add_u16_e64 v7, s14, 1
	s_waitcnt lgkmcnt(0)
	v_mul_f32_e32 v0, v0, v6
	s_cmp_ge_i32 s6, s18
	v_readfirstlane_b32 s14, v7
	global_store_dword v[4:5], v0, off
	s_cbranch_scc1 .LBB17_43
.LBB17_35:                              ; =>This Loop Header: Depth=1
                                        ;     Child Loop BB17_38 Depth 2
                                        ;     Child Loop BB17_42 Depth 2
	s_ashr_i32 s7, s6, 31
	s_lshl_b64 s[20:21], s[6:7], 2
	v_mov_b32_e32 v0, s21
	v_add_co_u32_e32 v4, vcc, s20, v16
	v_addc_co_u32_e32 v5, vcc, v17, v0, vcc
	global_load_dword v0, v[4:5], off
	s_cmp_eq_u32 s6, 0
	s_waitcnt vmcnt(0)
	v_mul_f32_e32 v0, s16, v0
	s_cbranch_scc1 .LBB17_34
; %bb.36:                               ;   in Loop: Header=BB17_35 Depth=1
	s_add_i32 s7, s11, s13
	s_cmp_lt_u32 s7, 7
	s_cbranch_scc1 .LBB17_40
; %bb.37:                               ;   in Loop: Header=BB17_35 Depth=1
	s_and_b32 s8, s6, -8
	s_mov_b32 s7, 0
	v_pk_mov_b32 v[6:7], v[2:3], v[2:3] op_sel:[0,1]
	s_mov_b32 s15, s12
.LBB17_38:                              ;   Parent Loop BB17_35 Depth=1
                                        ; =>  This Inner Loop Header: Depth=2
	global_load_dwordx4 v[10:13], v[6:7], off offset:-28
	global_load_dwordx4 v[20:23], v[6:7], off offset:-12
	v_mov_b32_e32 v9, s15
	ds_read_b128 v[24:27], v9
	ds_read_b128 v[28:31], v9 offset:16
	s_add_i32 s7, s7, 8
	s_add_i32 s15, s15, 32
	v_add_co_u32_e32 v6, vcc, 32, v6
	v_addc_co_u32_e32 v7, vcc, 0, v7, vcc
	s_cmp_lg_u32 s8, s7
	s_waitcnt vmcnt(1) lgkmcnt(1)
	v_fma_f32 v0, -v10, v24, v0
	v_fma_f32 v0, -v11, v25, v0
	;; [unrolled: 1-line block ×4, first 2 shown]
	s_waitcnt vmcnt(0) lgkmcnt(0)
	v_fma_f32 v0, -v20, v28, v0
	v_fma_f32 v0, -v21, v29, v0
	;; [unrolled: 1-line block ×4, first 2 shown]
	s_cbranch_scc1 .LBB17_38
; %bb.39:                               ;   in Loop: Header=BB17_35 Depth=1
	s_and_b32 s7, s6, 7
	s_cmp_eq_u32 s7, 0
	s_cbranch_scc0 .LBB17_41
	s_branch .LBB17_34
.LBB17_40:                              ;   in Loop: Header=BB17_35 Depth=1
	s_mov_b32 s8, 0
	s_and_b32 s7, s6, 7
	s_cmp_eq_u32 s7, 0
	s_cbranch_scc1 .LBB17_34
.LBB17_41:                              ;   in Loop: Header=BB17_35 Depth=1
	s_lshl_b64 s[20:21], s[8:9], 2
	v_mov_b32_e32 v7, s21
	v_add_co_u32_e32 v6, vcc, s20, v1
	s_and_b32 s7, s14, 7
	s_lshl_b32 s15, s8, 2
	v_addc_co_u32_e32 v7, vcc, v8, v7, vcc
.LBB17_42:                              ;   Parent Loop BB17_35 Depth=1
                                        ; =>  This Inner Loop Header: Depth=2
	global_load_dword v9, v[6:7], off
	s_add_i32 s8, s12, s15
	v_mov_b32_e32 v10, s8
	ds_read_b32 v10, v10
	s_add_i32 s15, s15, 4
	v_add_co_u32_e32 v6, vcc, 4, v6
	s_add_i32 s7, s7, -1
	v_addc_co_u32_e32 v7, vcc, 0, v7, vcc
	s_cmp_lg_u32 s7, 0
	s_waitcnt vmcnt(0) lgkmcnt(0)
	v_fma_f32 v0, -v9, v10, v0
	s_cbranch_scc1 .LBB17_42
	s_branch .LBB17_34
.LBB17_43:
	s_mov_b64 s[6:7], 0
.LBB17_44:
	s_and_b64 vcc, exec, s[6:7]
	s_cbranch_vccz .LBB17_70
; %bb.45:
	s_add_i32 s6, s18, -1
	s_cmp_gt_i32 s10, 15
	s_cbranch_scc0 .LBB17_47
; %bb.46:
	s_ashr_i32 s19, s18, 31
	s_lshl_b64 s[8:9], s[18:19], 2
	v_mov_b32_e32 v0, s9
	v_add_co_u32_e32 v20, vcc, s8, v16
	v_addc_co_u32_e32 v21, vcc, v17, v0, vcc
	global_load_dword v7, v[20:21], off offset:-4
	s_mov_b32 s19, 0
	s_lshl_b64 s[8:9], s[18:19], 2
	v_mov_b32_e32 v1, s9
	v_add_co_u32_e32 v0, vcc, s8, v16
	v_addc_co_u32_e32 v1, vcc, v17, v1, vcc
	global_load_dwordx3 v[4:6], v[0:1], off offset:-16
	global_load_dwordx4 v[8:11], v[0:1], off offset:-32
	global_load_dwordx4 v[12:15], v[0:1], off offset:-48
	s_mul_i32 s15, s6, 0x44
	s_add_i32 s9, s18, -2
	s_lshl_b32 s8, s6, 4
	s_add_i32 s14, s18, -4
	s_lshl_b32 s7, s18, 4
	s_add_i32 s17, s18, -6
	s_add_i32 s19, s9, s8
	s_add_i32 s20, s15, 0xffffffbc
	;; [unrolled: 1-line block ×3, first 2 shown]
	s_lshl_b32 s11, s9, 4
	s_sub_i32 s9, s7, 48
	s_add_i32 s22, s15, 0xffffff34
	s_add_i32 s23, s17, s8
	s_lshl_b32 s13, s14, 4
	s_add_i32 s12, s7, 0xffffffb0
	s_lshl_b32 s19, s19, 2
	v_mov_b32_e32 v24, s20
	s_lshl_b32 s20, s21, 2
	s_add_i32 s21, s14, s11
	s_add_i32 s14, s14, s9
	v_mov_b32_e32 v30, s22
	s_lshl_b32 s22, s23, 2
	s_add_i32 s23, s17, s11
	s_add_i32 s25, s17, s9
	;; [unrolled: 1-line block ×5, first 2 shown]
	v_mov_b32_e32 v22, s19
	v_mov_b32_e32 v25, s20
	s_lshl_b32 s19, s21, 2
	s_lshl_b32 s14, s14, 2
	v_mov_b32_e32 v31, s22
	s_lshl_b32 s20, s23, 2
	s_lshl_b32 s21, s25, 2
	;; [unrolled: 1-line block ×4, first 2 shown]
	v_mov_b32_e32 v40, s24
	v_mov_b32_e32 v26, s19
	;; [unrolled: 1-line block ×7, first 2 shown]
	global_load_dwordx4 v[0:3], v[0:1], off offset:-64
	ds_read2_b32 v[22:23], v22 offset1:1
	ds_read_b32 v41, v24
	ds_read2_b32 v[24:25], v25 offset1:1
	ds_read2_b32 v[26:27], v26 offset1:1
	;; [unrolled: 1-line block ×3, first 2 shown]
	ds_read_b32 v42, v30
	ds_read2_b32 v[30:31], v31 offset1:1
	ds_read2_b32 v[32:33], v32 offset1:1
	;; [unrolled: 1-line block ×5, first 2 shown]
	ds_read_b32 v40, v40
	s_add_i32 s19, s18, -8
	s_add_i32 s14, s19, s8
	s_lshl_b32 s14, s14, 2
	s_add_i32 s21, s18, -10
	s_add_i32 s24, s18, -12
	s_add_i32 s23, s7, 0xffffff50
	s_waitcnt vmcnt(4)
	v_mul_f32_e32 v7, s16, v7
	s_waitcnt lgkmcnt(11)
	v_mul_f32_e32 v7, v7, v23
	v_mul_f32_e32 v22, v7, v22
	s_waitcnt lgkmcnt(9)
	v_mul_f32_e32 v23, v7, v25
	;; [unrolled: 3-line block ×3, first 2 shown]
	s_waitcnt vmcnt(3)
	v_fma_f32 v6, v6, s16, -v22
	v_mul_f32_e32 v22, v7, v30
	s_waitcnt vmcnt(2)
	v_fma_f32 v10, v10, s16, -v22
	v_mov_b32_e32 v22, s14
	s_add_i32 s14, s19, s11
	s_lshl_b32 s14, s14, 2
	v_fma_f32 v5, v5, s16, -v23
	v_fma_f32 v4, v4, s16, -v24
	v_mul_f32_e32 v6, v6, v41
	v_mov_b32_e32 v24, s14
	s_add_i32 s14, s19, s9
	ds_read2_b32 v[22:23], v22 offset1:1
	v_fma_f32 v5, -v6, v27, v5
	s_lshl_b32 s14, s14, 2
	v_fma_f32 v4, -v6, v26, v4
	v_mul_f32_e32 v5, v5, v29
	v_mov_b32_e32 v26, s14
	s_add_i32 s14, s19, s13
	v_fma_f32 v4, -v5, v28, v4
	s_lshl_b32 s14, s14, 2
	v_mul_f32_e32 v4, v4, v42
	v_mov_b32_e32 v28, s14
	s_add_i32 s14, s19, s12
	global_store_dwordx4 v[20:21], v[4:7], off offset:-16
	s_waitcnt lgkmcnt(0)
	v_mul_f32_e32 v23, v7, v23
	s_lshl_b32 s14, s14, 2
	v_fma_f32 v11, v11, s16, -v25
	ds_read2_b32 v[24:25], v24 offset1:1
	ds_read2_b32 v[26:27], v26 offset1:1
	;; [unrolled: 1-line block ×3, first 2 shown]
	v_fma_f32 v9, v9, s16, -v23
	v_mov_b32_e32 v23, s14
	s_lshl_b32 s14, s17, 4
	s_add_i32 s17, s19, s14
	s_lshl_b32 s17, s17, 2
	v_fma_f32 v11, -v6, v33, v11
	s_waitcnt lgkmcnt(2)
	v_fma_f32 v9, -v6, v25, v9
	v_mov_b32_e32 v25, s17
	s_add_i32 s17, s15, 0xfffffe68
	v_fma_f32 v11, -v5, v35, v11
	v_fma_f32 v10, -v6, v32, v10
	ds_read2_b32 v[30:31], v23 offset1:1
	ds_read2_b32 v[32:33], v25 offset1:1
	v_mov_b32_e32 v23, s17
	v_fma_f32 v11, -v4, v37, v11
	v_fma_f32 v10, -v5, v34, v10
	ds_read_b32 v23, v23
	s_add_i32 s17, s7, 0xffffff90
	v_mul_f32_e32 v11, v11, v39
	v_fma_f32 v10, -v4, v36, v10
	s_waitcnt lgkmcnt(4)
	v_fma_f32 v9, -v5, v27, v9
	s_add_i32 s20, s19, s17
	v_fma_f32 v10, -v11, v38, v10
	s_waitcnt lgkmcnt(3)
	v_fma_f32 v9, -v4, v29, v9
	v_mul_f32_e32 v22, v7, v22
	s_lshl_b32 s20, s20, 2
	v_mul_f32_e32 v10, v10, v40
	s_waitcnt lgkmcnt(2)
	v_fma_f32 v9, -v11, v31, v9
	v_fma_f32 v8, v8, s16, -v22
	v_mov_b32_e32 v22, s20
	s_waitcnt lgkmcnt(1)
	v_fma_f32 v9, -v10, v33, v9
	v_fma_f32 v8, -v6, v24, v8
	ds_read_b32 v22, v22
	s_add_i32 s20, s15, 0xfffffe24
	s_waitcnt lgkmcnt(1)
	v_mul_f32_e32 v9, v9, v23
	v_fma_f32 v8, -v5, v26, v8
	v_mov_b32_e32 v23, s20
	ds_read_b32 v23, v23
	v_fma_f32 v8, -v4, v28, v8
	v_fma_f32 v8, -v11, v30, v8
	s_add_i32 s20, s21, s8
	v_fma_f32 v8, -v10, v32, v8
	s_lshl_b32 s20, s20, 2
	s_waitcnt lgkmcnt(1)
	v_fma_f32 v8, -v9, v22, v8
	v_mov_b32_e32 v22, s20
	s_add_i32 s20, s21, s11
	s_lshl_b32 s20, s20, 2
	s_waitcnt lgkmcnt(0)
	v_mul_f32_e32 v8, v8, v23
	v_mov_b32_e32 v24, s20
	s_add_i32 s20, s21, s9
	ds_read2_b32 v[22:23], v22 offset1:1
	s_lshl_b32 s20, s20, 2
	v_mov_b32_e32 v26, s20
	s_add_i32 s20, s21, s13
	s_lshl_b32 s20, s20, 2
	global_store_dwordx4 v[20:21], v[8:11], off offset:-32
	v_mov_b32_e32 v28, s20
	s_add_i32 s20, s21, s12
	ds_read2_b32 v[24:25], v24 offset1:1
	ds_read2_b32 v[26:27], v26 offset1:1
	;; [unrolled: 1-line block ×3, first 2 shown]
	s_waitcnt lgkmcnt(3)
	v_mul_f32_e32 v23, v7, v23
	s_lshl_b32 s20, s20, 2
	s_waitcnt vmcnt(3)
	v_fma_f32 v15, v15, s16, -v23
	v_mov_b32_e32 v23, s20
	s_add_i32 s20, s21, s14
	s_lshl_b32 s20, s20, 2
	s_waitcnt lgkmcnt(2)
	v_fma_f32 v15, -v6, v25, v15
	v_mov_b32_e32 v25, s20
	s_add_i32 s20, s21, s17
	s_lshl_b32 s20, s20, 2
	s_lshl_b32 s19, s19, 4
	s_waitcnt lgkmcnt(1)
	v_fma_f32 v15, -v5, v27, v15
	v_mov_b32_e32 v27, s20
	s_add_i32 s20, s21, s19
	s_lshl_b32 s20, s20, 2
	s_waitcnt lgkmcnt(0)
	v_fma_f32 v15, -v4, v29, v15
	v_mov_b32_e32 v29, s20
	s_add_i32 s20, s15, 0xfffffde0
	ds_read2_b32 v[30:31], v23 offset1:1
	ds_read2_b32 v[32:33], v25 offset1:1
	;; [unrolled: 1-line block ×4, first 2 shown]
	v_mov_b32_e32 v23, s20
	ds_read_b32 v23, v23
	v_mul_f32_e32 v22, v7, v22
	s_add_i32 s20, s7, 0xffffff70
	s_waitcnt lgkmcnt(4)
	v_fma_f32 v15, -v11, v31, v15
	v_fma_f32 v14, v14, s16, -v22
	s_add_i32 s22, s21, s20
	s_waitcnt lgkmcnt(3)
	v_fma_f32 v15, -v10, v33, v15
	v_fma_f32 v14, -v6, v24, v14
	s_lshl_b32 s22, s22, 2
	s_waitcnt lgkmcnt(2)
	v_fma_f32 v15, -v9, v35, v15
	v_fma_f32 v14, -v5, v26, v14
	v_mov_b32_e32 v22, s22
	s_waitcnt lgkmcnt(1)
	v_fma_f32 v15, -v8, v37, v15
	v_fma_f32 v14, -v4, v28, v14
	ds_read_b32 v22, v22
	s_add_i32 s22, s15, 0xfffffd9c
	s_waitcnt lgkmcnt(1)
	v_mul_f32_e32 v15, v15, v23
	v_fma_f32 v14, -v11, v30, v14
	v_mov_b32_e32 v23, s22
	ds_read_b32 v23, v23
	v_fma_f32 v14, -v10, v32, v14
	v_fma_f32 v14, -v9, v34, v14
	s_add_i32 s22, s24, s8
	v_fma_f32 v14, -v8, v36, v14
	s_lshl_b32 s22, s22, 2
	s_waitcnt lgkmcnt(1)
	v_fma_f32 v14, -v15, v22, v14
	v_mov_b32_e32 v22, s22
	s_add_i32 s22, s24, s11
	s_lshl_b32 s22, s22, 2
	s_waitcnt lgkmcnt(0)
	v_mul_f32_e32 v14, v14, v23
	v_mov_b32_e32 v24, s22
	s_add_i32 s22, s24, s9
	ds_read2_b32 v[22:23], v22 offset1:1
	s_lshl_b32 s22, s22, 2
	v_mov_b32_e32 v26, s22
	s_add_i32 s22, s24, s13
	s_lshl_b32 s22, s22, 2
	v_mov_b32_e32 v28, s22
	s_add_i32 s22, s24, s12
	ds_read2_b32 v[24:25], v24 offset1:1
	ds_read2_b32 v[26:27], v26 offset1:1
	;; [unrolled: 1-line block ×3, first 2 shown]
	s_waitcnt lgkmcnt(3)
	v_mul_f32_e32 v23, v7, v23
	s_lshl_b32 s22, s22, 2
	v_fma_f32 v13, v13, s16, -v23
	v_mov_b32_e32 v23, s22
	s_add_i32 s22, s24, s14
	s_lshl_b32 s22, s22, 2
	s_waitcnt lgkmcnt(2)
	v_fma_f32 v13, -v6, v25, v13
	v_mov_b32_e32 v25, s22
	s_add_i32 s22, s24, s17
	s_lshl_b32 s22, s22, 2
	s_waitcnt lgkmcnt(1)
	v_fma_f32 v13, -v5, v27, v13
	v_mov_b32_e32 v27, s22
	s_add_i32 s22, s24, s19
	s_lshl_b32 s22, s22, 2
	ds_read2_b32 v[30:31], v23 offset1:1
	ds_read2_b32 v[32:33], v25 offset1:1
	v_mov_b32_e32 v23, s22
	s_add_i32 s22, s24, s20
	s_lshl_b32 s22, s22, 2
	s_lshl_b32 s21, s21, 4
	ds_read2_b32 v[34:35], v27 offset1:1
	ds_read2_b32 v[36:37], v23 offset1:1
	v_mov_b32_e32 v23, s22
	s_add_i32 s22, s24, s21
	s_waitcnt lgkmcnt(4)
	v_fma_f32 v13, -v4, v29, v13
	s_lshl_b32 s22, s22, 2
	s_addk_i32 s15, 0xfd58
	s_waitcnt lgkmcnt(3)
	v_fma_f32 v13, -v11, v31, v13
	v_mov_b32_e32 v25, s22
	ds_read2_b32 v[38:39], v23 offset1:1
	ds_read2_b32 v[40:41], v25 offset1:1
	v_mov_b32_e32 v23, s15
	s_waitcnt lgkmcnt(4)
	v_fma_f32 v13, -v10, v33, v13
	ds_read_b32 v23, v23
	s_waitcnt lgkmcnt(4)
	v_fma_f32 v13, -v9, v35, v13
	s_add_i32 s15, s24, s23
	s_waitcnt lgkmcnt(3)
	v_fma_f32 v13, -v8, v37, v13
	v_mul_f32_e32 v22, v7, v22
	s_lshl_b32 s15, s15, 2
	s_waitcnt lgkmcnt(2)
	v_fma_f32 v13, -v15, v39, v13
	v_fma_f32 v12, v12, s16, -v22
	v_mov_b32_e32 v22, s15
	s_mul_i32 s15, s18, 0x44
	s_waitcnt lgkmcnt(1)
	v_fma_f32 v13, -v14, v41, v13
	s_add_i32 s22, s15, 0xfffffcd0
	s_waitcnt lgkmcnt(0)
	v_mul_f32_e32 v13, v13, v23
	v_mov_b32_e32 v23, s22
	s_add_i32 s22, s18, -14
	s_add_i32 s25, s22, s8
	s_lshl_b32 s25, s25, 2
	v_fma_f32 v12, -v6, v24, v12
	v_mov_b32_e32 v24, s25
	s_add_i32 s25, s22, s11
	s_lshl_b32 s25, s25, 2
	v_mov_b32_e32 v25, s25
	v_fma_f32 v12, -v5, v26, v12
	ds_read_b32 v26, v22
	ds_read_b32 v27, v23
	ds_read2_b32 v[22:23], v24 offset1:1
	ds_read2_b32 v[24:25], v25 offset1:1
	v_fma_f32 v12, -v4, v28, v12
	v_fma_f32 v12, -v11, v30, v12
	;; [unrolled: 1-line block ×3, first 2 shown]
	s_add_i32 s25, s22, s9
	v_fma_f32 v12, -v9, v34, v12
	s_waitcnt lgkmcnt(1)
	v_mul_f32_e32 v23, v7, v23
	s_lshl_b32 s25, s25, 2
	v_fma_f32 v12, -v8, v36, v12
	s_waitcnt vmcnt(2)
	v_fma_f32 v3, v3, s16, -v23
	v_mov_b32_e32 v23, s25
	s_add_i32 s25, s22, s13
	v_fma_f32 v12, -v15, v38, v12
	s_lshl_b32 s25, s25, 2
	v_fma_f32 v12, -v14, v40, v12
	s_waitcnt lgkmcnt(0)
	v_fma_f32 v3, -v6, v25, v3
	v_mov_b32_e32 v25, s25
	s_add_i32 s25, s22, s12
	v_fma_f32 v12, -v13, v26, v12
	s_lshl_b32 s25, s25, 2
	v_mul_f32_e32 v12, v12, v27
	v_mov_b32_e32 v30, s25
	s_add_i32 s25, s22, s14
	global_store_dwordx4 v[20:21], v[12:15], off offset:-48
	s_lshl_b32 s25, s25, 2
	ds_read2_b32 v[26:27], v23 offset1:1
	ds_read2_b32 v[28:29], v25 offset1:1
	;; [unrolled: 1-line block ×3, first 2 shown]
	v_mov_b32_e32 v23, s25
	s_add_i32 s25, s22, s17
	s_lshl_b32 s25, s25, 2
	ds_read2_b32 v[32:33], v23 offset1:1
	v_mov_b32_e32 v23, s25
	s_add_i32 s25, s22, s19
	s_lshl_b32 s25, s25, 2
	v_mov_b32_e32 v25, s25
	s_add_i32 s25, s22, s20
	s_lshl_b32 s25, s25, 2
	s_waitcnt lgkmcnt(3)
	v_fma_f32 v3, -v5, v27, v3
	v_mov_b32_e32 v27, s25
	s_add_i32 s25, s22, s21
	s_lshl_b32 s25, s25, 2
	s_waitcnt lgkmcnt(2)
	v_fma_f32 v3, -v4, v29, v3
	v_mov_b32_e32 v29, s25
	s_add_i32 s25, s22, s23
	v_mul_f32_e32 v22, v7, v22
	s_lshl_b32 s25, s25, 2
	s_lshl_b32 s24, s24, 4
	v_fma_f32 v2, v2, s16, -v22
	ds_read2_b32 v[34:35], v23 offset1:1
	ds_read2_b32 v[36:37], v25 offset1:1
	;; [unrolled: 1-line block ×4, first 2 shown]
	v_mov_b32_e32 v23, s25
	s_add_i32 s25, s22, s24
	v_fma_f32 v2, -v6, v24, v2
	s_lshl_b32 s25, s25, 2
	v_fma_f32 v2, -v5, v26, v2
	s_waitcnt lgkmcnt(5)
	v_fma_f32 v3, -v11, v31, v3
	v_mov_b32_e32 v25, s25
	s_add_i32 s25, s7, 0xffffff30
	v_fma_f32 v2, -v4, v28, v2
	s_waitcnt lgkmcnt(4)
	v_fma_f32 v3, -v10, v33, v3
	s_add_i32 s26, s22, s25
	v_fma_f32 v2, -v11, v30, v2
	s_waitcnt lgkmcnt(3)
	v_fma_f32 v3, -v9, v35, v3
	s_lshl_b32 s26, s26, 2
	v_fma_f32 v2, -v10, v32, v2
	s_waitcnt lgkmcnt(2)
	v_fma_f32 v3, -v8, v37, v3
	v_mov_b32_e32 v27, s26
	s_add_i32 s26, s15, 0xfffffc48
	ds_read2_b32 v[42:43], v23 offset1:1
	ds_read2_b32 v[44:45], v25 offset1:1
	;; [unrolled: 1-line block ×3, first 2 shown]
	v_fma_f32 v2, -v9, v34, v2
	s_waitcnt lgkmcnt(4)
	v_fma_f32 v3, -v15, v39, v3
	v_mov_b32_e32 v23, s26
	v_fma_f32 v2, -v8, v36, v2
	s_waitcnt lgkmcnt(3)
	v_fma_f32 v3, -v14, v41, v3
	ds_read_b32 v23, v23
	v_fma_f32 v2, -v15, v38, v2
	s_add_i32 s26, s18, -16
	s_waitcnt lgkmcnt(3)
	v_fma_f32 v3, -v13, v43, v3
	v_fma_f32 v2, -v14, v40, v2
	s_add_i32 s8, s26, s8
	s_waitcnt lgkmcnt(2)
	v_fma_f32 v3, -v12, v45, v3
	v_fma_f32 v2, -v13, v42, v2
	s_lshl_b32 s8, s8, 2
	s_waitcnt lgkmcnt(1)
	v_mul_f32_e32 v3, v3, v47
	v_fma_f32 v2, -v12, v44, v2
	v_mov_b32_e32 v22, s8
	s_add_i32 s8, s26, s11
	v_fma_f32 v2, -v3, v46, v2
	s_lshl_b32 s8, s8, 2
	s_waitcnt lgkmcnt(0)
	v_mul_f32_e32 v2, v2, v23
	v_mov_b32_e32 v24, s8
	s_add_i32 s8, s26, s9
	ds_read2_b32 v[22:23], v22 offset1:1
	s_lshl_b32 s8, s8, 2
	v_mov_b32_e32 v26, s8
	s_add_i32 s8, s26, s13
	s_lshl_b32 s8, s8, 2
	v_mov_b32_e32 v28, s8
	s_add_i32 s8, s26, s12
	ds_read2_b32 v[24:25], v24 offset1:1
	ds_read2_b32 v[26:27], v26 offset1:1
	;; [unrolled: 1-line block ×3, first 2 shown]
	s_waitcnt lgkmcnt(3)
	v_mul_f32_e32 v23, v7, v23
	s_lshl_b32 s8, s8, 2
	v_fma_f32 v1, v1, s16, -v23
	v_mov_b32_e32 v23, s8
	s_add_i32 s8, s26, s14
	s_lshl_b32 s8, s8, 2
	s_waitcnt lgkmcnt(2)
	v_fma_f32 v1, -v6, v25, v1
	v_mov_b32_e32 v25, s8
	s_add_i32 s8, s26, s17
	s_lshl_b32 s8, s8, 2
	s_waitcnt lgkmcnt(1)
	v_fma_f32 v1, -v5, v27, v1
	v_mov_b32_e32 v27, s8
	s_add_i32 s8, s26, s19
	s_lshl_b32 s8, s8, 2
	ds_read2_b32 v[30:31], v23 offset1:1
	ds_read2_b32 v[32:33], v25 offset1:1
	;; [unrolled: 1-line block ×3, first 2 shown]
	v_mov_b32_e32 v23, s8
	s_add_i32 s8, s26, s20
	s_lshl_b32 s8, s8, 2
	ds_read2_b32 v[36:37], v23 offset1:1
	v_mov_b32_e32 v23, s8
	s_add_i32 s8, s26, s21
	s_lshl_b32 s8, s8, 2
	v_mov_b32_e32 v25, s8
	s_add_i32 s8, s26, s23
	v_mul_f32_e32 v7, v7, v22
	s_lshl_b32 s8, s8, 2
	v_fma_f32 v0, v0, s16, -v7
	v_mov_b32_e32 v27, s8
	s_add_i32 s8, s26, s24
	v_fma_f32 v0, -v6, v24, v0
	s_waitcnt lgkmcnt(4)
	v_fma_f32 v1, -v4, v29, v1
	s_lshl_b32 s8, s8, 2
	v_fma_f32 v0, -v5, v26, v0
	s_waitcnt lgkmcnt(3)
	v_fma_f32 v1, -v11, v31, v1
	v_mov_b32_e32 v29, s8
	s_add_i32 s8, s26, s25
	v_fma_f32 v0, -v4, v28, v0
	s_waitcnt lgkmcnt(2)
	v_fma_f32 v1, -v10, v33, v1
	s_lshl_b32 s8, s8, 2
	v_fma_f32 v0, -v11, v30, v0
	s_waitcnt lgkmcnt(1)
	v_fma_f32 v1, -v9, v35, v1
	ds_read2_b32 v[38:39], v23 offset1:1
	ds_read2_b32 v[40:41], v25 offset1:1
	;; [unrolled: 1-line block ×4, first 2 shown]
	v_mov_b32_e32 v23, s8
	s_lshl_b32 s8, s22, 4
	s_add_i32 s7, s7, s26
	v_fma_f32 v0, -v10, v32, v0
	s_waitcnt lgkmcnt(4)
	v_fma_f32 v1, -v8, v37, v1
	s_add_i32 s8, s26, s8
	s_lshl_b32 s7, s7, 2
	v_fma_f32 v0, -v9, v34, v0
	s_waitcnt lgkmcnt(3)
	v_fma_f32 v1, -v15, v39, v1
	s_lshl_b32 s8, s8, 2
	s_addk_i32 s7, 0xfc40
	v_fma_f32 v0, -v8, v36, v0
	s_waitcnt lgkmcnt(2)
	v_fma_f32 v1, -v14, v41, v1
	v_mov_b32_e32 v25, s8
	v_mov_b32_e32 v27, s7
	s_add_i32 s7, s15, 0xfffffbc0
	ds_read2_b32 v[46:47], v23 offset1:1
	ds_read2_b32 v[48:49], v25 offset1:1
	;; [unrolled: 1-line block ×3, first 2 shown]
	v_fma_f32 v0, -v15, v38, v0
	s_waitcnt lgkmcnt(4)
	v_fma_f32 v1, -v13, v43, v1
	v_mov_b32_e32 v23, s7
	v_fma_f32 v0, -v14, v40, v0
	s_waitcnt lgkmcnt(3)
	v_fma_f32 v1, -v12, v45, v1
	ds_read_b32 v23, v23
	v_fma_f32 v0, -v13, v42, v0
	s_waitcnt lgkmcnt(3)
	v_fma_f32 v1, -v3, v47, v1
	v_fma_f32 v0, -v12, v44, v0
	s_waitcnt lgkmcnt(2)
	v_fma_f32 v1, -v2, v49, v1
	v_fma_f32 v0, -v3, v46, v0
	s_waitcnt lgkmcnt(1)
	v_mul_f32_e32 v1, v1, v51
	v_fma_f32 v0, -v2, v48, v0
	v_fma_f32 v0, -v1, v50, v0
	s_waitcnt lgkmcnt(0)
	v_mul_f32_e32 v0, v0, v23
	s_sub_i32 s8, s18, 17
	global_store_dwordx4 v[20:21], v[0:3], off offset:-64
	s_cmp_gt_i32 s8, -1
	s_cbranch_scc1 .LBB17_48
	s_branch .LBB17_70
.LBB17_47:
	s_mov_b32 s8, s6
	s_cmp_gt_i32 s8, -1
	s_cbranch_scc0 .LBB17_70
.LBB17_48:
	s_cmp_lt_u32 s8, 11
	s_cbranch_scc1 .LBB17_53
; %bb.49:
	s_mov_b32 s9, 0
	s_lshl_b64 s[12:13], s[8:9], 2
	v_mov_b32_e32 v1, s13
	v_add_co_u32_e32 v0, vcc, s12, v16
	v_addc_co_u32_e32 v1, vcc, v17, v1, vcc
	global_load_dwordx4 v[2:5], v[0:1], off offset:-12
	global_load_dwordx4 v[6:9], v[0:1], off offset:-28
	;; [unrolled: 1-line block ×3, first 2 shown]
	s_cmp_le_i32 s6, s8
	s_waitcnt vmcnt(2)
	v_pk_mul_f32 v[4:5], v[4:5], s[16:17] op_sel_hi:[1,0]
	v_pk_mul_f32 v[20:21], v[2:3], s[16:17] op_sel_hi:[1,0]
	s_waitcnt vmcnt(1)
	v_pk_mul_f32 v[8:9], v[8:9], s[16:17] op_sel_hi:[1,0]
	v_pk_mul_f32 v[6:7], v[6:7], s[16:17] op_sel_hi:[1,0]
	;; [unrolled: 3-line block ×3, first 2 shown]
	v_mov_b32_e32 v2, v5
	v_mov_b32_e32 v3, v4
	;; [unrolled: 1-line block ×12, first 2 shown]
	s_cbranch_scc1 .LBB17_52
; %bb.50:
	s_lshl_b32 s7, s18, 6
	s_lshl_b32 s9, s8, 2
	s_add_i32 s7, s7, s9
	s_add_i32 s9, s7, 0xffffff94
	s_ashr_i32 s7, s6, 31
	s_lshl_b64 s[12:13], s[6:7], 2
	s_add_u32 s7, s2, s12
	s_addc_u32 s11, s3, s13
	s_add_u32 s7, s7, s4
	s_addc_u32 s11, s11, s5
	;; [unrolled: 2-line block ×3, first 2 shown]
	v_mov_b32_e32 v11, s11
	v_add_co_u32_e32 v10, vcc, s7, v18
	v_addc_co_u32_e32 v11, vcc, v11, v19, vcc
	s_mov_b32 s7, s6
.LBB17_51:                              ; =>This Inner Loop Header: Depth=1
	global_load_dword v20, v[10:11], off
	v_mov_b32_e32 v21, s9
	ds_read2_b32 v[22:23], v21 offset0:10 offset1:11
	ds_read2_b32 v[24:25], v21 offset0:8 offset1:9
	;; [unrolled: 1-line block ×5, first 2 shown]
	ds_read2_b32 v[32:33], v21 offset1:1
	s_add_i32 s7, s7, -1
	s_sub_i32 s9, s9, 64
	v_add_co_u32_e32 v10, vcc, -4, v10
	v_addc_co_u32_e32 v11, vcc, -1, v11, vcc
	s_cmp_gt_i32 s7, s8
	s_waitcnt vmcnt(0) lgkmcnt(5)
	v_pk_mul_f32 v[22:23], v[20:21], v[22:23] op_sel_hi:[0,1]
	s_waitcnt lgkmcnt(4)
	v_pk_mul_f32 v[24:25], v[20:21], v[24:25] op_sel_hi:[0,1]
	s_waitcnt lgkmcnt(3)
	;; [unrolled: 2-line block ×5, first 2 shown]
	v_pk_mul_f32 v[20:21], v[20:21], v[32:33] op_sel_hi:[0,1]
	v_pk_add_f32 v[2:3], v[2:3], v[22:23] op_sel:[0,1] op_sel_hi:[1,0] neg_lo:[0,1] neg_hi:[0,1]
	v_pk_add_f32 v[14:15], v[14:15], v[24:25] op_sel:[0,1] op_sel_hi:[1,0] neg_lo:[0,1] neg_hi:[0,1]
	;; [unrolled: 1-line block ×6, first 2 shown]
	s_cbranch_scc1 .LBB17_51
.LBB17_52:
	s_add_i32 s9, s8, -1
	s_lshl_b32 s11, s8, 4
	s_add_i32 s12, s9, s11
	s_mul_i32 s7, s8, 0x44
	s_lshl_b32 s12, s12, 2
	v_mov_b32_e32 v10, s12
	s_add_i32 s12, s7, 0xffffffbc
	s_add_i32 s13, s8, -3
	v_mov_b32_e32 v20, s12
	s_add_i32 s12, s13, s11
	s_lshl_b32 s12, s12, 2
	v_mov_b32_e32 v21, s12
	s_lshl_b32 s12, s9, 4
	ds_read2_b32 v[10:11], v10 offset1:1
	s_add_i32 s9, s13, s12
	s_lshl_b32 s9, s9, 2
	v_mov_b32_e32 v22, s9
	ds_read_b32 v24, v20
	ds_read2_b32 v[20:21], v21 offset1:1
	ds_read2_b32 v[22:23], v22 offset1:1
	s_waitcnt lgkmcnt(3)
	v_mul_f32_e32 v38, v2, v11
	s_ashr_i32 s9, s8, 31
	global_store_dword v[0:1], v38, off
	v_fma_f32 v0, -v38, v10, v3
	s_lshl_b64 s[14:15], s[8:9], 2
	s_sub_i32 s9, s11, 32
	s_waitcnt lgkmcnt(2)
	v_mul_f32_e32 v2, v0, v24
	v_mov_b32_e32 v0, s15
	v_add_co_u32_e32 v10, vcc, s14, v16
	s_add_i32 s14, s13, s9
	v_addc_co_u32_e32 v11, vcc, v17, v0, vcc
	s_waitcnt lgkmcnt(1)
	v_fma_f32 v0, -v38, v21, v14
	s_lshl_b32 s14, s14, 2
	s_waitcnt lgkmcnt(0)
	v_fma_f32 v3, -v2, v23, v0
	v_mov_b32_e32 v0, s14
	s_add_i32 s14, s7, 0xffffff34
	s_add_i32 s15, s8, -5
	v_mov_b32_e32 v14, s14
	s_add_i32 s14, s15, s11
	s_lshl_b32 s14, s14, 2
	ds_read2_b32 v[0:1], v0 offset1:1
	v_mov_b32_e32 v21, s14
	s_add_i32 s14, s15, s12
	s_lshl_b32 s14, s14, 2
	v_mov_b32_e32 v23, s14
	ds_read_b32 v14, v14
	ds_read2_b32 v[24:25], v21 offset1:1
	ds_read2_b32 v[26:27], v23 offset1:1
	s_waitcnt lgkmcnt(3)
	v_mul_f32_e32 v1, v3, v1
	v_fma_f32 v3, -v38, v20, v15
	s_add_i32 s14, s15, s9
	v_fma_f32 v3, -v2, v22, v3
	s_lshl_b32 s14, s14, 2
	v_fma_f32 v0, -v1, v0, v3
	s_waitcnt lgkmcnt(1)
	v_fma_f32 v3, -v38, v25, v12
	v_mov_b32_e32 v12, s14
	s_lshl_b32 s14, s13, 4
	s_add_i32 s13, s15, s14
	s_lshl_b32 s13, s13, 2
	v_mov_b32_e32 v20, s13
	s_sub_i32 s13, s11, 64
	s_add_i32 s17, s15, s13
	v_mul_f32_e32 v0, v0, v14
	s_lshl_b32 s17, s17, 2
	global_store_dwordx3 v[10:11], v[0:2], off offset:-12
	v_mov_b32_e32 v22, s17
	ds_read2_b32 v[14:15], v12 offset1:1
	ds_read2_b32 v[20:21], v20 offset1:1
	;; [unrolled: 1-line block ×3, first 2 shown]
	s_waitcnt lgkmcnt(3)
	v_fma_f32 v3, -v2, v27, v3
	s_add_i32 s17, s7, 0xfffffeac
	s_waitcnt lgkmcnt(2)
	v_fma_f32 v3, -v1, v15, v3
	v_mov_b32_e32 v12, s17
	s_waitcnt lgkmcnt(1)
	v_fma_f32 v3, -v0, v21, v3
	ds_read_b32 v12, v12
	s_waitcnt lgkmcnt(1)
	v_mul_f32_e32 v15, v3, v23
	v_fma_f32 v3, -v38, v24, v13
	v_fma_f32 v3, -v2, v26, v3
	;; [unrolled: 1-line block ×3, first 2 shown]
	s_add_i32 s17, s8, -7
	v_fma_f32 v3, -v0, v20, v3
	s_add_i32 s19, s17, s11
	v_fma_f32 v3, -v15, v22, v3
	s_lshl_b32 s19, s19, 2
	s_waitcnt lgkmcnt(0)
	v_mul_f32_e32 v14, v3, v12
	v_mov_b32_e32 v3, s19
	s_add_i32 s19, s17, s12
	s_lshl_b32 s19, s19, 2
	v_mov_b32_e32 v20, s19
	s_add_i32 s19, s17, s9
	s_lshl_b32 s19, s19, 2
	v_mov_b32_e32 v22, s19
	s_add_i32 s19, s17, s14
	ds_read2_b32 v[12:13], v3 offset1:1
	ds_read2_b32 v[20:21], v20 offset1:1
	s_lshl_b32 s19, s19, 2
	v_mov_b32_e32 v3, s19
	s_add_i32 s19, s17, s13
	s_lshl_b32 s19, s19, 2
	s_lshl_b32 s15, s15, 4
	ds_read2_b32 v[22:23], v22 offset1:1
	ds_read2_b32 v[24:25], v3 offset1:1
	s_waitcnt lgkmcnt(3)
	v_fma_f32 v3, -v38, v13, v8
	v_mov_b32_e32 v8, s19
	s_add_i32 s19, s17, s15
	s_lshl_b32 s19, s19, 2
	v_mov_b32_e32 v13, s19
	s_add_i32 s19, s7, 0xfffffe68
	ds_read2_b32 v[26:27], v8 offset1:1
	ds_read2_b32 v[28:29], v13 offset1:1
	v_mov_b32_e32 v8, s19
	s_waitcnt lgkmcnt(4)
	v_fma_f32 v3, -v2, v21, v3
	ds_read_b32 v8, v8
	s_waitcnt lgkmcnt(4)
	v_fma_f32 v3, -v1, v23, v3
	s_waitcnt lgkmcnt(3)
	v_fma_f32 v3, -v0, v25, v3
	s_add_i32 s19, s11, 0xffffffa0
	s_waitcnt lgkmcnt(2)
	v_fma_f32 v3, -v15, v27, v3
	s_add_i32 s20, s17, s19
	s_waitcnt lgkmcnt(1)
	v_fma_f32 v3, -v14, v29, v3
	s_lshl_b32 s20, s20, 2
	s_waitcnt lgkmcnt(0)
	v_mul_f32_e32 v13, v3, v8
	v_fma_f32 v3, -v38, v12, v9
	v_mov_b32_e32 v8, s20
	s_add_i32 s20, s7, 0xfffffe24
	v_fma_f32 v3, -v2, v20, v3
	ds_read_b32 v8, v8
	v_mov_b32_e32 v9, s20
	v_fma_f32 v3, -v1, v22, v3
	ds_read_b32 v9, v9
	v_fma_f32 v3, -v0, v24, v3
	v_fma_f32 v3, -v15, v26, v3
	s_add_i32 s20, s8, -9
	v_fma_f32 v3, -v14, v28, v3
	s_add_i32 s21, s20, s11
	s_waitcnt lgkmcnt(1)
	v_fma_f32 v3, -v13, v8, v3
	s_lshl_b32 s21, s21, 2
	s_waitcnt lgkmcnt(0)
	v_mul_f32_e32 v12, v3, v9
	v_mov_b32_e32 v3, s21
	s_add_i32 s21, s20, s12
	s_lshl_b32 s21, s21, 2
	v_mov_b32_e32 v20, s21
	s_add_i32 s21, s20, s9
	s_lshl_b32 s21, s21, 2
	v_mov_b32_e32 v22, s21
	s_add_i32 s21, s20, s14
	s_lshl_b32 s21, s21, 2
	v_mov_b32_e32 v24, s21
	ds_read2_b32 v[8:9], v3 offset1:1
	ds_read2_b32 v[20:21], v20 offset1:1
	;; [unrolled: 1-line block ×4, first 2 shown]
	s_add_i32 s21, s20, s13
	s_lshl_b32 s21, s21, 2
	s_waitcnt lgkmcnt(3)
	v_fma_f32 v3, -v38, v9, v6
	v_mov_b32_e32 v6, s21
	s_add_i32 s21, s20, s15
	s_lshl_b32 s21, s21, 2
	v_mov_b32_e32 v9, s21
	s_add_i32 s21, s20, s19
	s_lshl_b32 s21, s21, 2
	s_lshl_b32 s17, s17, 4
	s_waitcnt lgkmcnt(2)
	v_fma_f32 v3, -v2, v21, v3
	v_mov_b32_e32 v21, s21
	s_add_i32 s21, s20, s17
	s_lshl_b32 s21, s21, 2
	global_store_dwordx4 v[10:11], v[12:15], off offset:-28
	s_waitcnt lgkmcnt(1)
	v_fma_f32 v3, -v1, v23, v3
	v_mov_b32_e32 v23, s21
	s_add_i32 s21, s7, 0xfffffde0
	ds_read2_b32 v[26:27], v6 offset1:1
	ds_read2_b32 v[28:29], v9 offset1:1
	;; [unrolled: 1-line block ×4, first 2 shown]
	v_mov_b32_e32 v6, s21
	s_waitcnt lgkmcnt(4)
	v_fma_f32 v3, -v0, v25, v3
	ds_read_b32 v6, v6
	s_waitcnt lgkmcnt(4)
	v_fma_f32 v3, -v15, v27, v3
	s_waitcnt lgkmcnt(3)
	v_fma_f32 v3, -v14, v29, v3
	;; [unrolled: 2-line block ×4, first 2 shown]
	s_add_i32 s21, s11, 0xffffff80
	s_waitcnt lgkmcnt(0)
	v_mul_f32_e32 v9, v3, v6
	v_fma_f32 v3, -v38, v8, v7
	s_add_i32 s22, s20, s21
	v_fma_f32 v3, -v2, v20, v3
	s_lshl_b32 s22, s22, 2
	v_fma_f32 v3, -v1, v22, v3
	v_mov_b32_e32 v6, s22
	v_fma_f32 v3, -v0, v24, v3
	ds_read_b32 v6, v6
	v_fma_f32 v3, -v15, v26, v3
	v_fma_f32 v3, -v14, v28, v3
	v_fma_f32 v3, -v13, v30, v3
	v_fma_f32 v3, -v12, v32, v3
	s_add_i32 s22, s7, 0xfffffd9c
	s_waitcnt lgkmcnt(0)
	v_fma_f32 v3, -v9, v6, v3
	v_mov_b32_e32 v6, s22
	s_add_i32 s22, s8, -11
	s_add_i32 s9, s22, s9
	s_lshl_b32 s9, s9, 2
	ds_read_b32 v8, v6
	s_add_i32 s11, s22, s11
	s_add_i32 s12, s22, s12
	v_mov_b32_e32 v22, s9
	s_add_i32 s9, s22, s14
	s_lshl_b32 s11, s11, 2
	s_lshl_b32 s12, s12, 2
	s_lshl_b32 s9, s9, 2
	v_mov_b32_e32 v6, s11
	v_mov_b32_e32 v20, s12
	;; [unrolled: 1-line block ×3, first 2 shown]
	ds_read2_b32 v[6:7], v6 offset1:1
	ds_read2_b32 v[20:21], v20 offset1:1
	ds_read2_b32 v[22:23], v22 offset1:1
	ds_read2_b32 v[24:25], v24 offset1:1
	s_add_i32 s9, s22, s13
	s_lshl_b32 s9, s9, 2
	s_waitcnt lgkmcnt(4)
	v_mul_f32_e32 v8, v3, v8
	s_waitcnt lgkmcnt(3)
	v_fma_f32 v3, -v38, v7, v4
	v_mov_b32_e32 v4, s9
	s_add_i32 s9, s22, s15
	s_lshl_b32 s9, s9, 2
	v_mov_b32_e32 v7, s9
	s_add_i32 s9, s22, s19
	s_lshl_b32 s9, s9, 2
	s_waitcnt lgkmcnt(2)
	v_fma_f32 v3, -v2, v21, v3
	v_mov_b32_e32 v21, s9
	s_add_i32 s9, s22, s17
	s_lshl_b32 s9, s9, 2
	ds_read2_b32 v[26:27], v4 offset1:1
	ds_read2_b32 v[28:29], v7 offset1:1
	v_mov_b32_e32 v4, s9
	s_add_i32 s9, s22, s21
	s_lshl_b32 s9, s9, 2
	ds_read2_b32 v[30:31], v21 offset1:1
	ds_read2_b32 v[32:33], v4 offset1:1
	v_mov_b32_e32 v4, s9
	s_lshl_b32 s9, s20, 4
	s_add_i32 s22, s22, s9
	s_waitcnt lgkmcnt(5)
	v_fma_f32 v3, -v1, v23, v3
	s_lshl_b32 s9, s22, 2
	s_waitcnt lgkmcnt(4)
	v_fma_f32 v3, -v0, v25, v3
	v_mov_b32_e32 v7, s9
	s_add_i32 s9, s7, 0xfffffd58
	s_waitcnt lgkmcnt(3)
	v_fma_f32 v3, -v15, v27, v3
	ds_read2_b32 v[34:35], v4 offset1:1
	ds_read2_b32 v[36:37], v7 offset1:1
	v_mov_b32_e32 v4, s9
	s_waitcnt lgkmcnt(4)
	v_fma_f32 v3, -v14, v29, v3
	ds_read_b32 v4, v4
	s_waitcnt lgkmcnt(4)
	v_fma_f32 v3, -v13, v31, v3
	s_waitcnt lgkmcnt(3)
	v_fma_f32 v3, -v12, v33, v3
	;; [unrolled: 2-line block ×4, first 2 shown]
	s_waitcnt lgkmcnt(0)
	v_mul_f32_e32 v7, v3, v4
	v_fma_f32 v3, -v38, v6, v5
	v_fma_f32 v2, -v2, v20, v3
	;; [unrolled: 1-line block ×5, first 2 shown]
	s_add_i32 s9, s11, 0xfffffd80
	s_addk_i32 s7, 0xfd14
	v_fma_f32 v0, -v14, v28, v0
	v_mov_b32_e32 v1, s9
	v_mov_b32_e32 v2, s7
	v_fma_f32 v0, -v13, v30, v0
	ds_read_b32 v1, v1
	ds_read_b32 v2, v2
	v_fma_f32 v0, -v12, v32, v0
	v_fma_f32 v0, -v9, v34, v0
	;; [unrolled: 1-line block ×3, first 2 shown]
	s_waitcnt lgkmcnt(1)
	v_fma_f32 v0, -v7, v1, v0
	s_waitcnt lgkmcnt(0)
	v_mul_f32_e32 v6, v0, v2
	s_add_i32 s8, s8, -12
	global_store_dwordx4 v[10:11], v[6:9], off offset:-44
.LBB17_53:
	s_cmp_lt_i32 s8, 0
	s_cbranch_scc1 .LBB17_70
; %bb.54:
	s_add_i32 s7, s8, 1
	s_and_b32 s9, s7, 3
	s_cmp_eq_u32 s9, 0
	s_mov_b32 s12, s8
	s_cbranch_scc1 .LBB17_59
; %bb.55:
	s_lshl_b32 s7, s18, 6
	s_lshl_b32 s11, s8, 2
	s_add_i32 s7, s7, s11
	s_sub_i32 s11, s7, 64
	s_ashr_i32 s7, s6, 31
	s_lshl_b64 s[12:13], s[6:7], 2
	s_add_u32 s7, s2, s12
	s_addc_u32 s12, s3, s13
	s_add_u32 s7, s7, s4
	s_addc_u32 s12, s12, s5
	;; [unrolled: 2-line block ×3, first 2 shown]
	v_mov_b32_e32 v0, s12
	v_add_co_u32_e32 v2, vcc, s7, v18
	s_mov_b32 s13, 0
	v_addc_co_u32_e32 v3, vcc, v0, v19, vcc
	s_mov_b32 s12, s8
	s_mov_b32 s7, s13
	s_branch .LBB17_57
.LBB17_56:                              ;   in Loop: Header=BB17_57 Depth=1
	s_mul_i32 s14, s12, 0x44
	v_mov_b32_e32 v1, s14
	ds_read_b32 v1, v1
	s_ashr_i32 s15, s12, 31
	s_mov_b32 s14, s12
	s_lshl_b64 s[14:15], s[14:15], 2
	v_mov_b32_e32 v4, s15
	s_waitcnt lgkmcnt(0)
	v_mul_f32_e32 v5, v0, v1
	v_add_co_u32_e32 v0, vcc, s14, v16
	s_add_i32 s12, s12, -1
	s_add_i32 s7, s7, 1
	s_add_i32 s11, s11, -4
	v_addc_co_u32_e32 v1, vcc, v17, v4, vcc
	s_cmp_lg_u32 s7, s9
	global_store_dword v[0:1], v5, off
	s_cbranch_scc0 .LBB17_59
.LBB17_57:                              ; =>This Loop Header: Depth=1
                                        ;     Child Loop BB17_58 Depth 2
	s_lshl_b64 s[14:15], s[12:13], 2
	v_mov_b32_e32 v1, s15
	v_add_co_u32_e32 v0, vcc, s14, v16
	v_addc_co_u32_e32 v1, vcc, v17, v1, vcc
	global_load_dword v0, v[0:1], off
	v_pk_mov_b32 v[4:5], v[2:3], v[2:3] op_sel:[0,1]
	s_mov_b32 s14, s11
	s_cmp_le_i32 s6, s12
	s_mov_b32 s15, s6
	s_waitcnt vmcnt(0)
	v_mul_f32_e32 v0, s16, v0
	s_cbranch_scc1 .LBB17_56
.LBB17_58:                              ;   Parent Loop BB17_57 Depth=1
                                        ; =>  This Inner Loop Header: Depth=2
	global_load_dword v1, v[4:5], off
	v_mov_b32_e32 v6, s14
	ds_read_b32 v6, v6
	s_add_i32 s15, s15, -1
	s_sub_i32 s14, s14, 64
	v_add_co_u32_e32 v4, vcc, -4, v4
	v_addc_co_u32_e32 v5, vcc, -1, v5, vcc
	s_cmp_gt_i32 s15, s12
	s_waitcnt vmcnt(0) lgkmcnt(0)
	v_fma_f32 v0, -v1, v6, v0
	s_cbranch_scc1 .LBB17_58
	s_branch .LBB17_56
.LBB17_59:
	s_cmp_lt_u32 s8, 3
	s_cbranch_scc1 .LBB17_70
; %bb.60:
	s_lshl_b32 s7, s18, 6
	s_lshl_b32 s8, s12, 2
	s_add_i32 s9, s7, s8
	s_sub_i32 s8, s9, 64
	s_add_u32 s0, s4, s0
	s_addc_u32 s1, s5, s1
	s_ashr_i32 s7, s6, 31
	v_mov_b32_e32 v0, s1
	v_add_co_u32_e32 v1, vcc, s0, v18
	s_lshl_b64 s[0:1], s[6:7], 2
	s_add_u32 s0, s2, s0
	v_addc_co_u32_e32 v0, vcc, v0, v19, vcc
	s_addc_u32 s1, s3, s1
	s_ashr_i32 s11, s10, 31
	v_mov_b32_e32 v3, s1
	v_add_co_u32_e32 v2, vcc, s0, v1
	s_add_i32 s4, s9, 0xffffffbc
	v_cmp_lt_i64_e64 s[0:1], s[10:11], 16
	s_and_b64 s[0:1], s[0:1], exec
	s_cselect_b32 s1, s11, 0
	s_cselect_b32 s0, s10, 16
	s_lshl_b64 s[0:1], s[0:1], 2
	s_add_u32 s0, s2, s0
	v_addc_co_u32_e32 v3, vcc, v3, v0, vcc
	s_addc_u32 s1, s3, s1
	v_mov_b32_e32 v4, s1
	v_add_co_u32_e32 v1, vcc, s0, v1
	v_addc_co_u32_e32 v0, vcc, v4, v0, vcc
	v_add_co_u32_e32 v4, vcc, -4, v1
	s_mov_b32 s13, 0
	v_addc_co_u32_e32 v5, vcc, -1, v0, vcc
	s_add_i32 s2, s9, 0xffffffb8
	s_add_i32 s3, s9, 0xffffffb4
	s_branch .LBB17_62
.LBB17_61:                              ;   in Loop: Header=BB17_62 Depth=1
	s_add_i32 s0, s1, 0xffffffbc
	v_mov_b32_e32 v1, s0
	ds_read_b32 v1, v1
	s_add_i32 s0, s12, -4
	s_add_i32 s8, s8, -16
	;; [unrolled: 1-line block ×5, first 2 shown]
	s_waitcnt lgkmcnt(0)
	v_mul_f32_e32 v0, v0, v1
	s_cmp_lt_i32 s12, 4
	s_mov_b32 s12, s0
	global_store_dword v[6:7], v0, off offset:-12
	s_cbranch_scc1 .LBB17_70
.LBB17_62:                              ; =>This Loop Header: Depth=1
                                        ;     Child Loop BB17_63 Depth 2
                                        ;     Child Loop BB17_65 Depth 2
	;; [unrolled: 1-line block ×4, first 2 shown]
	s_lshl_b64 s[0:1], s[12:13], 2
	v_mov_b32_e32 v1, s1
	v_add_co_u32_e32 v0, vcc, s0, v16
	v_addc_co_u32_e32 v1, vcc, v17, v1, vcc
	global_load_dword v0, v[0:1], off
	v_pk_mov_b32 v[6:7], v[2:3], v[2:3] op_sel:[0,1]
	s_mov_b32 s0, s8
	s_cmp_le_i32 s6, s12
	s_mov_b32 s1, s6
	s_waitcnt vmcnt(0)
	v_mul_f32_e32 v0, s16, v0
	s_cbranch_scc1 .LBB17_64
.LBB17_63:                              ;   Parent Loop BB17_62 Depth=1
                                        ; =>  This Inner Loop Header: Depth=2
	global_load_dword v1, v[6:7], off
	v_mov_b32_e32 v8, s0
	ds_read_b32 v8, v8
	s_add_i32 s1, s1, -1
	s_sub_i32 s0, s0, 64
	v_add_co_u32_e32 v6, vcc, -4, v6
	v_addc_co_u32_e32 v7, vcc, -1, v7, vcc
	s_cmp_gt_i32 s1, s12
	s_waitcnt vmcnt(0) lgkmcnt(0)
	v_fma_f32 v0, -v1, v8, v0
	s_cbranch_scc1 .LBB17_63
.LBB17_64:                              ;   in Loop: Header=BB17_62 Depth=1
	s_add_i32 s0, s12, -1
	s_mov_b32 s1, s13
	s_lshl_b64 s[0:1], s[0:1], 2
	v_mov_b32_e32 v1, s1
	v_add_co_u32_e32 v6, vcc, s0, v16
	v_addc_co_u32_e32 v7, vcc, v17, v1, vcc
	global_load_dword v1, v[6:7], off
	s_mul_i32 s5, s12, 0x44
	v_mov_b32_e32 v6, s5
	ds_read_b32 v10, v6
	s_ashr_i32 s11, s12, 31
	s_mov_b32 s10, s12
	s_lshl_b64 s[10:11], s[10:11], 2
	v_mov_b32_e32 v7, s11
	v_add_co_u32_e32 v6, vcc, s10, v16
	v_addc_co_u32_e32 v7, vcc, v17, v7, vcc
	s_waitcnt lgkmcnt(0)
	v_mul_f32_e32 v0, v0, v10
	v_pk_mov_b32 v[8:9], v[4:5], v[4:5] op_sel:[0,1]
	s_mov_b32 s0, s4
	s_cmp_le_i32 s18, s12
	global_store_dword v[6:7], v0, off
	s_mov_b32 s1, s18
	s_waitcnt vmcnt(1)
	v_mul_f32_e32 v0, s16, v1
	s_cbranch_scc1 .LBB17_66
.LBB17_65:                              ;   Parent Loop BB17_62 Depth=1
                                        ; =>  This Inner Loop Header: Depth=2
	global_load_dword v1, v[8:9], off
	v_mov_b32_e32 v10, s0
	ds_read_b32 v10, v10
	s_add_i32 s1, s1, -1
	s_sub_i32 s0, s0, 64
	v_add_co_u32_e32 v8, vcc, -4, v8
	v_addc_co_u32_e32 v9, vcc, -1, v9, vcc
	s_cmp_gt_i32 s1, s12
	s_waitcnt vmcnt(0) lgkmcnt(0)
	v_fma_f32 v0, -v1, v10, v0
	s_cbranch_scc1 .LBB17_65
.LBB17_66:                              ;   in Loop: Header=BB17_62 Depth=1
	s_add_i32 s0, s12, -2
	s_mov_b32 s1, s13
	s_lshl_b64 s[10:11], s[0:1], 2
	v_mov_b32_e32 v1, s11
	v_add_co_u32_e32 v8, vcc, s10, v16
	v_addc_co_u32_e32 v9, vcc, v17, v1, vcc
	global_load_dword v1, v[8:9], off
	s_addk_i32 s5, 0xffbc
	v_mov_b32_e32 v8, s5
	ds_read_b32 v10, v8
	v_pk_mov_b32 v[8:9], v[2:3], v[2:3] op_sel:[0,1]
	s_mov_b32 s1, s2
	s_cmp_le_i32 s6, s0
	s_mov_b32 s7, s6
	s_waitcnt lgkmcnt(0)
	v_mul_f32_e32 v0, v0, v10
	global_store_dword v[6:7], v0, off offset:-4
	s_waitcnt vmcnt(1)
	v_mul_f32_e32 v0, s16, v1
	s_cbranch_scc1 .LBB17_68
.LBB17_67:                              ;   Parent Loop BB17_62 Depth=1
                                        ; =>  This Inner Loop Header: Depth=2
	global_load_dword v1, v[8:9], off
	v_mov_b32_e32 v10, s1
	ds_read_b32 v10, v10
	s_add_i32 s7, s7, -1
	s_sub_i32 s1, s1, 64
	v_add_co_u32_e32 v8, vcc, -4, v8
	v_addc_co_u32_e32 v9, vcc, -1, v9, vcc
	s_cmp_gt_i32 s7, s0
	s_waitcnt vmcnt(0) lgkmcnt(0)
	v_fma_f32 v0, -v1, v10, v0
	s_cbranch_scc1 .LBB17_67
.LBB17_68:                              ;   in Loop: Header=BB17_62 Depth=1
	s_add_i32 s0, s12, -3
	s_mov_b32 s1, s13
	s_lshl_b64 s[10:11], s[0:1], 2
	v_mov_b32_e32 v1, s11
	v_add_co_u32_e32 v8, vcc, s10, v16
	v_addc_co_u32_e32 v9, vcc, v17, v1, vcc
	global_load_dword v1, v[8:9], off
	s_add_i32 s1, s5, 0xffffffbc
	v_mov_b32_e32 v8, s1
	ds_read_b32 v10, v8
	v_pk_mov_b32 v[8:9], v[2:3], v[2:3] op_sel:[0,1]
	s_mov_b32 s5, s3
	s_cmp_le_i32 s6, s0
	s_mov_b32 s7, s6
	s_waitcnt lgkmcnt(0)
	v_mul_f32_e32 v0, v0, v10
	global_store_dword v[6:7], v0, off offset:-8
	s_waitcnt vmcnt(1)
	v_mul_f32_e32 v0, s16, v1
	s_cbranch_scc1 .LBB17_61
.LBB17_69:                              ;   Parent Loop BB17_62 Depth=1
                                        ; =>  This Inner Loop Header: Depth=2
	global_load_dword v1, v[8:9], off
	v_mov_b32_e32 v10, s5
	ds_read_b32 v10, v10
	s_add_i32 s7, s7, -1
	s_sub_i32 s5, s5, 64
	v_add_co_u32_e32 v8, vcc, -4, v8
	v_addc_co_u32_e32 v9, vcc, -1, v9, vcc
	s_cmp_gt_i32 s7, s0
	s_waitcnt vmcnt(0) lgkmcnt(0)
	v_fma_f32 v0, -v1, v10, v0
	s_cbranch_scc1 .LBB17_69
	s_branch .LBB17_61
.LBB17_70:
	s_endpgm
	.section	.rodata,"a",@progbits
	.p2align	6, 0x0
	.amdhsa_kernel _ZL30rocblas_trsm_small_left_deviceILi16ELi16ELb0EffPKfPfEv13rocblas_fill_18rocblas_operation_17rocblas_diagonal_iiT3_T4_lilT5_lili
		.amdhsa_group_segment_fixed_size 1024
		.amdhsa_private_segment_fixed_size 0
		.amdhsa_kernarg_size 352
		.amdhsa_user_sgpr_count 6
		.amdhsa_user_sgpr_private_segment_buffer 1
		.amdhsa_user_sgpr_dispatch_ptr 0
		.amdhsa_user_sgpr_queue_ptr 0
		.amdhsa_user_sgpr_kernarg_segment_ptr 1
		.amdhsa_user_sgpr_dispatch_id 0
		.amdhsa_user_sgpr_flat_scratch_init 0
		.amdhsa_user_sgpr_kernarg_preload_length 0
		.amdhsa_user_sgpr_kernarg_preload_offset 0
		.amdhsa_user_sgpr_private_segment_size 0
		.amdhsa_uses_dynamic_stack 0
		.amdhsa_system_sgpr_private_segment_wavefront_offset 0
		.amdhsa_system_sgpr_workgroup_id_x 1
		.amdhsa_system_sgpr_workgroup_id_y 0
		.amdhsa_system_sgpr_workgroup_id_z 1
		.amdhsa_system_sgpr_workgroup_info 0
		.amdhsa_system_vgpr_workitem_id 0
		.amdhsa_next_free_vgpr 66
		.amdhsa_next_free_sgpr 43
		.amdhsa_accum_offset 68
		.amdhsa_reserve_vcc 1
		.amdhsa_reserve_flat_scratch 0
		.amdhsa_float_round_mode_32 0
		.amdhsa_float_round_mode_16_64 0
		.amdhsa_float_denorm_mode_32 3
		.amdhsa_float_denorm_mode_16_64 3
		.amdhsa_dx10_clamp 1
		.amdhsa_ieee_mode 1
		.amdhsa_fp16_overflow 0
		.amdhsa_tg_split 0
		.amdhsa_exception_fp_ieee_invalid_op 0
		.amdhsa_exception_fp_denorm_src 0
		.amdhsa_exception_fp_ieee_div_zero 0
		.amdhsa_exception_fp_ieee_overflow 0
		.amdhsa_exception_fp_ieee_underflow 0
		.amdhsa_exception_fp_ieee_inexact 0
		.amdhsa_exception_int_div_zero 0
	.end_amdhsa_kernel
	.section	.text._ZL30rocblas_trsm_small_left_deviceILi16ELi16ELb0EffPKfPfEv13rocblas_fill_18rocblas_operation_17rocblas_diagonal_iiT3_T4_lilT5_lili,"axG",@progbits,_ZL30rocblas_trsm_small_left_deviceILi16ELi16ELb0EffPKfPfEv13rocblas_fill_18rocblas_operation_17rocblas_diagonal_iiT3_T4_lilT5_lili,comdat
.Lfunc_end17:
	.size	_ZL30rocblas_trsm_small_left_deviceILi16ELi16ELb0EffPKfPfEv13rocblas_fill_18rocblas_operation_17rocblas_diagonal_iiT3_T4_lilT5_lili, .Lfunc_end17-_ZL30rocblas_trsm_small_left_deviceILi16ELi16ELb0EffPKfPfEv13rocblas_fill_18rocblas_operation_17rocblas_diagonal_iiT3_T4_lilT5_lili
                                        ; -- End function
	.section	.AMDGPU.csdata,"",@progbits
; Kernel info:
; codeLenInByte = 11720
; NumSgprs: 47
; NumVgprs: 66
; NumAgprs: 0
; TotalNumVgprs: 66
; ScratchSize: 0
; MemoryBound: 0
; FloatMode: 240
; IeeeMode: 1
; LDSByteSize: 1024 bytes/workgroup (compile time only)
; SGPRBlocks: 5
; VGPRBlocks: 8
; NumSGPRsForWavesPerEU: 47
; NumVGPRsForWavesPerEU: 66
; AccumOffset: 68
; Occupancy: 7
; WaveLimiterHint : 0
; COMPUTE_PGM_RSRC2:SCRATCH_EN: 0
; COMPUTE_PGM_RSRC2:USER_SGPR: 6
; COMPUTE_PGM_RSRC2:TRAP_HANDLER: 0
; COMPUTE_PGM_RSRC2:TGID_X_EN: 1
; COMPUTE_PGM_RSRC2:TGID_Y_EN: 0
; COMPUTE_PGM_RSRC2:TGID_Z_EN: 1
; COMPUTE_PGM_RSRC2:TIDIG_COMP_CNT: 0
; COMPUTE_PGM_RSRC3_GFX90A:ACCUM_OFFSET: 16
; COMPUTE_PGM_RSRC3_GFX90A:TG_SPLIT: 0
	.section	.text._ZL38rocblas_trsm_small_left_device_sharedBILi16ELi16ELb1EffPKfPfEv13rocblas_fill_18rocblas_operation_17rocblas_diagonal_iiT3_T4_lilT5_lili,"axG",@progbits,_ZL38rocblas_trsm_small_left_device_sharedBILi16ELi16ELb1EffPKfPfEv13rocblas_fill_18rocblas_operation_17rocblas_diagonal_iiT3_T4_lilT5_lili,comdat
	.globl	_ZL38rocblas_trsm_small_left_device_sharedBILi16ELi16ELb1EffPKfPfEv13rocblas_fill_18rocblas_operation_17rocblas_diagonal_iiT3_T4_lilT5_lili ; -- Begin function _ZL38rocblas_trsm_small_left_device_sharedBILi16ELi16ELb1EffPKfPfEv13rocblas_fill_18rocblas_operation_17rocblas_diagonal_iiT3_T4_lilT5_lili
	.p2align	8
	.type	_ZL38rocblas_trsm_small_left_device_sharedBILi16ELi16ELb1EffPKfPfEv13rocblas_fill_18rocblas_operation_17rocblas_diagonal_iiT3_T4_lilT5_lili,@function
_ZL38rocblas_trsm_small_left_device_sharedBILi16ELi16ELb1EffPKfPfEv13rocblas_fill_18rocblas_operation_17rocblas_diagonal_iiT3_T4_lilT5_lili: ; @_ZL38rocblas_trsm_small_left_device_sharedBILi16ELi16ELb1EffPKfPfEv13rocblas_fill_18rocblas_operation_17rocblas_diagonal_iiT3_T4_lilT5_lili
; %bb.0:
	s_load_dwordx4 s[8:11], s[4:5], 0x4
	s_load_dword s16, s[4:5], 0x14
	s_load_dwordx4 s[0:3], s[4:5], 0x30
	s_load_dwordx2 s[18:19], s[4:5], 0x40
	s_mov_b32 s27, 0
	s_waitcnt lgkmcnt(0)
	s_min_i32 s26, s10, 16
	v_cmp_gt_i32_e32 vcc, s26, v0
	s_and_saveexec_b64 s[20:21], vcc
	s_cbranch_execz .LBB18_15
; %bb.1:
	s_load_dword s22, s[4:5], 0x28
	s_load_dwordx4 s[12:15], s[4:5], 0x18
	s_cmp_gt_u32 s26, 1
	s_cselect_b64 s[24:25], -1, 0
	s_mov_b32 s17, 1
	s_waitcnt lgkmcnt(0)
	s_cmp_eq_u32 s22, 1
	s_cselect_b64 s[28:29], -1, 0
	s_and_b64 s[28:29], s[24:25], s[28:29]
	s_mov_b64 s[24:25], -1
	s_and_b64 vcc, exec, s[28:29]
	s_cbranch_vccz .LBB18_9
; %bb.2:
	s_add_i32 s24, s26, -2
	s_lshr_b32 s25, s24, 1
	s_add_i32 s25, s25, 1
	s_mov_b32 s23, 0
	s_cmp_lt_u32 s24, 14
	s_mov_b32 s24, s23
	s_cbranch_scc1 .LBB18_5
; %bb.3:
	s_mul_i32 s17, s1, s7
	s_mul_hi_u32 s23, s0, s7
	s_add_i32 s29, s23, s17
	s_mul_i32 s28, s0, s7
	s_and_b32 s27, s25, -8
	s_lshl_b64 s[28:29], s[28:29], 2
	s_lshl_b64 s[30:31], s[14:15], 2
	s_add_u32 s17, s28, s30
	s_addc_u32 s23, s29, s31
	s_add_u32 s17, s12, s17
	v_lshlrev_b32_e32 v1, 2, v0
	s_addc_u32 s23, s13, s23
	v_mov_b32_e32 v2, s23
	v_add_co_u32_e32 v1, vcc, s17, v1
	v_addc_co_u32_e32 v3, vcc, 0, v2, vcc
	v_add_co_u32_e32 v2, vcc, 56, v1
	v_addc_co_u32_e32 v3, vcc, 0, v3, vcc
	s_mov_b32 s17, 1
	s_mov_b32 s24, 0
	;; [unrolled: 1-line block ×3, first 2 shown]
.LBB18_4:                               ; =>This Inner Loop Header: Depth=1
	global_load_dwordx4 v[4:7], v[2:3], off offset:-56
	global_load_dwordx4 v[8:11], v[2:3], off offset:-40
	;; [unrolled: 1-line block ×4, first 2 shown]
	s_lshl_b32 s28, s23, 4
	s_lshl_b32 s29, s17, 4
	s_add_i32 s24, s24, 16
	s_add_i32 s17, s17, 16
	;; [unrolled: 1-line block ×3, first 2 shown]
	s_add_i32 s27, s27, -8
	v_add_co_u32_e32 v2, vcc, 64, v2
	v_or_b32_e32 v1, s29, v0
	v_or_b32_e32 v20, s28, v0
	s_add_i32 s30, s28, 32
	s_add_i32 s31, s29, 32
	;; [unrolled: 1-line block ×12, first 2 shown]
	s_addk_i32 s28, 0xe0
	s_addk_i32 s29, 0xe0
	v_addc_co_u32_e32 v3, vcc, 0, v3, vcc
	v_lshlrev_b32_e32 v20, 2, v20
	v_or_b32_e32 v21, s31, v0
	v_or_b32_e32 v22, s30, v0
	;; [unrolled: 1-line block ×14, first 2 shown]
	s_cmp_lg_u32 s27, 0
	v_lshlrev_b32_e32 v1, 2, v1
	v_lshlrev_b32_e32 v22, 2, v22
	;; [unrolled: 1-line block ×15, first 2 shown]
	s_waitcnt vmcnt(3)
	ds_write_b32 v20, v4
	ds_write_b32 v1, v5
	ds_write_b32 v22, v6
	ds_write_b32 v21, v7
	s_waitcnt vmcnt(2)
	ds_write_b32 v24, v8
	ds_write_b32 v23, v9
	ds_write_b32 v26, v10
	ds_write_b32 v25, v11
	;; [unrolled: 5-line block ×4, first 2 shown]
	s_cbranch_scc1 .LBB18_4
.LBB18_5:
	s_and_b32 s27, s25, 7
	s_cmp_eq_u32 s27, 0
	s_mov_b32 s25, 0
	s_cbranch_scc1 .LBB18_8
; %bb.6:
	s_mul_i32 s28, s1, s7
	s_mul_hi_u32 s29, s0, s7
	s_add_i32 s29, s29, s28
	s_mul_i32 s28, s0, s7
	s_lshl_b64 s[28:29], s[28:29], 2
	s_lshl_b64 s[30:31], s[14:15], 2
	s_add_u32 s28, s28, s30
	s_addc_u32 s29, s29, s31
	s_lshl_b64 s[24:25], s[24:25], 2
	s_add_u32 s24, s12, s24
	s_addc_u32 s25, s13, s25
	s_add_u32 s24, s24, s28
	v_lshlrev_b32_e32 v1, 2, v0
	s_addc_u32 s25, s25, s29
	v_mov_b32_e32 v3, s25
	v_add_co_u32_e32 v2, vcc, s24, v1
	v_addc_co_u32_e32 v3, vcc, 0, v3, vcc
	s_lshl_b32 s24, s27, 3
.LBB18_7:                               ; =>This Inner Loop Header: Depth=1
	global_load_dwordx2 v[4:5], v[2:3], off
	v_lshl_or_b32 v6, s23, 6, v1
	v_lshl_or_b32 v7, s17, 6, v1
	s_add_i32 s17, s17, 2
	s_add_i32 s23, s23, 2
	v_add_co_u32_e32 v2, vcc, 8, v2
	s_add_i32 s24, s24, -8
	v_addc_co_u32_e32 v3, vcc, 0, v3, vcc
	s_cmp_lg_u32 s24, 0
	s_waitcnt vmcnt(0)
	ds_write_b32 v6, v4
	ds_write_b32 v7, v5
	s_cbranch_scc1 .LBB18_7
.LBB18_8:
	s_and_b32 s27, s26, -2
	s_cmp_lg_u32 s26, s27
	s_cselect_b64 s[24:25], -1, 0
.LBB18_9:
	s_and_b64 vcc, exec, s[24:25]
	s_cbranch_vccz .LBB18_12
; %bb.10:
	s_ashr_i32 s23, s22, 31
	s_mul_i32 s1, s1, s7
	s_mul_hi_u32 s17, s0, s7
	s_add_i32 s1, s17, s1
	s_mul_hi_u32 s17, s22, s27
	s_mul_i32 s24, s23, s27
	s_mul_i32 s0, s0, s7
	s_add_i32 s25, s17, s24
	s_mul_i32 s24, s22, s27
	s_lshl_b64 s[0:1], s[0:1], 2
	s_lshl_b64 s[24:25], s[24:25], 2
	s_add_u32 s17, s0, s24
	s_addc_u32 s24, s1, s25
	s_lshl_b64 s[0:1], s[14:15], 2
	s_add_u32 s0, s17, s0
	s_addc_u32 s1, s24, s1
	s_add_u32 s0, s12, s0
	v_lshlrev_b32_e32 v1, 2, v0
	s_addc_u32 s1, s13, s1
	v_mov_b32_e32 v3, s1
	v_add_co_u32_e32 v2, vcc, s0, v1
	s_lshl_b64 s[0:1], s[22:23], 2
	v_addc_co_u32_e32 v3, vcc, 0, v3, vcc
	v_lshl_or_b32 v1, s27, 6, v1
	s_sub_i32 s12, s26, s27
	v_mov_b32_e32 v4, s1
.LBB18_11:                              ; =>This Inner Loop Header: Depth=1
	global_load_dword v5, v[2:3], off
	v_add_co_u32_e32 v2, vcc, s0, v2
	s_add_i32 s12, s12, -1
	v_addc_co_u32_e32 v3, vcc, v3, v4, vcc
	s_cmp_eq_u32 s12, 0
	s_waitcnt vmcnt(0)
	ds_write_b32 v1, v5
	v_add_u32_e32 v1, 64, v1
	s_cbranch_scc0 .LBB18_11
.LBB18_12:
	v_mul_u32_u24_e32 v1, 17, v0
	s_cmpk_lg_i32 s9, 0x84
	v_lshlrev_b32_e32 v1, 2, v1
	v_mov_b32_e32 v2, 1.0
	s_cbranch_scc0 .LBB18_14
; %bb.13:
	ds_read_b32 v2, v1
	s_waitcnt lgkmcnt(0)
	v_div_scale_f32 v3, s[0:1], v2, v2, 1.0
	v_rcp_f32_e32 v4, v3
	v_div_scale_f32 v5, vcc, 1.0, v2, 1.0
	v_fma_f32 v6, -v3, v4, 1.0
	v_fmac_f32_e32 v4, v6, v4
	v_mul_f32_e32 v6, v5, v4
	v_fma_f32 v7, -v3, v6, v5
	v_fmac_f32_e32 v6, v7, v4
	v_fma_f32 v3, -v3, v6, v5
	v_div_fmas_f32 v3, v3, v4, v6
	v_div_fixup_f32 v2, v3, v2, 1.0
.LBB18_14:
	ds_write_b32 v1, v2
.LBB18_15:
	s_or_b64 exec, exec, s[20:21]
	s_load_dword s9, s[4:5], 0x60
	s_load_dword s20, s[4:5], 0x48
	s_load_dwordx2 s[0:1], s[4:5], 0x50
	s_waitcnt lgkmcnt(0)
	s_ashr_i32 s21, s20, 31
	s_mul_i32 s1, s7, s1
	s_mul_hi_u32 s4, s7, s0
	s_mul_i32 s0, s7, s0
	s_add_i32 s1, s4, s1
	s_lshl_b64 s[0:1], s[0:1], 2
	s_add_u32 s7, s2, s0
	s_addc_u32 s12, s3, s1
	s_lshl_b64 s[4:5], s[18:19], 2
	s_add_u32 s14, s7, s4
	s_addc_u32 s15, s12, s5
	s_lshl_b32 s12, s6, 4
	s_add_i32 s9, s9, -1
	s_sub_i32 s7, s11, s12
	s_cmp_ge_u32 s6, s9
	s_cselect_b32 s9, s7, 16
	s_mul_hi_i32 s7, s20, s12
	s_mul_i32 s6, s20, s12
	s_ashr_i32 s13, s12, 31
	s_lshl_b64 s[6:7], s[6:7], 2
	s_add_u32 s11, s14, s6
	s_addc_u32 s22, s15, s7
	s_cmp_gt_i32 s10, 0
	v_cmp_gt_i32_e32 vcc, s9, v0
	s_cselect_b64 s[6:7], -1, 0
	s_mov_b32 s9, 0
	s_and_b64 s[6:7], vcc, s[6:7]
	s_and_saveexec_b64 s[14:15], s[6:7]
	s_cbranch_execz .LBB18_29
; %bb.16:
	s_cmp_lt_i32 s10, 2
	s_mov_b64 s[18:19], -1
	s_cbranch_scc1 .LBB18_26
; %bb.17:
	v_mad_i64_i32 v[2:3], s[18:19], s20, v0, 0
	v_lshlrev_b64 v[2:3], 2, v[2:3]
	v_mov_b32_e32 v1, s22
	v_add_co_u32_e32 v2, vcc, s11, v2
	v_addc_co_u32_e32 v3, vcc, v1, v3, vcc
	global_load_dwordx2 v[6:7], v[2:3], off
	s_and_b32 s9, s26, 30
	v_lshlrev_b32_e32 v1, 2, v0
	v_add_u32_e32 v4, 0x400, v1
	s_cmp_eq_u32 s9, 2
	s_waitcnt vmcnt(0)
	v_pk_mul_f32 v[6:7], v[6:7], s[16:17] op_sel_hi:[1,0]
	ds_write2_b32 v4, v6, v7 offset1:16
	s_cbranch_scc1 .LBB18_25
; %bb.18:
	global_load_dwordx2 v[6:7], v[2:3], off offset:8
	s_mov_b32 s17, s16
	s_cmp_eq_u32 s9, 4
	s_waitcnt vmcnt(0)
	v_pk_mul_f32 v[6:7], v[6:7], s[16:17]
	ds_write2_b32 v4, v6, v7 offset0:32 offset1:48
	s_cbranch_scc1 .LBB18_25
; %bb.19:
	global_load_dwordx2 v[4:5], v[2:3], off offset:16
	s_cmp_eq_u32 s9, 6
	s_waitcnt vmcnt(0)
	v_pk_mul_f32 v[4:5], v[4:5], s[16:17]
	ds_write_b32 v1, v4 offset:1280
	ds_write_b32 v1, v5 offset:1344
	s_cbranch_scc1 .LBB18_25
; %bb.20:
	global_load_dwordx2 v[4:5], v[2:3], off offset:24
	s_cmp_eq_u32 s9, 8
	s_waitcnt vmcnt(0)
	v_pk_mul_f32 v[4:5], v[4:5], s[16:17]
	ds_write_b32 v1, v4 offset:1408
	ds_write_b32 v1, v5 offset:1472
	;; [unrolled: 8-line block ×5, first 2 shown]
	s_cbranch_scc1 .LBB18_25
; %bb.24:
	global_load_dwordx2 v[2:3], v[2:3], off offset:56
	s_waitcnt vmcnt(0)
	v_pk_mul_f32 v[2:3], v[2:3], s[16:17]
	ds_write_b32 v1, v2 offset:1920
	ds_write_b32 v1, v3 offset:1984
.LBB18_25:
	s_cmp_lg_u32 s26, s9
	s_cselect_b64 s[18:19], -1, 0
.LBB18_26:
	s_and_b64 vcc, exec, s[18:19]
	s_cbranch_vccz .LBB18_29
; %bb.27:
	v_lshlrev_b32_e32 v2, 2, v0
	v_lshl_or_b32 v1, s9, 6, v2
	s_sub_i32 s17, s26, s9
	s_lshl_b64 s[18:19], s[12:13], 2
	s_lshl_b32 s9, s9, 2
	s_add_u32 s9, s2, s9
	v_add_co_u32_e32 v4, vcc, s18, v2
	s_addc_u32 s18, s3, 0
	s_add_u32 s9, s9, s4
	v_mov_b32_e32 v3, s19
	s_addc_u32 s19, s18, s5
	s_add_u32 s18, s9, s0
	s_addc_u32 s19, s19, s1
	v_addc_co_u32_e32 v5, vcc, 0, v3, vcc
	v_pk_mov_b32 v[2:3], s[18:19], s[18:19] op_sel:[0,1]
	v_mad_u64_u32 v[2:3], s[18:19], v4, s20, v[2:3]
	v_mul_lo_u32 v4, v4, s21
	v_mul_lo_u32 v5, v5, s20
	v_add_u32_e32 v1, 0x400, v1
	v_add3_u32 v3, v5, v3, v4
.LBB18_28:                              ; =>This Inner Loop Header: Depth=1
	global_load_dword v4, v[2:3], off
	s_add_i32 s17, s17, -1
	v_add_co_u32_e32 v2, vcc, 4, v2
	v_addc_co_u32_e32 v3, vcc, 0, v3, vcc
	s_cmp_lg_u32 s17, 0
	s_waitcnt vmcnt(0)
	v_mul_f32_e32 v4, s16, v4
	ds_write_b32 v1, v4
	v_add_u32_e32 v1, 64, v1
	s_cbranch_scc1 .LBB18_28
.LBB18_29:
	s_or_b64 exec, exec, s[14:15]
	s_cmpk_eq_i32 s8, 0x6f
	s_mov_b64 s[8:9], -1
	s_waitcnt lgkmcnt(0)
	; wave barrier
	s_waitcnt lgkmcnt(0)
	s_cbranch_scc1 .LBB18_52
; %bb.30:
	s_add_i32 s8, s26, -1
	s_cmp_gt_i32 s10, 15
	s_cbranch_scc0 .LBB18_32
; %bb.31:
	s_lshl_b32 s14, s26, 4
	s_sub_i32 s15, s14, 48
	v_or_b32_e32 v3, s15, v0
	s_sub_i32 s17, s14, 64
	v_lshlrev_b32_e32 v44, 2, v3
	v_or_b32_e32 v3, s17, v0
	s_add_i32 s18, s14, 0xffffffb0
	v_lshlrev_b32_e32 v14, 2, v3
	v_or_b32_e32 v3, s18, v0
	s_add_i32 s25, s14, 0xffffffa0
	s_sub_i32 s9, s14, 32
	v_lshlrev_b32_e32 v25, 2, v3
	v_or_b32_e32 v3, s25, v0
	s_add_i32 s27, s14, 0xffffff90
	v_lshlrev_b32_e32 v2, 2, v0
	v_or_b32_e32 v1, s9, v0
	v_lshlrev_b32_e32 v24, 2, v3
	v_or_b32_e32 v3, s27, v0
	s_add_i32 s28, s14, 0xffffff80
	v_lshl_or_b32 v15, s8, 6, v2
	v_lshlrev_b32_e32 v1, 2, v1
	v_lshlrev_b32_e32 v23, 2, v3
	v_or_b32_e32 v3, s28, v0
	s_add_i32 s29, s14, 0xffffff70
	v_lshlrev_b32_e32 v22, 2, v3
	ds_read_b32 v34, v15 offset:1024
	ds_read_b32 v36, v1 offset:1024
	;; [unrolled: 1-line block ×8, first 2 shown]
	v_or_b32_e32 v1, s29, v0
	s_add_i32 s30, s14, 0xffffff60
	v_lshlrev_b32_e32 v21, 2, v1
	v_or_b32_e32 v1, s30, v0
	s_add_i32 s19, s14, 0xffffff50
	s_add_i32 s9, s14, 0xffffff10
	v_lshlrev_b32_e32 v20, 2, v1
	v_or_b32_e32 v1, s19, v0
	s_add_i32 s23, s14, 0xffffff40
	s_add_i32 s24, s14, 0xffffff30
	;; [unrolled: 1-line block ×3, first 2 shown]
	v_or_b32_e32 v3, s9, v0
	s_addk_i32 s14, 0xff00
	s_add_i32 s31, s26, -2
	v_lshlrev_b32_e32 v19, 2, v1
	v_or_b32_e32 v1, s23, v0
	v_lshlrev_b32_e32 v16, 2, v3
	v_or_b32_e32 v3, s14, v0
	s_mul_i32 s14, s8, 0x44
	v_lshl_or_b32 v52, s31, 6, v2
	s_add_i32 s31, s31, s15
	v_lshlrev_b32_e32 v18, 2, v1
	v_or_b32_e32 v1, s24, v0
	s_add_i32 s33, s14, 0xffffffbc
	s_lshl_b32 s15, s31, 2
	s_add_i32 s31, s14, 0xffffff78
	s_add_i32 s17, s17, s8
	;; [unrolled: 1-line block ×4, first 2 shown]
	v_lshlrev_b32_e32 v17, 2, v1
	v_or_b32_e32 v1, s16, v0
	v_lshlrev_b32_e32 v3, 2, v3
	v_mov_b32_e32 v4, s33
	v_mov_b32_e32 v2, s31
	s_lshl_b32 s17, s17, 2
	s_add_i32 s31, s14, 0xffffff34
	s_lshl_b32 s18, s18, 2
	s_add_i32 s33, s14, 0xfffffef0
	s_lshl_b32 s25, s25, 2
	v_lshlrev_b32_e32 v1, 2, v1
	ds_read_b32 v43, v21 offset:1024
	ds_read_b32 v45, v20 offset:1024
	;; [unrolled: 1-line block ×8, first 2 shown]
	v_mov_b32_e32 v3, s14
	v_mov_b32_e32 v5, s17
	s_add_i32 s17, s17, -8
	v_mov_b32_e32 v6, s31
	s_add_i32 s31, s18, -4
	s_add_i32 s18, s18, -12
	v_mov_b32_e32 v7, s33
	v_mov_b32_e32 v8, s25
	s_add_i32 s33, s25, -8
	ds_read_b32 v35, v3
	ds_read2_b32 v[12:13], v4 offset1:1
	ds_read_b32 v53, v2
	ds_read_b32 v54, v5
	;; [unrolled: 1-line block ×5, first 2 shown]
	v_mov_b32_e32 v2, s33
	s_add_i32 s25, s25, -16
	v_mov_b32_e32 v3, s18
	v_mov_b32_e32 v8, s17
	s_add_i32 s27, s27, s8
	v_mov_b32_e32 v10, s15
	ds_read2_b32 v[6:7], v2 offset1:1
	ds_read2_b32 v[4:5], v3 offset1:1
	;; [unrolled: 1-line block ×4, first 2 shown]
	v_mov_b32_e32 v3, s25
	s_add_i32 s15, s14, 0xfffffeac
	s_lshl_b32 s25, s27, 2
	s_add_i32 s28, s28, s8
	v_mov_b32_e32 v10, s15
	s_add_i32 s15, s25, -4
	s_lshl_b32 s18, s28, 2
	v_mov_b32_e32 v2, s31
	v_mov_b32_e32 v11, s15
	s_add_i32 s15, s18, -8
	s_add_i32 s29, s29, s8
	ds_read2_b32 v[28:29], v2 offset1:1
	ds_read2_b32 v[2:3], v3 offset1:1
	ds_read_b32 v58, v10
	ds_read2_b32 v[30:31], v11 offset1:1
	v_mov_b32_e32 v11, s15
	s_lshl_b32 s15, s29, 2
	s_add_i32 s17, s15, -4
	v_mov_b32_e32 v10, s18
	v_mov_b32_e32 v32, s17
	s_add_i32 s30, s30, s8
	s_waitcnt lgkmcnt(14)
	v_mul_f32_e32 v35, v34, v35
	ds_read_b32 v59, v10
	ds_read2_b32 v[10:11], v11 offset1:1
	ds_read2_b32 v[32:33], v32 offset1:1
	s_lshl_b32 s17, s30, 2
	s_waitcnt lgkmcnt(14)
	v_fma_f32 v13, -v35, v13, v36
	s_add_i32 s23, s23, s8
	v_mul_f32_e32 v34, v13, v12
	v_mov_b32_e32 v12, s17
	ds_read_b32 v36, v12
	s_lshl_b32 s33, s23, 2
	s_add_i32 s24, s24, s8
	s_add_i32 s19, s19, s8
	v_mov_b32_e32 v12, s33
	s_lshl_b32 s23, s24, 2
	s_add_i32 s16, s16, s8
	s_lshl_b32 s34, s19, 2
	ds_read_b32 v60, v12
	s_add_i32 s24, s23, -4
	s_waitcnt lgkmcnt(9)
	v_pk_mul_f32 v[12:13], v[34:35], v[26:27]
	s_lshl_b32 s31, s16, 2
	s_waitcnt lgkmcnt(8)
	v_pk_mul_f32 v[26:27], v[34:35], v[28:29]
	s_waitcnt lgkmcnt(5)
	v_pk_mul_f32 v[28:29], v[34:35], v[30:31]
	s_add_i32 s19, s34, -4
	v_mov_b32_e32 v61, s24
	v_sub_f32_e32 v13, v37, v13
	s_add_i32 s16, s31, -8
	v_sub_f32_e32 v27, v39, v27
	s_add_i32 s9, s9, s8
	v_sub_f32_e32 v29, v41, v29
	v_sub_f32_e32 v62, v13, v12
	ds_read2_b32 v[12:13], v61 offset1:1
	v_mov_b32_e32 v37, s31
	v_sub_f32_e32 v61, v27, v26
	v_mov_b32_e32 v26, s16
	s_lshl_b32 s35, s9, 2
	v_sub_f32_e32 v63, v29, v28
	v_mov_b32_e32 v28, s19
	s_waitcnt lgkmcnt(3)
	v_pk_mul_f32 v[30:31], v[34:35], v[32:33]
	ds_read_b32 v39, v37
	ds_read2_b32 v[26:27], v26 offset1:1
	s_add_i32 s9, s35, -4
	ds_read2_b32 v[28:29], v28 offset1:1
	v_sub_f32_e32 v31, v43, v31
	v_sub_f32_e32 v64, v31, v30
	v_mov_b32_e32 v30, s9
	s_add_i32 s9, s35, -12
	s_add_i32 s16, s26, -16
	v_mov_b32_e32 v31, s9
	s_lshl_b32 s9, s16, 4
	s_add_i32 s19, s9, s8
	s_lshl_b32 s30, s19, 2
	s_waitcnt lgkmcnt(0)
	v_pk_mul_f32 v[28:29], v[34:35], v[28:29]
	s_add_i32 s19, s30, -8
	s_sub_i32 s27, s25, 20
	v_sub_f32_e32 v29, v46, v29
	v_mov_b32_e32 v32, s19
	s_add_i32 s19, s30, -16
	v_sub_f32_e32 v46, v29, v28
	ds_read2_b32 v[28:29], v30 offset1:1
	ds_read2_b32 v[30:31], v31 offset1:1
	ds_write_b32 v15, v35 offset:1024
	v_mov_b32_e32 v15, s30
	v_mov_b32_e32 v33, s19
	;; [unrolled: 1-line block ×3, first 2 shown]
	v_fma_f32 v13, -v35, v13, v48
	v_fma_f32 v59, -v35, v59, v42
	;; [unrolled: 1-line block ×4, first 2 shown]
	ds_read_b32 v15, v15
	ds_read2_b32 v[12:13], v32 offset1:1
	ds_read2_b32 v[32:33], v33 offset1:1
	;; [unrolled: 1-line block ×3, first 2 shown]
	v_fma_f32 v42, -v35, v39, v49
	v_fma_f32 v27, -v34, v27, v42
	v_mul_f32_e32 v42, v62, v53
	v_mov_b32_e32 v43, v34
	s_add_i32 s28, s18, -16
	s_add_i32 s29, s15, -12
	;; [unrolled: 1-line block ×3, first 2 shown]
	v_fma_f32 v54, -v35, v54, v38
	s_waitcnt lgkmcnt(3)
	v_fma_f32 v15, -v35, v15, v51
	s_add_i32 s19, s25, -12
	s_add_i32 s27, s33, -8
	v_pk_mul_f32 v[8:9], v[42:43], v[8:9]
	v_fma_f32 v57, -v35, v57, v40
	v_mov_b32_e32 v38, s28
	v_mov_b32_e32 v39, s29
	;; [unrolled: 1-line block ×3, first 2 shown]
	v_fma_f32 v29, -v35, v29, v50
	ds_write_b32 v52, v34 offset:1024
	s_waitcnt lgkmcnt(3)
	v_fma_f32 v13, -v34, v13, v15
	v_mov_b32_e32 v15, s19
	v_sub_f32_e32 v9, v54, v9
	v_mov_b32_e32 v50, s27
	v_fma_f32 v47, -v35, v60, v47
	v_fma_f32 v49, -v34, v28, v29
	ds_read2_b32 v[28:29], v38 offset1:1
	ds_read2_b32 v[38:39], v39 offset1:1
	;; [unrolled: 1-line block ×4, first 2 shown]
	v_sub_f32_e32 v15, v9, v8
	v_pk_mul_f32 v[8:9], v[42:43], v[10:11]
	ds_read2_b32 v[10:11], v50 offset1:1
	v_pk_mul_f32 v[6:7], v[42:43], v[6:7]
	v_sub_f32_e32 v7, v57, v7
	s_add_i32 s19, s14, 0xfffffe68
	s_sub_i32 s24, s17, 24
	s_waitcnt lgkmcnt(0)
	v_pk_mul_f32 v[10:11], v[42:43], v[10:11]
	s_sub_i32 s25, s34, 20
	v_sub_f32_e32 v52, v7, v6
	v_pk_mul_f32 v[6:7], v[42:43], v[40:41]
	v_sub_f32_e32 v11, v47, v11
	s_add_i32 s28, s33, -16
	v_mov_b32_e32 v51, s24
	v_mov_b32_e32 v53, s25
	v_sub_f32_e32 v7, v45, v7
	v_sub_f32_e32 v9, v59, v9
	;; [unrolled: 1-line block ×3, first 2 shown]
	v_mov_b32_e32 v10, s19
	s_sub_i32 s18, s18, 24
	s_sub_i32 s24, s15, 20
	s_add_i32 s25, s17, -16
	s_add_i32 s27, s34, -12
	v_mov_b32_e32 v54, s28
	v_sub_f32_e32 v57, v9, v8
	v_sub_f32_e32 v50, v7, v6
	ds_read2_b32 v[6:7], v51 offset1:1
	ds_read2_b32 v[8:9], v53 offset1:1
	;; [unrolled: 1-line block ×3, first 2 shown]
	ds_read_b32 v51, v10
	v_mov_b32_e32 v10, s18
	v_mov_b32_e32 v43, s24
	;; [unrolled: 1-line block ×3, first 2 shown]
	ds_write_b32 v44, v42 offset:1024
	v_mov_b32_e32 v44, s27
	v_fma_f32 v53, -v42, v26, v27
	v_fma_f32 v31, -v42, v31, v49
	;; [unrolled: 1-line block ×3, first 2 shown]
	v_mul_f32_e32 v26, v15, v55
	v_mov_b32_e32 v27, v42
	ds_read2_b32 v[10:11], v10 offset1:1
	ds_read2_b32 v[12:13], v43 offset1:1
	;; [unrolled: 1-line block ×4, first 2 shown]
	v_pk_mul_f32 v[4:5], v[26:27], v[4:5]
	v_sub_f32_e32 v5, v61, v5
	v_sub_f32_e32 v15, v5, v4
	v_pk_mul_f32 v[4:5], v[26:27], v[34:35]
	s_add_i32 s29, s23, -12
	v_sub_f32_e32 v5, v63, v5
	v_pk_mul_f32 v[34:35], v[26:27], v[38:39]
	v_mov_b32_e32 v54, s29
	v_sub_f32_e32 v59, v5, v4
	s_waitcnt lgkmcnt(0)
	v_pk_mul_f32 v[4:5], v[26:27], v[44:45]
	v_sub_f32_e32 v35, v64, v35
	v_sub_f32_e32 v5, v46, v5
	v_sub_f32_e32 v46, v35, v34
	ds_read2_b32 v[34:35], v54 offset1:1
	s_add_i32 s19, s14, 0xfffffe24
	s_sub_i32 s28, s33, 24
	s_add_i32 s37, s31, -16
	s_sub_i32 s36, s23, 20
	s_waitcnt lgkmcnt(0)
	v_pk_mul_f32 v[34:35], v[26:27], v[34:35]
	v_sub_f32_e32 v27, v48, v35
	v_mov_b32_e32 v55, s28
	v_mov_b32_e32 v61, s37
	v_sub_f32_e32 v48, v27, v34
	v_mov_b32_e32 v27, s19
	s_sub_i32 s18, s15, 28
	s_add_i32 s15, s14, 0xfffffde0
	v_mov_b32_e32 v60, s36
	v_sub_f32_e32 v54, v5, v4
	ds_read2_b32 v[4:5], v55 offset1:1
	ds_read2_b32 v[38:39], v60 offset1:1
	ds_read2_b32 v[44:45], v61 offset1:1
	ds_read_b32 v55, v27
	v_mov_b32_e32 v27, s15
	s_sub_i32 s15, s17, 32
	s_add_i32 s17, s14, 0xfffffd9c
	v_fma_f32 v61, -v26, v30, v31
	v_mul_f32_e32 v30, v15, v56
	v_mov_b32_e32 v31, v26
	ds_read_b32 v60, v27
	v_mov_b32_e32 v27, s17
	s_add_i32 s17, s14, 0xfffffd58
	s_add_i32 s24, s14, 0xfffffd14
	v_pk_mul_f32 v[2:3], v[30:31], v[2:3]
	ds_read_b32 v62, v27
	v_mov_b32_e32 v27, s17
	s_sub_i32 s17, s33, 32
	s_sub_i32 s27, s33, 40
	ds_write_b32 v14, v26 offset:1024
	v_mov_b32_e32 v14, s24
	s_sub_i32 s24, s23, 28
	s_sub_i32 s29, s23, 36
	;; [unrolled: 1-line block ×3, first 2 shown]
	s_add_i32 s23, s14, 0xfffffcd0
	s_add_i32 s28, s14, 0xfffffc8c
	s_addk_i32 s14, 0xfc48
	v_sub_f32_e32 v3, v52, v3
	v_sub_f32_e32 v34, v3, v2
	v_mov_b32_e32 v2, s14
	ds_read_b32 v52, v2
	v_pk_mul_f32 v[2:3], v[30:31], v[28:29]
	s_sub_i32 s14, s30, 24
	v_sub_f32_e32 v3, v57, v3
	ds_read_b32 v64, v14
	v_fma_f32 v33, -v26, v33, v49
	v_mov_b32_e32 v14, s23
	v_mov_b32_e32 v26, s14
	s_sub_i32 s14, s30, 32
	v_sub_f32_e32 v57, v3, v2
	v_pk_mul_f32 v[2:3], v[30:31], v[42:43]
	ds_read_b32 v49, v14
	v_mov_b32_e32 v14, s28
	v_mov_b32_e32 v28, s14
	s_sub_i32 s14, s30, 40
	v_sub_f32_e32 v3, v50, v3
	ds_read_b32 v56, v14
	v_mov_b32_e32 v35, s14
	s_sub_i32 s14, s30, 48
	v_sub_f32_e32 v42, v3, v2
	s_waitcnt lgkmcnt(8)
	v_pk_mul_f32 v[2:3], v[30:31], v[44:45]
	v_pk_mul_f32 v[14:15], v[30:31], v[40:41]
	v_mov_b32_e32 v43, s14
	v_sub_f32_e32 v3, v53, v3
	v_sub_f32_e32 v15, v47, v15
	ds_read_b32 v63, v27
	v_sub_f32_e32 v44, v15, v14
	v_sub_f32_e32 v45, v3, v2
	ds_read2_b32 v[26:27], v26 offset1:1
	ds_read2_b32 v[28:29], v28 offset1:1
	;; [unrolled: 1-line block ×4, first 2 shown]
	v_fma_f32 v43, -v30, v32, v33
	v_mul_f32_e32 v32, v34, v58
	v_mov_b32_e32 v33, v30
	s_sub_i32 s37, s31, 24
	ds_write_b32 v25, v30 offset:1024
	v_pk_mul_f32 v[30:31], v[32:33], v[36:37]
	s_sub_i32 s39, s35, 20
	v_mov_b32_e32 v35, s37
	v_sub_f32_e32 v25, v59, v31
	ds_write_b32 v24, v32 offset:1024
	v_mov_b32_e32 v47, s39
	v_sub_f32_e32 v50, v25, v30
	ds_read2_b32 v[24:25], v35 offset1:1
	ds_read2_b32 v[30:31], v47 offset1:1
	s_sub_i32 s14, s30, 56
	v_mov_b32_e32 v34, s14
	s_mul_i32 s14, s16, 0x44
	v_mov_b32_e32 v36, s14
	s_sub_i32 s19, s34, 28
	s_sub_i32 s25, s34, 36
	;; [unrolled: 1-line block ×9, first 2 shown]
	ds_read2_b32 v[34:35], v34 offset1:1
	ds_read_b32 v47, v36
	s_waitcnt lgkmcnt(2)
	v_pk_mul_f32 v[30:31], v[32:33], v[30:31]
	v_pk_mul_f32 v[36:37], v[32:33], v[38:39]
	;; [unrolled: 1-line block ×4, first 2 shown]
	v_mul_f32_e32 v38, v50, v51
	v_mov_b32_e32 v39, v32
	v_mov_b32_e32 v40, s35
	;; [unrolled: 1-line block ×5, first 2 shown]
	v_sub_f32_e32 v9, v54, v9
	v_sub_f32_e32 v13, v46, v13
	;; [unrolled: 1-line block ×4, first 2 shown]
	v_pk_mul_f32 v[10:11], v[38:39], v[10:11]
	v_pk_mul_f32 v[6:7], v[38:39], v[6:7]
	;; [unrolled: 1-line block ×3, first 2 shown]
	v_sub_f32_e32 v46, v13, v12
	v_sub_f32_e32 v51, v9, v8
	ds_read2_b32 v[8:9], v40 offset1:1
	ds_read2_b32 v[12:13], v41 offset1:1
	;; [unrolled: 1-line block ×4, first 2 shown]
	v_sub_f32_e32 v48, v37, v36
	v_mov_b32_e32 v36, s27
	v_mov_b32_e32 v37, s34
	v_sub_f32_e32 v50, v31, v30
	v_mov_b32_e32 v30, s25
	v_mov_b32_e32 v53, s29
	v_sub_f32_e32 v11, v57, v11
	v_sub_f32_e32 v7, v42, v7
	;; [unrolled: 1-line block ×3, first 2 shown]
	v_mov_b32_e32 v57, s18
	v_sub_f32_e32 v42, v11, v10
	v_sub_f32_e32 v54, v7, v6
	ds_read2_b32 v[6:7], v36 offset1:1
	ds_read2_b32 v[10:11], v37 offset1:1
	;; [unrolled: 1-line block ×4, first 2 shown]
	v_sub_f32_e32 v53, v5, v4
	v_pk_mul_f32 v[4:5], v[38:39], v[24:25]
	v_pk_mul_f32 v[24:25], v[38:39], v[26:27]
	ds_read2_b32 v[26:27], v57 offset1:1
	v_sub_f32_e32 v5, v45, v5
	v_mov_b32_e32 v45, s19
	ds_write_b32 v23, v38 offset:1024
	v_sub_f32_e32 v25, v43, v25
	v_sub_f32_e32 v58, v5, v4
	v_mov_b32_e32 v59, s24
	v_mov_b32_e32 v23, s28
	v_mul_f32_e32 v4, v42, v55
	v_mov_b32_e32 v5, v38
	v_sub_f32_e32 v55, v25, v24
	ds_read2_b32 v[24:25], v45 offset1:1
	ds_read2_b32 v[38:39], v59 offset1:1
	;; [unrolled: 1-line block ×3, first 2 shown]
	s_waitcnt lgkmcnt(4)
	v_pk_mul_f32 v[26:27], v[4:5], v[26:27]
	v_sub_f32_e32 v23, v46, v27
	v_sub_f32_e32 v45, v23, v26
	ds_write_b32 v22, v4 offset:1024
	s_waitcnt lgkmcnt(3)
	v_pk_mul_f32 v[22:23], v[4:5], v[24:25]
	v_mov_b32_e32 v44, s31
	v_sub_f32_e32 v23, v51, v23
	v_mov_b32_e32 v46, s15
	v_mov_b32_e32 v57, s17
	;; [unrolled: 1-line block ×3, first 2 shown]
	s_waitcnt lgkmcnt(2)
	v_pk_mul_f32 v[24:25], v[4:5], v[38:39]
	s_waitcnt lgkmcnt(1)
	v_pk_mul_f32 v[26:27], v[4:5], v[42:43]
	v_mul_f32_e32 v38, v45, v60
	v_mov_b32_e32 v39, v4
	v_sub_f32_e32 v51, v23, v22
	ds_read2_b32 v[4:5], v44 offset1:1
	ds_read2_b32 v[22:23], v46 offset1:1
	;; [unrolled: 1-line block ×4, first 2 shown]
	ds_write_b32 v21, v38 offset:1024
	v_sub_f32_e32 v25, v48, v25
	s_waitcnt lgkmcnt(3)
	v_pk_mul_f32 v[22:23], v[38:39], v[22:23]
	v_sub_f32_e32 v23, v54, v23
	v_sub_f32_e32 v21, v23, v22
	;; [unrolled: 1-line block ×3, first 2 shown]
	v_mul_f32_e32 v22, v21, v62
	v_mov_b32_e32 v23, v38
	v_sub_f32_e32 v46, v25, v24
	s_waitcnt lgkmcnt(1)
	v_pk_mul_f32 v[24:25], v[38:39], v[44:45]
	v_sub_f32_e32 v44, v27, v26
	v_pk_mul_f32 v[26:27], v[22:23], v[30:31]
	v_sub_f32_e32 v21, v51, v27
	v_pk_mul_f32 v[42:43], v[38:39], v[42:43]
	ds_write_b32 v20, v22 offset:1024
	v_sub_f32_e32 v20, v21, v26
	v_sub_f32_e32 v43, v53, v43
	;; [unrolled: 1-line block ×3, first 2 shown]
	v_mul_f32_e32 v20, v20, v63
	v_mov_b32_e32 v21, v22
	v_sub_f32_e32 v27, v43, v42
	v_pk_mul_f32 v[30:31], v[22:23], v[36:37]
	v_sub_f32_e32 v36, v25, v24
	v_pk_mul_f32 v[4:5], v[22:23], v[4:5]
	v_pk_mul_f32 v[24:25], v[38:39], v[28:29]
	;; [unrolled: 1-line block ×3, first 2 shown]
	v_sub_f32_e32 v5, v44, v5
	v_sub_f32_e32 v23, v55, v25
	;; [unrolled: 1-line block ×7, first 2 shown]
	v_pk_mul_f32 v[10:11], v[20:21], v[10:11]
	v_mul_f32_e32 v4, v4, v64
	v_mov_b32_e32 v5, v20
	v_sub_f32_e32 v22, v31, v30
	v_sub_f32_e32 v11, v36, v11
	v_pk_mul_f32 v[6:7], v[4:5], v[32:33]
	v_pk_mul_f32 v[14:15], v[20:21], v[14:15]
	ds_write_b32 v19, v20 offset:1024
	v_sub_f32_e32 v7, v22, v7
	v_sub_f32_e32 v19, v11, v10
	v_pk_mul_f32 v[10:11], v[4:5], v[40:41]
	v_sub_f32_e32 v5, v23, v15
	v_sub_f32_e32 v14, v5, v14
	;; [unrolled: 1-line block ×3, first 2 shown]
	v_mul_f32_e32 v6, v5, v49
	v_mov_b32_e32 v7, v4
	ds_write_b32 v18, v4 offset:1024
	v_pk_mul_f32 v[4:5], v[6:7], v[12:13]
	v_sub_f32_e32 v5, v19, v5
	v_sub_f32_e32 v4, v5, v4
	;; [unrolled: 1-line block ×3, first 2 shown]
	v_mul_f32_e32 v4, v4, v56
	v_mov_b32_e32 v5, v6
	v_sub_f32_e32 v10, v11, v10
	v_pk_mul_f32 v[8:9], v[4:5], v[8:9]
	v_sub_f32_e32 v5, v10, v9
	v_pk_mul_f32 v[2:3], v[6:7], v[2:3]
	v_sub_f32_e32 v3, v14, v3
	ds_write_b32 v1, v4 offset:1024
	v_sub_f32_e32 v1, v5, v8
	ds_write_b32 v17, v6 offset:1024
	v_sub_f32_e32 v6, v3, v2
	v_mul_f32_e32 v2, v1, v52
	v_mov_b32_e32 v3, v4
	ds_write_b32 v16, v2 offset:1024
	v_pk_mul_f32 v[2:3], v[2:3], v[34:35]
	v_sub_f32_e32 v1, v6, v3
	v_sub_f32_e32 v1, v1, v2
	v_or_b32_e32 v2, s9, v0
	v_mul_f32_e32 v1, v1, v47
	v_lshlrev_b32_e32 v2, 2, v2
	s_sub_i32 s9, s26, 17
	ds_write_b32 v2, v1 offset:1024
	s_cmp_gt_i32 s9, -1
	s_cbranch_scc1 .LBB18_33
	s_branch .LBB18_51
.LBB18_32:
	s_mov_b32 s9, s8
	s_cmp_gt_i32 s9, -1
	s_cbranch_scc0 .LBB18_51
.LBB18_33:
	s_cmp_lt_u32 s9, 11
	s_cbranch_scc1 .LBB18_38
; %bb.34:
	s_lshl_b32 s28, s9, 4
	s_sub_i32 s23, s28, 32
	v_or_b32_e32 v2, s23, v0
	s_sub_i32 s19, s28, 48
	v_lshlrev_b32_e32 v25, 2, v2
	v_or_b32_e32 v2, s19, v0
	s_sub_i32 s15, s28, 64
	v_lshlrev_b32_e32 v24, 2, v2
	v_or_b32_e32 v2, s15, v0
	s_add_i32 s18, s28, 0xffffffb0
	v_lshlrev_b32_e32 v23, 2, v2
	v_or_b32_e32 v2, s18, v0
	s_add_i32 s16, s28, 0xffffffa0
	;; [unrolled: 3-line block ×5, first 2 shown]
	v_or_b32_e32 v1, s28, v0
	s_add_i32 s14, s28, -16
	v_lshlrev_b32_e32 v18, 2, v2
	v_or_b32_e32 v2, s27, v0
	s_add_i32 s24, s28, 0xffffff60
	v_lshlrev_b32_e32 v13, 2, v1
	v_or_b32_e32 v1, s14, v0
	v_lshlrev_b32_e32 v17, 2, v2
	v_or_b32_e32 v2, s24, v0
	s_addk_i32 s28, 0xff50
	v_lshlrev_b32_e32 v1, 2, v1
	v_lshlrev_b32_e32 v19, 2, v2
	v_or_b32_e32 v2, s28, v0
	v_lshlrev_b32_e32 v16, 2, v2
	ds_read_b32 v12, v13 offset:1024
	ds_read_b32 v1, v1 offset:1024
	;; [unrolled: 1-line block ×12, first 2 shown]
	s_cmp_le_i32 s8, s9
	s_cbranch_scc1 .LBB18_37
; %bb.35:
	s_lshl_b32 s14, s9, 6
	s_lshl_b32 s29, s26, 2
	v_lshlrev_b32_e32 v14, 2, v0
	s_add_i32 s14, s14, s29
	v_lshl_or_b32 v14, s26, 6, v14
	s_addk_i32 s14, 0xfd3c
	v_add_u32_e32 v14, 0x3c0, v14
	s_mov_b32 s29, s8
.LBB18_36:                              ; =>This Inner Loop Header: Depth=1
	v_mov_b32_e32 v28, s14
	ds_read_b32 v15, v14
	ds_read2_b32 v[26:27], v28 offset0:160 offset1:176
	s_add_i32 s29, s29, -1
	s_add_i32 s14, s14, -4
	s_cmp_gt_i32 s29, s9
	v_subrev_u32_e32 v14, 64, v14
	s_waitcnt lgkmcnt(0)
	v_fma_f32 v12, -v15, v27, v12
	v_fma_f32 v1, -v15, v26, v1
	ds_read2_b32 v[26:27], v28 offset0:128 offset1:144
	s_waitcnt lgkmcnt(0)
	v_fma_f32 v2, -v15, v27, v2
	v_fma_f32 v3, -v15, v26, v3
	ds_read2_b32 v[26:27], v28 offset0:96 offset1:112
	;; [unrolled: 4-line block ×4, first 2 shown]
	s_waitcnt lgkmcnt(0)
	v_fma_f32 v8, -v15, v27, v8
	v_fma_f32 v9, -v15, v26, v9
	ds_read2_b32 v[26:27], v28 offset1:16
	s_waitcnt lgkmcnt(0)
	v_fma_f32 v10, -v15, v27, v10
	v_fma_f32 v11, -v15, v26, v11
	s_cbranch_scc1 .LBB18_36
.LBB18_37:
	s_mul_i32 s14, s9, 0x44
	s_add_i32 s30, s14, 0xffffff78
	s_add_i32 s19, s19, s9
	;; [unrolled: 1-line block ×3, first 2 shown]
	v_add_u32_e32 v26, 0x400, v13
	v_mov_b32_e32 v13, s14
	s_lshl_b32 s19, s19, 2
	v_mov_b32_e32 v14, s30
	v_mov_b32_e32 v28, s34
	ds_read_b32 v13, v13
	ds_read_b32 v27, v14
	;; [unrolled: 1-line block ×3, first 2 shown]
	v_mov_b32_e32 v14, s19
	ds_read_b32 v14, v14
	s_add_i32 s29, s14, 0xffffffbc
	s_add_i32 s25, s25, s9
	;; [unrolled: 1-line block ×3, first 2 shown]
	v_mov_b32_e32 v28, s29
	ds_read2_b32 v[28:29], v28 offset1:1
	s_waitcnt lgkmcnt(4)
	v_mul_f32_e32 v31, v12, v13
	s_lshl_b32 s29, s25, 2
	v_mov_b32_e32 v15, s31
	s_waitcnt lgkmcnt(1)
	v_fma_f32 v46, -v31, v14, v3
	v_mov_b32_e32 v3, s29
	ds_read_b32 v44, v15
	ds_read_b32 v3, v3
	s_add_i32 s27, s27, s9
	s_add_i32 s33, s14, 0xfffffef0
	;; [unrolled: 1-line block ×3, first 2 shown]
	s_lshl_b32 s25, s27, 2
	s_lshl_b32 s18, s18, 2
	v_mov_b32_e32 v15, s33
	s_waitcnt lgkmcnt(0)
	v_fma_f32 v49, -v31, v3, v7
	v_mov_b32_e32 v3, s25
	ds_read_b32 v45, v15
	ds_read_b32 v3, v3
	v_mov_b32_e32 v15, s18
	ds_read_b32 v15, v15
	s_add_i32 s27, s9, -1
	s_add_i32 s23, s27, s23
	s_add_i32 s28, s28, s9
	s_lshl_b32 s30, s23, 2
	s_lshl_b32 s23, s28, 2
	s_add_i32 s24, s24, s9
	s_add_i32 s28, s23, -8
	s_lshl_b32 s24, s24, 2
	s_waitcnt lgkmcnt(1)
	v_fma_f32 v50, -v31, v3, v9
	v_mov_b32_e32 v3, s23
	ds_read_b32 v3, v3
	v_mov_b32_e32 v7, s28
	v_fma_f32 v1, -v31, v29, v1
	s_add_i32 s28, s24, -4
	s_waitcnt lgkmcnt(1)
	v_fma_f32 v47, -v31, v15, v5
	s_add_i32 s31, s23, -16
	v_mov_b32_e32 v5, s30
	v_mul_f32_e32 v30, v1, v28
	v_mov_b32_e32 v1, s28
	v_mov_b32_e32 v9, s31
	ds_read2_b32 v[32:33], v5 offset1:1
	ds_read2_b32 v[14:15], v7 offset1:1
	;; [unrolled: 1-line block ×4, first 2 shown]
	s_add_i32 s17, s17, s9
	s_lshl_b32 s17, s17, 2
	s_sub_i32 s30, s23, 40
	s_add_i32 s28, s17, -4
	s_waitcnt lgkmcnt(4)
	v_fma_f32 v51, -v31, v3, v11
	v_mov_b32_e32 v1, s30
	s_waitcnt lgkmcnt(0)
	v_pk_mul_f32 v[28:29], v[30:31], v[28:29]
	v_mov_b32_e32 v3, s28
	ds_read2_b32 v[34:35], v1 offset1:1
	v_sub_f32_e32 v1, v10, v29
	ds_read2_b32 v[10:11], v3 offset1:1
	s_add_i32 s16, s16, s9
	s_lshl_b32 s16, s16, 2
	s_add_i32 s28, s16, -4
	v_mov_b32_e32 v3, s28
	s_waitcnt lgkmcnt(0)
	v_pk_mul_f32 v[10:11], v[30:31], v[10:11]
	v_sub_f32_e32 v11, v8, v11
	ds_read2_b32 v[8:9], v3 offset1:1
	s_add_i32 s15, s15, s9
	s_add_i32 s30, s29, -8
	s_lshl_b32 s15, s15, 2
	v_mov_b32_e32 v3, s30
	s_add_i32 s28, s15, -4
	ds_read2_b32 v[36:37], v3 offset1:1
	s_waitcnt lgkmcnt(1)
	v_pk_mul_f32 v[8:9], v[30:31], v[8:9]
	v_mov_b32_e32 v3, s28
	v_sub_f32_e32 v9, v6, v9
	ds_read2_b32 v[6:7], v3 offset1:1
	s_add_i32 s19, s19, -8
	s_add_i32 s28, s17, -12
	;; [unrolled: 1-line block ×3, first 2 shown]
	v_mov_b32_e32 v38, s19
	s_waitcnt lgkmcnt(0)
	v_pk_mul_f32 v[6:7], v[30:31], v[6:7]
	v_sub_f32_e32 v7, v4, v7
	v_pk_mul_f32 v[4:5], v[30:31], v[32:33]
	v_sub_f32_e32 v5, v2, v5
	v_mov_b32_e32 v2, s28
	v_mov_b32_e32 v29, s30
	ds_read2_b32 v[2:3], v2 offset1:1
	ds_read2_b32 v[32:33], v29 offset1:1
	;; [unrolled: 1-line block ×3, first 2 shown]
	s_add_i32 s19, s18, -8
	v_mov_b32_e32 v29, s19
	s_add_i32 s33, s14, 0xfffffd9c
	ds_read2_b32 v[40:41], v29 offset1:1
	v_sub_f32_e32 v4, v5, v4
	v_mov_b32_e32 v5, s33
	s_add_i32 s35, s14, 0xfffffd58
	ds_read_b32 v55, v5
	v_mov_b32_e32 v5, s35
	s_add_i32 s19, s25, -8
	ds_read_b32 v56, v5
	v_mul_f32_e32 v4, v4, v27
	v_mov_b32_e32 v5, v30
	v_mov_b32_e32 v29, s19
	v_sub_f32_e32 v59, v11, v10
	s_waitcnt lgkmcnt(3)
	v_pk_mul_f32 v[10:11], v[4:5], v[38:39]
	ds_read2_b32 v[42:43], v29 offset1:1
	v_sub_f32_e32 v11, v46, v11
	v_sub_f32_e32 v1, v1, v28
	;; [unrolled: 1-line block ×3, first 2 shown]
	s_waitcnt lgkmcnt(3)
	v_pk_mul_f32 v[10:11], v[4:5], v[40:41]
	v_lshlrev_b32_e32 v29, 2, v0
	v_sub_f32_e32 v11, v47, v11
	v_lshl_or_b32 v29, s27, 6, v29
	s_add_i32 s27, s14, 0xfffffe68
	s_add_i32 s30, s14, 0xfffffde0
	v_sub_f32_e32 v64, v11, v10
	v_pk_mul_f32 v[10:11], v[4:5], v[36:37]
	v_mov_b32_e32 v52, s27
	s_add_i32 s27, s29, -16
	s_sub_i32 s28, s29, 24
	s_add_i32 s29, s14, 0xfffffe24
	v_mov_b32_e32 v54, s30
	s_add_i32 s30, s25, -16
	s_sub_i32 s31, s25, 24
	s_sub_i32 s25, s25, 32
	;; [unrolled: 1-line block ×6, first 2 shown]
	v_sub_f32_e32 v11, v49, v11
	v_mov_b32_e32 v53, s29
	ds_write_b32 v26, v31
	v_mov_b32_e32 v26, s35
	s_sub_i32 s23, s23, 32
	ds_write_b32 v29, v30 offset:1024
	v_mov_b32_e32 v27, s24
	v_mov_b32_e32 v30, s25
	v_sub_f32_e32 v49, v11, v10
	s_waitcnt lgkmcnt(2)
	v_pk_mul_f32 v[10:11], v[4:5], v[42:43]
	s_add_i32 s15, s15, -12
	ds_read_b32 v52, v52
	ds_read_b32 v53, v53
	;; [unrolled: 1-line block ×3, first 2 shown]
	v_mov_b32_e32 v29, s23
	v_sub_f32_e32 v57, v7, v6
	v_sub_f32_e32 v58, v9, v8
	ds_read2_b32 v[6:7], v26 offset1:1
	ds_read2_b32 v[8:9], v29 offset1:1
	;; [unrolled: 1-line block ×4, first 2 shown]
	v_mov_b32_e32 v36, s27
	v_mov_b32_e32 v37, s30
	ds_write_b32 v25, v4 offset:1024
	v_sub_f32_e32 v11, v50, v11
	v_mov_b32_e32 v25, s15
	v_mov_b32_e32 v29, v4
	v_sub_f32_e32 v50, v11, v10
	v_pk_mul_f32 v[4:5], v[4:5], v[14:15]
	ds_read2_b32 v[10:11], v36 offset1:1
	ds_read2_b32 v[14:15], v37 offset1:1
	;; [unrolled: 1-line block ×3, first 2 shown]
	s_add_i32 s19, s16, -12
	v_mul_f32_e32 v28, v28, v44
	s_add_i32 s18, s18, -16
	s_sub_i32 s16, s16, 20
	s_sub_i32 s29, s17, 20
	v_mov_b32_e32 v25, s19
	v_sub_f32_e32 v5, v51, v5
	s_waitcnt lgkmcnt(0)
	v_pk_mul_f32 v[36:37], v[28:29], v[36:37]
	v_mov_b32_e32 v38, s16
	v_mov_b32_e32 v39, s29
	;; [unrolled: 1-line block ×4, first 2 shown]
	v_sub_f32_e32 v51, v5, v4
	ds_read2_b32 v[4:5], v25 offset1:1
	v_sub_f32_e32 v25, v57, v37
	ds_write_b32 v24, v28 offset:1024
	v_sub_f32_e32 v42, v25, v36
	ds_read2_b32 v[24:25], v38 offset1:1
	ds_read2_b32 v[36:37], v39 offset1:1
	;; [unrolled: 1-line block ×4, first 2 shown]
	v_mul_f32_e32 v42, v42, v45
	v_mov_b32_e32 v43, v28
	v_pk_mul_f32 v[2:3], v[28:29], v[2:3]
	v_pk_mul_f32 v[32:33], v[28:29], v[32:33]
	s_waitcnt lgkmcnt(0)
	v_pk_mul_f32 v[40:41], v[42:43], v[40:41]
	v_sub_f32_e32 v3, v59, v3
	v_sub_f32_e32 v1, v1, v33
	;; [unrolled: 1-line block ×3, first 2 shown]
	s_sub_i32 s17, s17, 28
	v_pk_mul_f32 v[4:5], v[28:29], v[4:5]
	v_sub_f32_e32 v41, v3, v2
	v_pk_mul_f32 v[2:3], v[42:43], v[14:15]
	v_sub_f32_e32 v14, v33, v40
	v_mov_b32_e32 v60, s17
	v_sub_f32_e32 v5, v58, v5
	v_sub_f32_e32 v3, v50, v3
	v_mul_f32_e32 v14, v14, v48
	v_mov_b32_e32 v15, v42
	v_mov_b32_e32 v61, s34
	;; [unrolled: 1-line block ×4, first 2 shown]
	v_sub_f32_e32 v57, v5, v4
	ds_read2_b32 v[4:5], v60 offset1:1
	ds_read2_b32 v[28:29], v61 offset1:1
	;; [unrolled: 1-line block ×4, first 2 shown]
	v_sub_f32_e32 v1, v1, v32
	v_pk_mul_f32 v[24:25], v[14:15], v[24:25]
	v_sub_f32_e32 v32, v3, v2
	v_pk_mul_f32 v[2:3], v[14:15], v[38:39]
	v_pk_mul_f32 v[12:13], v[42:43], v[12:13]
	ds_write_b32 v23, v42 offset:1024
	v_sub_f32_e32 v23, v57, v25
	v_sub_f32_e32 v1, v1, v3
	;; [unrolled: 1-line block ×3, first 2 shown]
	v_pk_mul_f32 v[10:11], v[42:43], v[10:11]
	v_sub_f32_e32 v33, v3, v12
	v_sub_f32_e32 v3, v23, v24
	;; [unrolled: 1-line block ×3, first 2 shown]
	v_mul_f32_e32 v12, v3, v52
	v_mov_b32_e32 v13, v14
	v_sub_f32_e32 v25, v11, v10
	v_pk_mul_f32 v[10:11], v[14:15], v[36:37]
	ds_write_b32 v22, v14 offset:1024
	s_waitcnt lgkmcnt(3)
	v_pk_mul_f32 v[14:15], v[12:13], v[44:45]
	v_sub_f32_e32 v3, v25, v15
	v_sub_f32_e32 v11, v41, v11
	;; [unrolled: 1-line block ×5, first 2 shown]
	s_waitcnt lgkmcnt(2)
	v_pk_mul_f32 v[10:11], v[12:13], v[46:47]
	v_mul_f32_e32 v2, v2, v53
	v_mov_b32_e32 v3, v12
	v_sub_f32_e32 v11, v32, v11
	v_pk_mul_f32 v[4:5], v[2:3], v[4:5]
	v_pk_mul_f32 v[6:7], v[12:13], v[6:7]
	v_sub_f32_e32 v5, v15, v5
	v_sub_f32_e32 v14, v11, v10
	v_pk_mul_f32 v[10:11], v[2:3], v[28:29]
	v_sub_f32_e32 v3, v33, v7
	v_sub_f32_e32 v1, v1, v11
	v_sub_f32_e32 v11, v3, v6
	v_sub_f32_e32 v3, v5, v4
	v_mul_f32_e32 v4, v3, v54
	v_mov_b32_e32 v5, v2
	ds_write_b32 v20, v2 offset:1024
	v_pk_mul_f32 v[2:3], v[4:5], v[30:31]
	v_sub_f32_e32 v3, v14, v3
	v_sub_f32_e32 v2, v3, v2
	v_mul_f32_e32 v2, v2, v55
	v_mov_b32_e32 v3, v4
	v_sub_f32_e32 v1, v1, v10
	v_pk_mul_f32 v[6:7], v[2:3], v[26:27]
	ds_write_b32 v18, v4 offset:1024
	v_sub_f32_e32 v1, v1, v7
	v_pk_mul_f32 v[4:5], v[4:5], v[8:9]
	v_sub_f32_e32 v3, v11, v5
	v_sub_f32_e32 v1, v1, v6
	s_addk_i32 s14, 0xfd14
	v_sub_f32_e32 v7, v3, v4
	v_mul_f32_e32 v4, v1, v56
	v_mov_b32_e32 v1, s14
	ds_read_b32 v1, v1
	v_mov_b32_e32 v5, v2
	ds_write_b32 v17, v2 offset:1024
	v_pk_mul_f32 v[2:3], v[4:5], v[34:35]
	v_sub_f32_e32 v3, v7, v3
	v_sub_f32_e32 v2, v3, v2
	s_waitcnt lgkmcnt(1)
	v_mul_f32_e32 v1, v2, v1
	s_add_i32 s9, s9, -12
	ds_write_b32 v21, v12 offset:1024
	ds_write_b32 v19, v4 offset:1024
	;; [unrolled: 1-line block ×3, first 2 shown]
.LBB18_38:
	s_cmp_lt_i32 s9, 0
	s_cbranch_scc1 .LBB18_51
; %bb.39:
	s_bitcmp1_b32 s9, 0
	s_cselect_b64 s[14:15], -1, 0
	s_and_b64 vcc, exec, s[14:15]
	s_mov_b32 s14, s9
	s_cbranch_vccnz .LBB18_44
; %bb.40:
	v_lshlrev_b32_e32 v3, 2, v0
	v_lshl_or_b32 v1, s9, 6, v3
	ds_read_b32 v2, v1 offset:1024
	s_cmp_le_i32 s8, s9
	s_cbranch_scc1 .LBB18_43
; %bb.41:
	s_lshl_b32 s14, s9, 6
	s_lshl_b32 s15, s26, 2
	s_add_i32 s14, s14, s15
	v_lshl_or_b32 v3, s26, 6, v3
	s_add_i32 s14, s14, -4
	v_add_u32_e32 v3, 0x3c0, v3
	s_mov_b32 s15, s8
.LBB18_42:                              ; =>This Inner Loop Header: Depth=1
	v_mov_b32_e32 v5, s14
	ds_read_b32 v4, v3
	ds_read_b32 v5, v5
	s_add_i32 s15, s15, -1
	s_add_i32 s14, s14, -4
	v_subrev_u32_e32 v3, 64, v3
	s_cmp_gt_i32 s15, s9
	s_waitcnt lgkmcnt(0)
	v_fma_f32 v2, -v4, v5, v2
	s_cbranch_scc1 .LBB18_42
.LBB18_43:
	s_mul_i32 s14, s9, 0x44
	v_mov_b32_e32 v3, s14
	ds_read_b32 v3, v3
	v_add_u32_e32 v1, 0x400, v1
	s_add_i32 s14, s9, -1
	s_waitcnt lgkmcnt(0)
	v_mul_f32_e32 v2, v2, v3
	ds_write_b32 v1, v2
.LBB18_44:
	s_cmp_eq_u32 s9, 0
	s_cbranch_scc1 .LBB18_51
; %bb.45:
	s_lshl_b32 s9, s14, 6
	s_lshl_b32 s15, s26, 2
	v_lshlrev_b32_e32 v1, 2, v0
	s_add_i32 s15, s9, s15
	v_lshl_or_b32 v2, s26, 6, v1
	s_add_i32 s9, s15, -4
	v_add_u32_e32 v3, 0x3c0, v2
	s_addk_i32 s15, 0xffbc
	s_branch .LBB18_47
.LBB18_46:                              ;   in Loop: Header=BB18_47 Depth=1
	s_addk_i32 s16, 0xffbc
	v_add_u32_e32 v4, 0x400, v5
	v_mov_b32_e32 v5, s16
	ds_read_b32 v5, v5
	s_add_i32 s16, s14, -2
	s_addk_i32 s9, 0xff80
	s_addk_i32 s15, 0xff80
	s_cmp_lt_i32 s14, 2
	s_waitcnt lgkmcnt(0)
	v_mul_f32_e32 v2, v2, v5
	s_mov_b32 s14, s16
	ds_write_b32 v4, v2
	s_cbranch_scc1 .LBB18_51
.LBB18_47:                              ; =>This Loop Header: Depth=1
                                        ;     Child Loop BB18_48 Depth 2
                                        ;     Child Loop BB18_50 Depth 2
	v_lshl_or_b32 v2, s14, 6, v1
	ds_read_b32 v4, v2 offset:1024
	s_cmp_le_i32 s8, s14
	v_mov_b32_e32 v5, v3
	s_mov_b32 s16, s9
	s_mov_b32 s17, s8
	s_cbranch_scc1 .LBB18_49
.LBB18_48:                              ;   Parent Loop BB18_47 Depth=1
                                        ; =>  This Inner Loop Header: Depth=2
	v_mov_b32_e32 v7, s16
	ds_read_b32 v6, v5
	ds_read_b32 v7, v7
	s_add_i32 s17, s17, -1
	s_add_i32 s16, s16, -4
	v_subrev_u32_e32 v5, 64, v5
	s_cmp_gt_i32 s17, s14
	s_waitcnt lgkmcnt(0)
	v_fma_f32 v4, -v6, v7, v4
	s_cbranch_scc1 .LBB18_48
.LBB18_49:                              ;   in Loop: Header=BB18_47 Depth=1
	s_mul_i32 s16, s14, 0x44
	v_add_u32_e32 v6, 0x400, v2
	v_mov_b32_e32 v2, s16
	s_lshl_b32 s17, s14, 6
	ds_read_b32 v7, v2
	s_sub_i32 s17, s17, 64
	v_lshl_or_b32 v5, v0, 2, s17
	ds_read_b32 v2, v5 offset:1024
	s_cmp_le_i32 s26, s14
	s_waitcnt lgkmcnt(1)
	v_mul_f32_e32 v4, v4, v7
	ds_write_b32 v6, v4
	v_mov_b32_e32 v4, v3
	s_mov_b32 s17, s15
	s_mov_b32 s18, s26
	s_cbranch_scc1 .LBB18_46
.LBB18_50:                              ;   Parent Loop BB18_47 Depth=1
                                        ; =>  This Inner Loop Header: Depth=2
	v_mov_b32_e32 v7, s17
	ds_read_b32 v6, v4
	ds_read_b32 v7, v7
	s_add_i32 s18, s18, -1
	s_add_i32 s17, s17, -4
	v_subrev_u32_e32 v4, 64, v4
	s_cmp_gt_i32 s18, s14
	s_waitcnt lgkmcnt(0)
	v_fma_f32 v2, -v6, v7, v2
	s_cbranch_scc1 .LBB18_50
	s_branch .LBB18_46
.LBB18_51:
	s_mov_b64 s[8:9], 0
.LBB18_52:
	s_and_b64 vcc, exec, s[8:9]
	s_cbranch_vccz .LBB18_74
; %bb.53:
	s_cmp_gt_i32 s10, 15
	s_cselect_b64 s[8:9], -1, 0
	s_and_b64 vcc, exec, s[8:9]
	s_cbranch_vccz .LBB18_55
; %bb.54:
	v_lshlrev_b32_e32 v1, 2, v0
	v_add_u32_e32 v1, 0x400, v1
	ds_read2_b32 v[10:11], v1 offset1:16
	ds_read2_b32 v[18:19], v1 offset0:32 offset1:48
	ds_read2_b32 v[22:23], v1 offset0:64 offset1:80
	v_mov_b32_e32 v48, 0
	ds_read_b128 v[2:5], v48
	ds_read2_b32 v[30:31], v1 offset0:96 offset1:112
	ds_read2_b32 v[32:33], v1 offset0:128 offset1:144
	;; [unrolled: 1-line block ×3, first 2 shown]
	ds_read_b128 v[6:9], v48 offset:16
	s_waitcnt lgkmcnt(4)
	v_mul_f32_e32 v49, v10, v2
	v_fma_f32 v14, -v49, v3, v11
	ds_read2_b32 v[2:3], v48 offset0:17 offset1:18
	ds_read2_b32 v[20:21], v48 offset0:19 offset1:20
	;; [unrolled: 1-line block ×4, first 2 shown]
	ds_read2_b64 v[10:13], v48 offset0:17 offset1:18
	s_waitcnt lgkmcnt(4)
	v_mul_f32_e32 v50, v14, v2
	v_fma_f32 v2, -v49, v4, v18
	v_fma_f32 v2, -v50, v3, v2
	ds_read2_b64 v[14:17], v48 offset0:19 offset1:20
	s_waitcnt lgkmcnt(1)
	v_mul_f32_e32 v51, v2, v10
	v_fma_f32 v2, -v49, v5, v19
	ds_read2_b32 v[18:19], v48 offset0:51 offset1:52
	v_fma_f32 v2, -v50, v20, v2
	v_fma_f32 v2, -v51, v11, v2
	ds_read2_b32 v[26:27], v48 offset0:53 offset1:54
	ds_read2_b32 v[38:39], v48 offset0:55 offset1:56
	;; [unrolled: 1-line block ×3, first 2 shown]
	v_fma_f32 v6, -v49, v6, v22
	s_waitcnt lgkmcnt(3)
	v_mul_f32_e32 v52, v2, v18
	ds_read_b128 v[2:5], v48 offset:272
	v_fma_f32 v6, -v50, v21, v6
	v_fma_f32 v6, -v51, v12, v6
	;; [unrolled: 1-line block ×3, first 2 shown]
	ds_read_b128 v[18:21], v48 offset:288
	s_waitcnt lgkmcnt(1)
	v_mul_f32_e32 v53, v6, v2
	v_fma_f32 v2, -v49, v7, v23
	ds_read2_b32 v[6:7], v48 offset0:85 offset1:86
	v_fma_f32 v2, -v50, v24, v2
	v_fma_f32 v2, -v51, v13, v2
	ds_read_b128 v[10:13], v48 offset:304
	v_fma_f32 v2, -v52, v26, v2
	v_fma_f32 v2, -v53, v3, v2
	s_waitcnt lgkmcnt(1)
	v_mul_f32_e32 v54, v2, v6
	v_fma_f32 v2, -v49, v8, v30
	v_fma_f32 v2, -v50, v25, v2
	ds_read2_b64 v[22:25], v48 offset0:51 offset1:52
	v_fma_f32 v2, -v51, v14, v2
	v_fma_f32 v2, -v52, v27, v2
	ds_read2_b64 v[26:29], v48 offset0:53 offset1:54
	v_fma_f32 v2, -v53, v4, v2
	v_fma_f32 v2, -v54, v7, v2
	s_waitcnt lgkmcnt(1)
	v_mul_f32_e32 v55, v2, v22
	v_fma_f32 v2, -v49, v9, v31
	v_fma_f32 v2, -v50, v36, v2
	;; [unrolled: 1-line block ×5, first 2 shown]
	ds_read2_b32 v[14:15], v48 offset0:87 offset1:88
	ds_read_b128 v[2:5], v48 offset:32
	ds_read2_b32 v[30:31], v48 offset0:89 offset1:90
	ds_read2_b32 v[42:43], v48 offset0:91 offset1:92
	ds_read2_b32 v[44:45], v48 offset0:93 offset1:94
	s_waitcnt lgkmcnt(4)
	v_fma_f32 v6, -v54, v14, v6
	s_waitcnt lgkmcnt(3)
	v_fma_f32 v2, -v49, v2, v32
	v_fma_f32 v2, -v50, v37, v2
	;; [unrolled: 1-line block ×3, first 2 shown]
	ds_read_b128 v[6:9], v48 offset:48
	ds_read2_b32 v[22:23], v48 offset0:25 offset1:26
	v_fma_f32 v2, -v51, v16, v2
	v_fma_f32 v2, -v52, v39, v2
	;; [unrolled: 1-line block ×6, first 2 shown]
	s_waitcnt lgkmcnt(0)
	v_fma_f32 v2, -v50, v22, v2
	v_fma_f32 v2, -v51, v17, v2
	;; [unrolled: 1-line block ×3, first 2 shown]
	ds_read2_b32 v[32:33], v48 offset0:27 offset1:28
	ds_read2_b32 v[36:37], v48 offset0:29 offset1:30
	ds_read_b32 v57, v48 offset:124
	v_fma_f32 v2, -v53, v19, v2
	ds_read2_b64 v[14:17], v48 offset0:21 offset1:22
	ds_read2_b32 v[18:19], v48 offset0:119 offset1:120
	v_fma_f32 v2, -v54, v30, v2
	v_fma_f32 v58, -v55, v25, v2
	;; [unrolled: 1-line block ×4, first 2 shown]
	s_waitcnt lgkmcnt(1)
	v_fma_f32 v2, -v51, v14, v2
	v_fma_f32 v3, -v49, v5, v35
	ds_read2_b32 v[24:25], v48 offset0:121 offset1:122
	ds_read2_b32 v[34:35], v48 offset0:123 offset1:124
	ds_read_b64 v[38:39], v48 offset:440
	ds_read_b64 v[22:23], v48 offset:184
	v_fma_f32 v2, -v52, v41, v2
	ds_read2_b32 v[40:41], v48 offset0:59 offset1:60
	s_waitcnt lgkmcnt(5)
	v_mul_f32_e32 v59, v46, v18
	ds_read2_b32 v[46:47], v48 offset0:61 offset1:62
	v_fma_f32 v18, -v53, v20, v2
	v_fma_f32 v2, -v50, v32, v3
	;; [unrolled: 1-line block ×4, first 2 shown]
	ds_read2_b32 v[30:31], v48 offset0:125 offset1:126
	s_waitcnt lgkmcnt(2)
	v_fma_f32 v2, -v52, v40, v2
	v_fma_f32 v20, -v53, v21, v2
	ds_read_b128 v[2:5], v48 offset:544
	ds_read2_b32 v[14:15], v1 offset0:192 offset1:208
	v_fma_f32 v19, -v59, v19, v56
	s_mov_b32 s14, 16
	s_waitcnt lgkmcnt(1)
	v_mul_f32_e32 v40, v19, v2
	v_fma_f32 v2, -v59, v24, v58
	v_fma_f32 v21, -v40, v3, v2
	;; [unrolled: 1-line block ×3, first 2 shown]
	ds_read2_b32 v[18:19], v48 offset0:153 offset1:154
	v_fma_f32 v2, -v59, v25, v2
	v_fma_f32 v24, -v40, v4, v2
	v_fma_f32 v2, -v54, v42, v20
	s_waitcnt lgkmcnt(1)
	v_fma_f32 v6, -v49, v6, v14
	v_fma_f32 v2, -v55, v27, v2
	;; [unrolled: 1-line block ×6, first 2 shown]
	ds_read_b128 v[2:5], v48 offset:560
	s_waitcnt lgkmcnt(1)
	v_mul_f32_e32 v34, v21, v18
	v_fma_f32 v16, -v52, v41, v6
	v_fma_f32 v6, -v49, v7, v15
	;; [unrolled: 1-line block ×3, first 2 shown]
	ds_read2_b32 v[24:25], v1 offset0:224 offset1:240
	ds_write2_b32 v1, v49, v50 offset1:16
	ds_write2_b32 v1, v51, v52 offset0:32 offset1:48
	ds_write2_b32 v1, v53, v54 offset0:64 offset1:80
	;; [unrolled: 1-line block ×4, first 2 shown]
	v_fma_f32 v6, -v50, v36, v6
	ds_read2_b64 v[18:21], v48 offset0:85 offset1:86
	v_fma_f32 v17, -v51, v17, v6
	ds_read_b64 v[6:7], v48 offset:696
	ds_read2_b32 v[14:15], v48 offset0:155 offset1:156
	v_fma_f32 v10, -v53, v10, v16
	v_fma_f32 v10, -v54, v43, v10
	s_waitcnt lgkmcnt(2)
	v_mul_f32_e32 v36, v26, v18
	ds_read2_b32 v[26:27], v48 offset0:157 offset1:158
	s_waitcnt lgkmcnt(1)
	v_fma_f32 v14, -v34, v14, v32
	ds_read2_b32 v[32:33], v48 offset0:187 offset1:188
	v_fma_f32 v10, -v55, v28, v10
	v_fma_f32 v10, -v59, v35, v10
	;; [unrolled: 1-line block ×6, first 2 shown]
	ds_read2_b32 v[18:19], v48 offset0:189 offset1:190
	v_fma_f32 v10, -v54, v44, v10
	v_fma_f32 v2, -v34, v15, v2
	;; [unrolled: 1-line block ×3, first 2 shown]
	ds_read2_b32 v[10:11], v48 offset0:221 offset1:222
	s_waitcnt lgkmcnt(2)
	v_mul_f32_e32 v28, v14, v32
	ds_read_b128 v[14:17], v48 offset:816
	v_fma_f32 v2, -v36, v20, v2
	v_fma_f32 v2, -v28, v33, v2
	ds_write2_b32 v1, v36, v28 offset0:160 offset1:176
	s_waitcnt lgkmcnt(1)
	v_mul_f32_e32 v14, v2, v14
	v_fma_f32 v2, -v59, v30, v29
	v_fma_f32 v2, -v40, v3, v2
	;; [unrolled: 1-line block ×6, first 2 shown]
	v_mul_f32_e32 v15, v2, v10
	v_fma_f32 v2, -v49, v8, v24
	v_fma_f32 v2, -v50, v37, v2
	;; [unrolled: 1-line block ×12, first 2 shown]
	ds_read_b64 v[2:3], v48 offset:952
	ds_write2_b32 v1, v14, v15 offset0:192 offset1:208
	v_fma_f32 v4, -v14, v16, v4
	v_fma_f32 v4, -v15, v11, v4
	ds_read2_b32 v[10:11], v48 offset0:63 offset1:95
	ds_read_b32 v6, v48 offset:1020
	s_waitcnt lgkmcnt(3)
	v_mul_f32_e32 v2, v4, v2
	v_fma_f32 v4, -v49, v9, v25
	v_fma_f32 v4, -v50, v57, v4
	;; [unrolled: 1-line block ×3, first 2 shown]
	ds_read2_b32 v[8:9], v48 offset0:127 offset1:159
	s_waitcnt lgkmcnt(2)
	v_fma_f32 v4, -v52, v10, v4
	v_fma_f32 v4, -v53, v13, v4
	;; [unrolled: 1-line block ×4, first 2 shown]
	ds_read2_b32 v[10:11], v48 offset0:191 offset1:223
	s_waitcnt lgkmcnt(1)
	v_fma_f32 v4, -v59, v8, v4
	v_fma_f32 v4, -v40, v5, v4
	;; [unrolled: 1-line block ×4, first 2 shown]
	s_waitcnt lgkmcnt(0)
	v_fma_f32 v4, -v28, v10, v4
	v_fma_f32 v4, -v14, v17, v4
	;; [unrolled: 1-line block ×4, first 2 shown]
	v_mul_f32_e32 v3, v3, v6
	ds_write2_b32 v1, v2, v3 offset0:224 offset1:240
	s_cmp_lt_i32 s14, s26
	s_cbranch_scc1 .LBB18_56
	s_branch .LBB18_74
.LBB18_55:
	s_mov_b32 s14, 0
	s_cmp_lt_i32 s14, s26
	s_cbranch_scc0 .LBB18_74
.LBB18_56:
	s_or_b32 s15, s14, 11
	s_cmp_ge_u32 s15, s26
	s_cbranch_scc1 .LBB18_63
; %bb.57:
	v_lshlrev_b32_e32 v1, 2, v0
	v_lshl_or_b32 v2, s14, 6, v1
	v_add_u32_e32 v14, 0x400, v2
	ds_read2_b32 v[12:13], v14 offset1:16
	ds_read2_b32 v[10:11], v14 offset0:32 offset1:48
	ds_read2_b32 v[8:9], v14 offset0:64 offset1:80
	;; [unrolled: 1-line block ×4, first 2 shown]
	v_lshl_or_b32 v15, s15, 6, v1
	ds_read_b32 v2, v2 offset:1664
	ds_read_b32 v3, v15 offset:1024
	s_andn2_b64 vcc, exec, s[8:9]
	s_cbranch_vccnz .LBB18_62
; %bb.58:
	s_max_u32 s9, s14, 1
	v_mov_b32_e32 v16, 0x400
	s_and_b32 s16, s9, 16
	s_lshl_b32 s8, s14, 2
	v_lshl_or_b32 v16, v0, 2, v16
.LBB18_59:                              ; =>This Inner Loop Header: Depth=1
	ds_read2_b32 v[58:59], v16 offset1:16
	v_mov_b32_e32 v17, s8
	ds_read2_b32 v[60:61], v16 offset0:32 offset1:48
	ds_read_b128 v[18:21], v17
	ds_read_b128 v[22:25], v17 offset:16
	ds_read_b128 v[26:29], v17 offset:32
	;; [unrolled: 1-line block ×9, first 2 shown]
	s_addk_i32 s8, 0x100
	s_waitcnt lgkmcnt(9)
	v_pk_fma_f32 v[12:13], v[58:59], v[18:19], v[12:13] op_sel_hi:[0,1,1] neg_lo:[1,0,0] neg_hi:[1,0,0]
	v_pk_fma_f32 v[10:11], v[58:59], v[20:21], v[10:11] op_sel_hi:[0,1,1] neg_lo:[1,0,0] neg_hi:[1,0,0]
	ds_read_b128 v[18:21], v17 offset:208
	s_waitcnt lgkmcnt(9)
	v_pk_fma_f32 v[8:9], v[58:59], v[22:23], v[8:9] op_sel_hi:[0,1,1] neg_lo:[1,0,0] neg_hi:[1,0,0]
	v_pk_fma_f32 v[6:7], v[58:59], v[24:25], v[6:7] op_sel_hi:[0,1,1] neg_lo:[1,0,0] neg_hi:[1,0,0]
	ds_read_b128 v[22:25], v17 offset:224
	v_mov_b32_e32 v62, v59
	s_waitcnt lgkmcnt(9)
	v_pk_fma_f32 v[4:5], v[58:59], v[26:27], v[4:5] op_sel_hi:[0,1,1] neg_lo:[1,0,0] neg_hi:[1,0,0]
	v_pk_fma_f32 v[2:3], v[58:59], v[28:29], v[2:3] op_sel_hi:[0,1,1] neg_lo:[1,0,0] neg_hi:[1,0,0]
	s_waitcnt lgkmcnt(8)
	v_pk_fma_f32 v[12:13], v[62:63], v[30:31], v[12:13] op_sel_hi:[0,1,1] neg_lo:[1,0,0] neg_hi:[1,0,0]
	v_pk_fma_f32 v[10:11], v[62:63], v[32:33], v[10:11] op_sel_hi:[0,1,1] neg_lo:[1,0,0] neg_hi:[1,0,0]
	;; [unrolled: 3-line block ×4, first 2 shown]
	s_add_i32 s16, s16, -4
	v_mov_b32_e32 v26, v61
	s_waitcnt lgkmcnt(5)
	v_pk_fma_f32 v[12:13], v[60:61], v[42:43], v[12:13] op_sel_hi:[0,1,1] neg_lo:[1,0,0] neg_hi:[1,0,0]
	v_pk_fma_f32 v[10:11], v[60:61], v[44:45], v[10:11] op_sel_hi:[0,1,1] neg_lo:[1,0,0] neg_hi:[1,0,0]
	s_waitcnt lgkmcnt(4)
	v_pk_fma_f32 v[8:9], v[60:61], v[46:47], v[8:9] op_sel_hi:[0,1,1] neg_lo:[1,0,0] neg_hi:[1,0,0]
	v_pk_fma_f32 v[6:7], v[60:61], v[48:49], v[6:7] op_sel_hi:[0,1,1] neg_lo:[1,0,0] neg_hi:[1,0,0]
	s_waitcnt lgkmcnt(3)
	v_pk_fma_f32 v[4:5], v[60:61], v[50:51], v[4:5] op_sel_hi:[0,1,1] neg_lo:[1,0,0] neg_hi:[1,0,0]
	v_pk_fma_f32 v[2:3], v[60:61], v[52:53], v[2:3] op_sel_hi:[0,1,1] neg_lo:[1,0,0] neg_hi:[1,0,0]
	v_add_u32_e32 v16, 0x100, v16
	s_cmp_lg_u32 s16, 0
	s_waitcnt lgkmcnt(2)
	v_pk_fma_f32 v[12:13], v[26:27], v[54:55], v[12:13] op_sel_hi:[0,1,1] neg_lo:[1,0,0] neg_hi:[1,0,0]
	v_pk_fma_f32 v[10:11], v[26:27], v[56:57], v[10:11] op_sel_hi:[0,1,1] neg_lo:[1,0,0] neg_hi:[1,0,0]
	s_waitcnt lgkmcnt(1)
	v_pk_fma_f32 v[8:9], v[26:27], v[18:19], v[8:9] op_sel_hi:[0,1,1] neg_lo:[1,0,0] neg_hi:[1,0,0]
	v_pk_fma_f32 v[6:7], v[26:27], v[20:21], v[6:7] op_sel_hi:[0,1,1] neg_lo:[1,0,0] neg_hi:[1,0,0]
	;; [unrolled: 3-line block ×3, first 2 shown]
	s_cbranch_scc1 .LBB18_59
; %bb.60:
	s_and_b32 s9, s9, 1
	s_cmp_eq_u32 s9, 0
	s_cbranch_scc1 .LBB18_62
.LBB18_61:                              ; =>This Inner Loop Header: Depth=1
	v_mov_b32_e32 v17, s8
	ds_read_b32 v30, v16
	ds_read_b128 v[18:21], v17
	ds_read_b128 v[22:25], v17 offset:16
	ds_read_b128 v[26:29], v17 offset:32
	s_add_i32 s8, s8, 64
	s_add_i32 s9, s9, -1
	v_add_u32_e32 v16, 64, v16
	s_cmp_lg_u32 s9, 0
	s_waitcnt lgkmcnt(2)
	v_pk_fma_f32 v[12:13], v[30:31], v[18:19], v[12:13] op_sel_hi:[0,1,1] neg_lo:[1,0,0] neg_hi:[1,0,0]
	v_pk_fma_f32 v[10:11], v[30:31], v[20:21], v[10:11] op_sel_hi:[0,1,1] neg_lo:[1,0,0] neg_hi:[1,0,0]
	s_waitcnt lgkmcnt(1)
	v_pk_fma_f32 v[8:9], v[30:31], v[22:23], v[8:9] op_sel_hi:[0,1,1] neg_lo:[1,0,0] neg_hi:[1,0,0]
	v_pk_fma_f32 v[6:7], v[30:31], v[24:25], v[6:7] op_sel_hi:[0,1,1] neg_lo:[1,0,0] neg_hi:[1,0,0]
	;; [unrolled: 3-line block ×3, first 2 shown]
	s_cbranch_scc1 .LBB18_61
.LBB18_62:
	s_mul_i32 s8, s14, 0x44
	v_mov_b32_e32 v40, s8
	ds_read_b128 v[16:19], v40
	ds_read_b128 v[24:27], v40 offset:32
	ds_read2_b32 v[32:33], v40 offset0:17 offset1:18
	ds_read2_b64 v[28:31], v40 offset0:17 offset1:18
	s_lshl_b32 s8, s14, 4
	s_waitcnt lgkmcnt(3)
	v_mul_f32_e32 v41, v12, v16
	v_fma_f32 v12, -v41, v17, v13
	s_or_b32 s9, s8, 16
	ds_write_b32 v14, v41
	s_waitcnt lgkmcnt(2)
	v_mul_f32_e32 v14, v12, v32
	v_or_b32_e32 v12, s9, v0
	s_add_i32 s9, s14, s9
	s_lshl_b32 s9, s9, 2
	v_lshlrev_b32_e32 v12, 2, v12
	v_mov_b32_e32 v36, s9
	ds_read_b128 v[20:23], v40 offset:16
	ds_write_b32 v12, v14 offset:1024
	ds_read2_b32 v[12:13], v36 offset0:3 offset1:4
	v_fma_f32 v10, -v41, v18, v10
	v_fma_f32 v10, -v14, v33, v10
	s_or_b32 s16, s8, 32
	ds_read2_b32 v[16:17], v40 offset0:51 offset1:52
	s_waitcnt lgkmcnt(5)
	v_mul_f32_e32 v42, v10, v28
	v_or_b32_e32 v10, s16, v0
	v_lshlrev_b32_e32 v10, 2, v10
	ds_write_b32 v10, v42 offset:1024
	v_fma_f32 v10, -v41, v19, v11
	s_waitcnt lgkmcnt(2)
	v_fma_f32 v10, -v14, v12, v10
	s_add_i32 s9, s14, s16
	v_fma_f32 v10, -v42, v29, v10
	s_or_b32 s16, s8, 48
	s_waitcnt lgkmcnt(1)
	v_mul_f32_e32 v43, v10, v16
	v_or_b32_e32 v10, s16, v0
	v_lshlrev_b32_e32 v10, 2, v10
	v_fma_f32 v8, -v41, v20, v8
	ds_read2_b32 v[18:19], v36 offset0:5 offset1:6
	ds_read2_b32 v[32:33], v36 offset0:7 offset1:8
	;; [unrolled: 1-line block ×3, first 2 shown]
	ds_write_b32 v10, v43 offset:1024
	v_fma_f32 v8, -v14, v13, v8
	ds_read_b128 v[10:13], v40 offset:272
	v_fma_f32 v8, -v42, v30, v8
	v_fma_f32 v8, -v43, v17, v8
	s_or_b32 s17, s8, 64
	s_add_i32 s16, s14, s16
	s_waitcnt lgkmcnt(0)
	v_mul_f32_e32 v44, v8, v10
	v_or_b32_e32 v8, s17, v0
	v_lshlrev_b32_e32 v8, 2, v8
	s_lshl_b32 s16, s16, 2
	ds_write_b32 v8, v44 offset:1024
	v_fma_f32 v8, -v41, v21, v9
	v_fma_f32 v8, -v14, v18, v8
	v_mov_b32_e32 v18, s16
	ds_read2_b32 v[16:17], v40 offset0:85 offset1:86
	ds_read2_b32 v[20:21], v18 offset0:5 offset1:6
	v_fma_f32 v8, -v42, v31, v8
	s_lshl_b32 s9, s9, 2
	s_add_i32 s16, s14, s17
	s_or_b32 s17, s8, 0x50
	s_waitcnt lgkmcnt(0)
	v_fma_f32 v8, -v43, v20, v8
	v_fma_f32 v8, -v44, v11, v8
	ds_read2_b32 v[28:29], v18 offset0:7 offset1:8
	ds_read2_b32 v[30:31], v18 offset0:9 offset1:10
	ds_read_b32 v45, v36 offset:44
	v_mul_f32_e32 v46, v8, v16
	v_or_b32_e32 v8, s17, v0
	v_mov_b32_e32 v36, s9
	v_lshlrev_b32_e32 v16, 2, v8
	ds_read2_b64 v[8:11], v36 offset0:3 offset1:4
	ds_read_b32 v47, v18 offset:44
	v_fma_f32 v6, -v41, v22, v6
	v_fma_f32 v6, -v14, v19, v6
	ds_read2_b32 v[18:19], v40 offset0:102 offset1:119
	s_waitcnt lgkmcnt(2)
	v_fma_f32 v6, -v42, v8, v6
	v_fma_f32 v6, -v43, v21, v6
	;; [unrolled: 1-line block ×3, first 2 shown]
	s_add_i32 s9, s14, s17
	v_fma_f32 v6, -v46, v17, v6
	s_or_b32 s17, s8, 0x60
	s_waitcnt lgkmcnt(0)
	v_mul_f32_e32 v48, v6, v18
	v_or_b32_e32 v6, s17, v0
	v_lshlrev_b32_e32 v6, 2, v6
	ds_write_b32 v6, v48 offset:1024
	v_fma_f32 v6, -v41, v23, v7
	s_lshl_b32 s9, s9, 2
	v_fma_f32 v6, -v14, v32, v6
	v_fma_f32 v6, -v42, v9, v6
	v_mov_b32_e32 v7, s9
	s_add_i32 s9, s14, s17
	ds_write_b32 v16, v46 offset:1024
	v_fma_f32 v6, -v43, v28, v6
	s_lshl_b32 s9, s9, 2
	v_fma_f32 v6, -v44, v13, v6
	v_mov_b32_e32 v8, s9
	ds_read2_b32 v[12:13], v7 offset0:7 offset1:8
	ds_read2_b32 v[20:21], v8 offset0:7 offset1:8
	;; [unrolled: 1-line block ×3, first 2 shown]
	ds_read_b32 v28, v7 offset:44
	ds_read_b64 v[36:37], v36 offset:40
	s_waitcnt lgkmcnt(4)
	v_fma_f32 v6, -v46, v12, v6
	s_waitcnt lgkmcnt(3)
	v_fma_f32 v6, -v48, v20, v6
	s_or_b32 s9, s8, 0x70
	v_mul_f32_e32 v20, v6, v19
	v_or_b32_e32 v6, s9, v0
	s_lshl_b32 s16, s16, 2
	v_lshlrev_b32_e32 v6, 2, v6
	ds_read2_b32 v[38:39], v8 offset0:9 offset1:10
	ds_read_b32 v12, v8 offset:44
	ds_write_b32 v6, v20 offset:1024
	v_mov_b32_e32 v6, s16
	ds_read_b128 v[6:9], v6 offset:32
	v_fma_f32 v4, -v41, v24, v4
	s_add_i32 s9, s14, s9
	v_fma_f32 v4, -v14, v33, v4
	s_lshl_b32 s9, s9, 2
	v_fma_f32 v4, -v42, v10, v4
	v_mov_b32_e32 v10, s9
	ds_read_b128 v[16:19], v10 offset:32
	v_fma_f32 v4, -v43, v29, v4
	s_waitcnt lgkmcnt(1)
	v_fma_f32 v4, -v44, v6, v4
	ds_read_b32 v6, v40 offset:544
	v_fma_f32 v4, -v46, v13, v4
	v_fma_f32 v4, -v48, v21, v4
	s_waitcnt lgkmcnt(1)
	v_fma_f32 v4, -v20, v16, v4
	s_bitset1_b32 s8, 7
	s_waitcnt lgkmcnt(0)
	v_mul_f32_e32 v13, v4, v6
	v_or_b32_e32 v4, s8, v0
	v_lshlrev_b32_e32 v4, 2, v4
	ds_write_b32 v4, v13 offset:1024
	v_fma_f32 v4, -v41, v25, v5
	v_fma_f32 v4, -v14, v34, v4
	;; [unrolled: 1-line block ×6, first 2 shown]
	s_add_i32 s8, s14, s8
	s_or_b32 s9, s14, 9
	v_fma_f32 v4, -v48, v38, v4
	s_lshl_b32 s8, s8, 2
	v_fma_f32 v2, -v41, v26, v2
	v_fma_f32 v16, -v20, v17, v4
	v_mov_b32_e32 v17, s8
	s_mul_i32 s8, s9, 0x44
	v_fma_f32 v2, -v14, v35, v2
	ds_read2_b32 v[4:5], v17 offset0:9 offset1:10
	v_mov_b32_e32 v6, s8
	s_or_b32 s8, s14, 10
	v_fma_f32 v2, -v42, v36, v2
	s_mul_i32 s16, s8, 0x44
	v_fma_f32 v2, -v43, v31, v2
	v_mov_b32_e32 v10, s16
	v_fma_f32 v2, -v44, v8, v2
	ds_read2_b32 v[6:7], v6 offset1:1
	ds_read_b64 v[10:11], v10
	ds_read_b32 v17, v17 offset:44
	v_fma_f32 v2, -v46, v23, v2
	v_fma_f32 v2, -v48, v39, v2
	s_waitcnt lgkmcnt(3)
	v_fma_f32 v4, -v13, v4, v16
	v_fma_f32 v2, -v20, v18, v2
	s_waitcnt lgkmcnt(2)
	v_mul_f32_e32 v4, v4, v6
	v_fma_f32 v2, -v13, v5, v2
	v_fma_f32 v2, -v4, v7, v2
	s_waitcnt lgkmcnt(1)
	v_mul_f32_e32 v2, v2, v10
	v_lshl_or_b32 v1, s8, 6, v1
	s_lshl_b32 s9, s9, 4
	ds_write_b32 v1, v2 offset:1024
	v_fma_f32 v1, -v41, v27, v3
	v_or_b32_e32 v6, s9, v0
	s_add_i32 s9, s14, s9
	v_fma_f32 v1, -v14, v45, v1
	s_lshl_b32 s9, s9, 2
	v_fma_f32 v1, -v42, v37, v1
	v_fma_f32 v1, -v43, v47, v1
	v_mov_b32_e32 v3, s9
	v_fma_f32 v1, -v44, v9, v1
	s_mul_i32 s8, s15, 0x44
	ds_read_b32 v3, v3 offset:44
	v_fma_f32 v1, -v46, v28, v1
	v_mov_b32_e32 v5, s8
	ds_read_b32 v5, v5
	v_fma_f32 v1, -v48, v12, v1
	v_fma_f32 v1, -v20, v19, v1
	s_waitcnt lgkmcnt(3)
	v_fma_f32 v1, -v13, v17, v1
	s_waitcnt lgkmcnt(1)
	v_fma_f32 v1, -v4, v3, v1
	v_fma_f32 v1, -v2, v11, v1
	v_add_u32_e32 v15, 0x400, v15
	v_lshlrev_b32_e32 v6, 2, v6
	s_waitcnt lgkmcnt(0)
	v_mul_f32_e32 v1, v1, v5
	s_or_b32 s14, s14, 12
	ds_write_b32 v6, v4 offset:1024
	ds_write_b32 v15, v1
.LBB18_63:
	s_cmp_ge_i32 s14, s26
	s_cbranch_scc1 .LBB18_74
; %bb.64:
	v_mov_b32_e32 v1, 0x400
	s_add_i32 s8, s14, -1
	s_lshl_b32 s9, s14, 2
	v_lshl_or_b32 v1, v0, 2, v1
	s_mov_b32 s15, 0
	v_lshlrev_b32_e32 v3, 2, v0
	s_mov_b32 s16, s14
	s_branch .LBB18_66
.LBB18_65:                              ;   in Loop: Header=BB18_66 Depth=1
	s_mul_i32 s17, s14, 0x44
	v_mov_b32_e32 v5, s17
	ds_read_b32 v5, v5
	s_add_i32 s14, s14, 1
	s_add_i32 s15, s15, 1
	;; [unrolled: 1-line block ×3, first 2 shown]
	v_add_u16_e64 v6, s16, 1
	v_add_u32_e32 v4, 0x400, v4
	s_waitcnt lgkmcnt(0)
	v_mul_f32_e32 v2, v2, v5
	s_cmp_ge_i32 s14, s26
	v_readfirstlane_b32 s16, v6
	ds_write_b32 v4, v2
	s_cbranch_scc1 .LBB18_74
.LBB18_66:                              ; =>This Loop Header: Depth=1
                                        ;     Child Loop BB18_69 Depth 2
                                        ;     Child Loop BB18_73 Depth 2
	v_lshl_or_b32 v4, s14, 6, v3
	ds_read_b32 v2, v4 offset:1024
	s_cmp_eq_u32 s14, 0
	s_cbranch_scc1 .LBB18_65
; %bb.67:                               ;   in Loop: Header=BB18_66 Depth=1
	s_add_i32 s17, s8, s15
	s_cmp_lt_u32 s17, 7
	s_cbranch_scc1 .LBB18_71
; %bb.68:                               ;   in Loop: Header=BB18_66 Depth=1
	s_and_b32 s17, s14, -8
	s_mov_b32 s18, 0
	v_mov_b32_e32 v5, v1
	s_mov_b32 s19, s9
.LBB18_69:                              ;   Parent Loop BB18_66 Depth=1
                                        ; =>  This Inner Loop Header: Depth=2
	ds_read2_b32 v[6:7], v5 offset1:16
	v_mov_b32_e32 v20, s19
	ds_read2_b32 v[8:9], v5 offset0:32 offset1:48
	ds_read2_b32 v[10:11], v5 offset0:64 offset1:80
	;; [unrolled: 1-line block ×3, first 2 shown]
	ds_read2_b32 v[14:15], v20 offset1:16
	ds_read2_b32 v[16:17], v20 offset0:32 offset1:48
	ds_read2_b32 v[18:19], v20 offset0:64 offset1:80
	;; [unrolled: 1-line block ×3, first 2 shown]
	s_add_i32 s18, s18, 8
	s_waitcnt lgkmcnt(3)
	v_fma_f32 v2, -v6, v14, v2
	v_fma_f32 v2, -v7, v15, v2
	s_waitcnt lgkmcnt(2)
	v_fma_f32 v2, -v8, v16, v2
	v_fma_f32 v2, -v9, v17, v2
	;; [unrolled: 3-line block ×3, first 2 shown]
	s_addk_i32 s19, 0x200
	s_waitcnt lgkmcnt(0)
	v_fma_f32 v2, -v12, v20, v2
	v_add_u32_e32 v5, 0x200, v5
	s_cmp_lg_u32 s17, s18
	v_fma_f32 v2, -v13, v21, v2
	s_cbranch_scc1 .LBB18_69
; %bb.70:                               ;   in Loop: Header=BB18_66 Depth=1
	s_and_b32 s18, s14, 7
	s_cmp_eq_u32 s18, 0
	s_cbranch_scc0 .LBB18_72
	s_branch .LBB18_65
.LBB18_71:                              ;   in Loop: Header=BB18_66 Depth=1
	s_mov_b32 s17, 0
	s_and_b32 s18, s14, 7
	s_cmp_eq_u32 s18, 0
	s_cbranch_scc1 .LBB18_65
.LBB18_72:                              ;   in Loop: Header=BB18_66 Depth=1
	s_and_b32 s18, s16, 7
	s_lshl_b32 s17, s17, 6
.LBB18_73:                              ;   Parent Loop BB18_66 Depth=1
                                        ; =>  This Inner Loop Header: Depth=2
	s_add_i32 s19, s9, s17
	v_add_u32_e32 v5, s17, v1
	v_mov_b32_e32 v6, s19
	ds_read_b32 v5, v5
	ds_read_b32 v6, v6
	s_add_i32 s17, s17, 64
	s_add_i32 s18, s18, -1
	s_cmp_lg_u32 s18, 0
	s_waitcnt lgkmcnt(0)
	v_fma_f32 v2, -v5, v6, v2
	s_cbranch_scc1 .LBB18_73
	s_branch .LBB18_65
.LBB18_74:
	s_waitcnt lgkmcnt(0)
	; wave barrier
	s_waitcnt lgkmcnt(0)
	s_and_saveexec_b64 s[8:9], s[6:7]
	s_cbranch_execz .LBB18_88
; %bb.75:
	s_cmp_lt_i32 s10, 2
	s_cbranch_scc1 .LBB18_85
; %bb.76:
	v_lshlrev_b32_e32 v1, 2, v0
	v_add_u32_e32 v4, 0x400, v1
	ds_read2_b32 v[6:7], v4 offset1:16
	v_mad_i64_i32 v[2:3], s[6:7], s20, v0, 0
	v_lshlrev_b64 v[2:3], 2, v[2:3]
	v_mov_b32_e32 v5, s22
	v_add_co_u32_e32 v2, vcc, s11, v2
	s_and_b32 s8, s26, 30
	v_addc_co_u32_e32 v3, vcc, v5, v3, vcc
	s_cmp_eq_u32 s8, 2
	s_waitcnt lgkmcnt(0)
	global_store_dwordx2 v[2:3], v[6:7], off
	s_cbranch_scc1 .LBB18_84
; %bb.77:
	ds_read2_b32 v[4:5], v4 offset0:32 offset1:48
	s_cmp_eq_u32 s8, 4
	s_waitcnt lgkmcnt(0)
	global_store_dwordx2 v[2:3], v[4:5], off offset:8
	s_cbranch_scc1 .LBB18_84
; %bb.78:
	ds_read_b32 v4, v1 offset:1280
	ds_read_b32 v5, v1 offset:1344
	s_cmp_eq_u32 s8, 6
	s_waitcnt lgkmcnt(0)
	global_store_dwordx2 v[2:3], v[4:5], off offset:16
	s_cbranch_scc1 .LBB18_84
; %bb.79:
	ds_read_b32 v4, v1 offset:1408
	ds_read_b32 v5, v1 offset:1472
	;; [unrolled: 7-line block ×6, first 2 shown]
	s_waitcnt lgkmcnt(0)
	global_store_dwordx2 v[2:3], v[4:5], off offset:56
.LBB18_84:
	s_cmp_lg_u32 s26, s8
	s_cselect_b64 s[6:7], -1, 0
	s_and_b64 vcc, exec, s[6:7]
	s_cbranch_vccnz .LBB18_86
	s_branch .LBB18_88
.LBB18_85:
	s_mov_b32 s8, 0
	s_cbranch_execz .LBB18_88
.LBB18_86:
	s_sub_i32 s6, s26, s8
	s_lshl_b64 s[10:11], s[12:13], 2
	s_lshl_b32 s7, s8, 2
	s_add_u32 s2, s2, s7
	s_addc_u32 s3, s3, 0
	s_add_u32 s2, s2, s4
	v_lshlrev_b32_e32 v0, 2, v0
	s_addc_u32 s3, s3, s5
	v_lshl_or_b32 v1, s8, 6, v0
	s_add_u32 s0, s2, s0
	v_add_u32_e32 v2, 0x400, v1
	v_mov_b32_e32 v1, s11
	v_add_co_u32_e32 v3, vcc, s10, v0
	s_addc_u32 s1, s3, s1
	v_addc_co_u32_e32 v4, vcc, 0, v1, vcc
	v_pk_mov_b32 v[0:1], s[0:1], s[0:1] op_sel:[0,1]
	v_mad_u64_u32 v[0:1], s[0:1], v3, s20, v[0:1]
	v_mul_lo_u32 v3, v3, s21
	v_mul_lo_u32 v4, v4, s20
	v_add3_u32 v1, v4, v1, v3
.LBB18_87:                              ; =>This Inner Loop Header: Depth=1
	ds_read_b32 v3, v2
	s_add_i32 s6, s6, -1
	v_add_u32_e32 v2, 64, v2
	s_cmp_lg_u32 s6, 0
	s_waitcnt lgkmcnt(0)
	global_store_dword v[0:1], v3, off
	v_add_co_u32_e32 v0, vcc, 4, v0
	v_addc_co_u32_e32 v1, vcc, 0, v1, vcc
	s_cbranch_scc1 .LBB18_87
.LBB18_88:
	s_endpgm
	.section	.rodata,"a",@progbits
	.p2align	6, 0x0
	.amdhsa_kernel _ZL38rocblas_trsm_small_left_device_sharedBILi16ELi16ELb1EffPKfPfEv13rocblas_fill_18rocblas_operation_17rocblas_diagonal_iiT3_T4_lilT5_lili
		.amdhsa_group_segment_fixed_size 2048
		.amdhsa_private_segment_fixed_size 0
		.amdhsa_kernarg_size 352
		.amdhsa_user_sgpr_count 6
		.amdhsa_user_sgpr_private_segment_buffer 1
		.amdhsa_user_sgpr_dispatch_ptr 0
		.amdhsa_user_sgpr_queue_ptr 0
		.amdhsa_user_sgpr_kernarg_segment_ptr 1
		.amdhsa_user_sgpr_dispatch_id 0
		.amdhsa_user_sgpr_flat_scratch_init 0
		.amdhsa_user_sgpr_kernarg_preload_length 0
		.amdhsa_user_sgpr_kernarg_preload_offset 0
		.amdhsa_user_sgpr_private_segment_size 0
		.amdhsa_uses_dynamic_stack 0
		.amdhsa_system_sgpr_private_segment_wavefront_offset 0
		.amdhsa_system_sgpr_workgroup_id_x 1
		.amdhsa_system_sgpr_workgroup_id_y 0
		.amdhsa_system_sgpr_workgroup_id_z 1
		.amdhsa_system_sgpr_workgroup_info 0
		.amdhsa_system_vgpr_workitem_id 0
		.amdhsa_next_free_vgpr 65
		.amdhsa_next_free_sgpr 43
		.amdhsa_accum_offset 68
		.amdhsa_reserve_vcc 1
		.amdhsa_reserve_flat_scratch 0
		.amdhsa_float_round_mode_32 0
		.amdhsa_float_round_mode_16_64 0
		.amdhsa_float_denorm_mode_32 3
		.amdhsa_float_denorm_mode_16_64 3
		.amdhsa_dx10_clamp 1
		.amdhsa_ieee_mode 1
		.amdhsa_fp16_overflow 0
		.amdhsa_tg_split 0
		.amdhsa_exception_fp_ieee_invalid_op 0
		.amdhsa_exception_fp_denorm_src 0
		.amdhsa_exception_fp_ieee_div_zero 0
		.amdhsa_exception_fp_ieee_overflow 0
		.amdhsa_exception_fp_ieee_underflow 0
		.amdhsa_exception_fp_ieee_inexact 0
		.amdhsa_exception_int_div_zero 0
	.end_amdhsa_kernel
	.section	.text._ZL38rocblas_trsm_small_left_device_sharedBILi16ELi16ELb1EffPKfPfEv13rocblas_fill_18rocblas_operation_17rocblas_diagonal_iiT3_T4_lilT5_lili,"axG",@progbits,_ZL38rocblas_trsm_small_left_device_sharedBILi16ELi16ELb1EffPKfPfEv13rocblas_fill_18rocblas_operation_17rocblas_diagonal_iiT3_T4_lilT5_lili,comdat
.Lfunc_end18:
	.size	_ZL38rocblas_trsm_small_left_device_sharedBILi16ELi16ELb1EffPKfPfEv13rocblas_fill_18rocblas_operation_17rocblas_diagonal_iiT3_T4_lilT5_lili, .Lfunc_end18-_ZL38rocblas_trsm_small_left_device_sharedBILi16ELi16ELb1EffPKfPfEv13rocblas_fill_18rocblas_operation_17rocblas_diagonal_iiT3_T4_lilT5_lili
                                        ; -- End function
	.section	.AMDGPU.csdata,"",@progbits
; Kernel info:
; codeLenInByte = 12368
; NumSgprs: 47
; NumVgprs: 65
; NumAgprs: 0
; TotalNumVgprs: 65
; ScratchSize: 0
; MemoryBound: 0
; FloatMode: 240
; IeeeMode: 1
; LDSByteSize: 2048 bytes/workgroup (compile time only)
; SGPRBlocks: 5
; VGPRBlocks: 8
; NumSGPRsForWavesPerEU: 47
; NumVGPRsForWavesPerEU: 65
; AccumOffset: 68
; Occupancy: 7
; WaveLimiterHint : 0
; COMPUTE_PGM_RSRC2:SCRATCH_EN: 0
; COMPUTE_PGM_RSRC2:USER_SGPR: 6
; COMPUTE_PGM_RSRC2:TRAP_HANDLER: 0
; COMPUTE_PGM_RSRC2:TGID_X_EN: 1
; COMPUTE_PGM_RSRC2:TGID_Y_EN: 0
; COMPUTE_PGM_RSRC2:TGID_Z_EN: 1
; COMPUTE_PGM_RSRC2:TIDIG_COMP_CNT: 0
; COMPUTE_PGM_RSRC3_GFX90A:ACCUM_OFFSET: 16
; COMPUTE_PGM_RSRC3_GFX90A:TG_SPLIT: 0
	.section	.text._ZL30rocblas_trsm_small_left_deviceILi16ELi16ELb1EffPKfPfEv13rocblas_fill_18rocblas_operation_17rocblas_diagonal_iiT3_T4_lilT5_lili,"axG",@progbits,_ZL30rocblas_trsm_small_left_deviceILi16ELi16ELb1EffPKfPfEv13rocblas_fill_18rocblas_operation_17rocblas_diagonal_iiT3_T4_lilT5_lili,comdat
	.globl	_ZL30rocblas_trsm_small_left_deviceILi16ELi16ELb1EffPKfPfEv13rocblas_fill_18rocblas_operation_17rocblas_diagonal_iiT3_T4_lilT5_lili ; -- Begin function _ZL30rocblas_trsm_small_left_deviceILi16ELi16ELb1EffPKfPfEv13rocblas_fill_18rocblas_operation_17rocblas_diagonal_iiT3_T4_lilT5_lili
	.p2align	8
	.type	_ZL30rocblas_trsm_small_left_deviceILi16ELi16ELb1EffPKfPfEv13rocblas_fill_18rocblas_operation_17rocblas_diagonal_iiT3_T4_lilT5_lili,@function
_ZL30rocblas_trsm_small_left_deviceILi16ELi16ELb1EffPKfPfEv13rocblas_fill_18rocblas_operation_17rocblas_diagonal_iiT3_T4_lilT5_lili: ; @_ZL30rocblas_trsm_small_left_deviceILi16ELi16ELb1EffPKfPfEv13rocblas_fill_18rocblas_operation_17rocblas_diagonal_iiT3_T4_lilT5_lili
; %bb.0:
	s_load_dwordx4 s[8:11], s[4:5], 0x4
	s_load_dword s16, s[4:5], 0x14
	s_load_dwordx4 s[0:3], s[4:5], 0x30
	s_load_dwordx2 s[20:21], s[4:5], 0x40
	s_mov_b32 s19, 0
	s_waitcnt lgkmcnt(0)
	s_min_i32 s18, s10, 16
	v_cmp_gt_i32_e32 vcc, s18, v0
	s_and_saveexec_b64 s[22:23], vcc
	s_cbranch_execz .LBB19_15
; %bb.1:
	s_load_dword s24, s[4:5], 0x28
	s_load_dwordx4 s[12:15], s[4:5], 0x18
	s_cmp_gt_u32 s18, 1
	s_cselect_b64 s[26:27], -1, 0
	s_mov_b32 s17, 1
	s_waitcnt lgkmcnt(0)
	s_cmp_eq_u32 s24, 1
	s_cselect_b64 s[28:29], -1, 0
	s_and_b64 s[28:29], s[26:27], s[28:29]
	s_mov_b64 s[26:27], -1
	s_and_b64 vcc, exec, s[28:29]
	s_cbranch_vccz .LBB19_9
; %bb.2:
	s_add_i32 s26, s18, -2
	s_lshr_b32 s25, s26, 1
	s_add_i32 s25, s25, 1
	s_cmp_lt_u32 s26, 14
	s_mov_b32 s26, s19
	s_cbranch_scc1 .LBB19_5
; %bb.3:
	s_mul_i32 s17, s1, s7
	s_mul_hi_u32 s19, s0, s7
	s_add_i32 s29, s19, s17
	s_mul_i32 s28, s0, s7
	s_and_b32 s27, s25, -8
	s_lshl_b64 s[28:29], s[28:29], 2
	s_lshl_b64 s[30:31], s[14:15], 2
	s_add_u32 s17, s28, s30
	s_addc_u32 s19, s29, s31
	s_add_u32 s17, s12, s17
	v_lshlrev_b32_e32 v1, 2, v0
	s_addc_u32 s19, s13, s19
	v_mov_b32_e32 v2, s19
	v_add_co_u32_e32 v1, vcc, s17, v1
	v_addc_co_u32_e32 v3, vcc, 0, v2, vcc
	v_add_co_u32_e32 v2, vcc, 56, v1
	v_addc_co_u32_e32 v3, vcc, 0, v3, vcc
	s_mov_b32 s17, 1
	s_mov_b32 s26, 0
	s_mov_b32 s19, 0
.LBB19_4:                               ; =>This Inner Loop Header: Depth=1
	global_load_dwordx4 v[4:7], v[2:3], off offset:-56
	global_load_dwordx4 v[8:11], v[2:3], off offset:-40
	;; [unrolled: 1-line block ×4, first 2 shown]
	s_lshl_b32 s28, s19, 4
	s_lshl_b32 s29, s17, 4
	s_add_i32 s26, s26, 16
	s_add_i32 s17, s17, 16
	;; [unrolled: 1-line block ×3, first 2 shown]
	s_add_i32 s27, s27, -8
	v_add_co_u32_e32 v2, vcc, 64, v2
	v_or_b32_e32 v1, s29, v0
	v_or_b32_e32 v20, s28, v0
	s_add_i32 s30, s28, 32
	s_add_i32 s31, s29, 32
	;; [unrolled: 1-line block ×12, first 2 shown]
	s_addk_i32 s28, 0xe0
	s_addk_i32 s29, 0xe0
	v_addc_co_u32_e32 v3, vcc, 0, v3, vcc
	v_lshlrev_b32_e32 v20, 2, v20
	v_or_b32_e32 v21, s31, v0
	v_or_b32_e32 v22, s30, v0
	;; [unrolled: 1-line block ×14, first 2 shown]
	s_cmp_lg_u32 s27, 0
	v_lshlrev_b32_e32 v1, 2, v1
	v_lshlrev_b32_e32 v22, 2, v22
	;; [unrolled: 1-line block ×15, first 2 shown]
	s_waitcnt vmcnt(3)
	ds_write_b32 v20, v4
	ds_write_b32 v1, v5
	ds_write_b32 v22, v6
	ds_write_b32 v21, v7
	s_waitcnt vmcnt(2)
	ds_write_b32 v24, v8
	ds_write_b32 v23, v9
	ds_write_b32 v26, v10
	ds_write_b32 v25, v11
	;; [unrolled: 5-line block ×4, first 2 shown]
	s_cbranch_scc1 .LBB19_4
.LBB19_5:
	s_and_b32 s25, s25, 7
	s_cmp_eq_u32 s25, 0
	s_mov_b32 s27, 0
	s_cbranch_scc1 .LBB19_8
; %bb.6:
	s_mul_i32 s28, s1, s7
	s_mul_hi_u32 s29, s0, s7
	s_add_i32 s29, s29, s28
	s_mul_i32 s28, s0, s7
	s_lshl_b64 s[28:29], s[28:29], 2
	s_lshl_b64 s[30:31], s[14:15], 2
	s_add_u32 s28, s28, s30
	s_addc_u32 s29, s29, s31
	s_lshl_b64 s[26:27], s[26:27], 2
	s_add_u32 s26, s12, s26
	s_addc_u32 s27, s13, s27
	s_add_u32 s26, s26, s28
	v_lshlrev_b32_e32 v1, 2, v0
	s_addc_u32 s27, s27, s29
	v_mov_b32_e32 v3, s27
	v_add_co_u32_e32 v2, vcc, s26, v1
	v_addc_co_u32_e32 v3, vcc, 0, v3, vcc
	s_lshl_b32 s25, s25, 3
.LBB19_7:                               ; =>This Inner Loop Header: Depth=1
	global_load_dwordx2 v[4:5], v[2:3], off
	v_lshl_or_b32 v6, s19, 6, v1
	v_lshl_or_b32 v7, s17, 6, v1
	s_add_i32 s17, s17, 2
	s_add_i32 s19, s19, 2
	v_add_co_u32_e32 v2, vcc, 8, v2
	s_add_i32 s25, s25, -8
	v_addc_co_u32_e32 v3, vcc, 0, v3, vcc
	s_cmp_lg_u32 s25, 0
	s_waitcnt vmcnt(0)
	ds_write_b32 v6, v4
	ds_write_b32 v7, v5
	s_cbranch_scc1 .LBB19_7
.LBB19_8:
	s_and_b32 s19, s18, -2
	s_cmp_lg_u32 s18, s19
	s_cselect_b64 s[26:27], -1, 0
.LBB19_9:
	s_and_b64 vcc, exec, s[26:27]
	s_cbranch_vccz .LBB19_12
; %bb.10:
	s_ashr_i32 s25, s24, 31
	s_mul_i32 s1, s1, s7
	s_mul_hi_u32 s17, s0, s7
	s_add_i32 s1, s17, s1
	s_mul_hi_u32 s17, s24, s19
	s_mul_i32 s26, s25, s19
	s_mul_i32 s0, s0, s7
	s_add_i32 s27, s17, s26
	s_mul_i32 s26, s24, s19
	s_lshl_b64 s[0:1], s[0:1], 2
	s_lshl_b64 s[26:27], s[26:27], 2
	s_add_u32 s17, s0, s26
	s_addc_u32 s26, s1, s27
	s_lshl_b64 s[0:1], s[14:15], 2
	s_add_u32 s0, s17, s0
	s_addc_u32 s1, s26, s1
	s_add_u32 s0, s12, s0
	v_lshlrev_b32_e32 v1, 2, v0
	s_addc_u32 s1, s13, s1
	v_mov_b32_e32 v3, s1
	v_add_co_u32_e32 v2, vcc, s0, v1
	s_lshl_b64 s[0:1], s[24:25], 2
	v_addc_co_u32_e32 v3, vcc, 0, v3, vcc
	v_lshl_or_b32 v1, s19, 6, v1
	s_sub_i32 s12, s18, s19
	v_mov_b32_e32 v4, s1
.LBB19_11:                              ; =>This Inner Loop Header: Depth=1
	global_load_dword v5, v[2:3], off
	v_add_co_u32_e32 v2, vcc, s0, v2
	s_add_i32 s12, s12, -1
	v_addc_co_u32_e32 v3, vcc, v3, v4, vcc
	s_cmp_eq_u32 s12, 0
	s_waitcnt vmcnt(0)
	ds_write_b32 v1, v5
	v_add_u32_e32 v1, 64, v1
	s_cbranch_scc0 .LBB19_11
.LBB19_12:
	v_mul_u32_u24_e32 v1, 17, v0
	s_cmpk_lg_i32 s9, 0x84
	v_lshlrev_b32_e32 v1, 2, v1
	v_mov_b32_e32 v2, 1.0
	s_cbranch_scc0 .LBB19_14
; %bb.13:
	ds_read_b32 v2, v1
	s_waitcnt lgkmcnt(0)
	v_div_scale_f32 v3, s[0:1], v2, v2, 1.0
	v_rcp_f32_e32 v4, v3
	v_div_scale_f32 v5, vcc, 1.0, v2, 1.0
	v_fma_f32 v6, -v3, v4, 1.0
	v_fmac_f32_e32 v4, v6, v4
	v_mul_f32_e32 v6, v5, v4
	v_fma_f32 v7, -v3, v6, v5
	v_fmac_f32_e32 v6, v7, v4
	v_fma_f32 v3, -v3, v6, v5
	v_div_fmas_f32 v3, v3, v4, v6
	v_div_fixup_f32 v2, v3, v2, 1.0
.LBB19_14:
	ds_write_b32 v1, v2
.LBB19_15:
	s_or_b64 exec, exec, s[22:23]
	s_load_dword s0, s[4:5], 0x60
	s_lshl_b32 s9, s6, 4
	s_sub_i32 s1, s11, s9
	s_waitcnt lgkmcnt(0)
	; wave barrier
	s_waitcnt lgkmcnt(0)
	s_add_i32 s0, s0, -1
	s_cmp_ge_u32 s6, s0
	s_cselect_b32 s0, s1, 16
	v_cmp_gt_i32_e32 vcc, s0, v0
	s_and_saveexec_b64 s[0:1], vcc
	s_cbranch_execz .LBB19_65
; %bb.16:
	s_load_dwordx2 s[0:1], s[4:5], 0x50
	s_load_dword s6, s[4:5], 0x48
	v_add_u32_e32 v0, s9, v0
	s_waitcnt lgkmcnt(0)
	s_mul_i32 s1, s7, s1
	s_mul_hi_u32 s4, s7, s0
	s_mul_i32 s0, s7, s0
	s_add_i32 s1, s4, s1
	s_lshl_b64 s[0:1], s[0:1], 2
	s_add_u32 s7, s2, s0
	s_addc_u32 s11, s3, s1
	s_lshl_b64 s[4:5], s[20:21], 2
	s_add_u32 s12, s7, s4
	v_mad_i64_i32 v[0:1], s[6:7], s6, v0, 0
	s_addc_u32 s11, s11, s5
	v_lshlrev_b64 v[16:17], 2, v[0:1]
	v_mov_b32_e32 v0, s11
	v_add_co_u32_e32 v14, vcc, s12, v16
	v_addc_co_u32_e32 v15, vcc, v0, v17, vcc
	s_cmpk_eq_i32 s8, 0x6f
	s_mov_b64 s[6:7], -1
	s_cbranch_scc1 .LBB19_43
; %bb.17:
	s_add_i32 s6, s18, -1
	s_cmp_gt_i32 s10, 15
	s_cbranch_scc0 .LBB19_19
; %bb.18:
	s_ashr_i32 s19, s18, 31
	s_lshl_b64 s[8:9], s[18:19], 2
	v_mov_b32_e32 v0, s9
	v_add_co_u32_e32 v18, vcc, s8, v14
	v_addc_co_u32_e32 v19, vcc, v15, v0, vcc
	global_load_dword v13, v[18:19], off offset:-4
	s_mov_b32 s19, 0
	s_lshl_b64 s[8:9], s[18:19], 2
	v_mov_b32_e32 v0, s9
	v_add_co_u32_e32 v4, vcc, s8, v14
	v_addc_co_u32_e32 v5, vcc, v15, v0, vcc
	global_load_dwordx4 v[32:35], v[4:5], off offset:-64
	global_load_dwordx3 v[10:12], v[4:5], off offset:-16
	global_load_dwordx4 v[0:3], v[4:5], off offset:-48
	global_load_dwordx4 v[6:9], v[4:5], off offset:-32
	s_lshl_b32 s11, s18, 4
	s_mul_i32 s7, s6, 0x44
	s_add_i32 s8, s11, s18
	s_add_i32 s11, s11, s6
	;; [unrolled: 1-line block ×5, first 2 shown]
	s_lshl_b32 s17, s8, 2
	s_lshl_b32 s8, s11, 2
	s_add_i32 s14, s7, 0xfffffef0
	v_mov_b32_e32 v21, s9
	v_mov_b32_e32 v4, s13
	;; [unrolled: 1-line block ×3, first 2 shown]
	s_add_i32 s9, s17, 0xffffff38
	s_add_i32 s11, s8, 0xffffff00
	;; [unrolled: 1-line block ×8, first 2 shown]
	v_mov_b32_e32 v20, s7
	s_add_i32 s12, s7, 0xffffff78
	v_mov_b32_e32 v5, s14
	s_add_i32 s25, s8, 0xfffffc80
	s_add_i32 s26, s8, 0xfffffc78
	s_add_i32 s28, s8, 0xfffffc34
	v_mov_b32_e32 v24, s11
	v_mov_b32_e32 v25, s15
	;; [unrolled: 1-line block ×8, first 2 shown]
	s_add_i32 s9, s8, 0xfffffc00
	v_mov_b32_e32 v22, s12
	v_mov_b32_e32 v30, s25
	;; [unrolled: 1-line block ×4, first 2 shown]
	ds_read_b32 v52, v20
	ds_read2_b32 v[36:37], v21 offset1:1
	ds_read_b32 v53, v22
	ds_read_b32 v54, v24
	;; [unrolled: 1-line block ×5, first 2 shown]
	ds_read2_b32 v[38:39], v26 offset1:1
	ds_read2_b32 v[24:25], v27 offset1:1
	ds_read_b32 v57, v23
	ds_read2_b32 v[40:41], v28 offset1:1
	ds_read2_b32 v[42:43], v29 offset1:1
	ds_read_b32 v58, v30
	ds_read2_b32 v[28:29], v31 offset1:1
	ds_read2_b32 v[44:45], v44 offset1:1
	;; [unrolled: 1-line block ×3, first 2 shown]
	s_add_i32 s21, s8, 0xfffffe2c
	v_mov_b32_e32 v51, s21
	s_add_i32 s22, s8, 0xfffffe00
	s_add_i32 s23, s8, 0xfffffdf8
	v_mov_b32_e32 v50, s22
	s_add_i32 s17, s8, 0xfffffe78
	s_add_i32 s12, s8, 0xfffffef8
	;; [unrolled: 1-line block ×3, first 2 shown]
	v_mov_b32_e32 v46, s17
	v_mov_b32_e32 v47, s14
	v_mov_b32_e32 v48, s12
	s_add_i32 s12, s8, 0xfffffd80
	s_add_i32 s11, s8, 0xfffffdbc
	;; [unrolled: 1-line block ×18, first 2 shown]
	s_waitcnt vmcnt(4)
	v_mul_f32_e32 v5, s16, v13
	v_mov_b32_e32 v13, s9
	s_add_i32 s9, s8, 0xfffffbf8
	v_mov_b32_e32 v20, s9
	s_add_i32 s9, s8, 0xfffffbf0
	v_mov_b32_e32 v21, s9
	s_waitcnt lgkmcnt(14)
	v_mul_f32_e32 v5, v5, v52
	ds_read_b32 v13, v13
	ds_read2_b32 v[30:31], v20 offset1:1
	ds_read2_b32 v[22:23], v21 offset1:1
	;; [unrolled: 1-line block ×3, first 2 shown]
	s_waitcnt lgkmcnt(8)
	v_mul_f32_e32 v43, v5, v43
	s_waitcnt vmcnt(3)
	v_fma_f32 v43, v35, s16, -v43
	s_waitcnt lgkmcnt(7)
	v_mul_f32_e32 v35, v5, v58
	v_fma_f32 v51, v34, s16, -v35
	s_waitcnt lgkmcnt(5)
	v_mul_f32_e32 v34, v5, v45
	s_waitcnt lgkmcnt(3)
	v_mul_f32_e32 v13, v5, v13
	v_fma_f32 v45, v33, s16, -v34
	v_fma_f32 v52, v32, s16, -v13
	v_mov_b32_e32 v13, s23
	ds_read_b32 v34, v50
	ds_read2_b32 v[32:33], v13 offset1:1
	v_mul_f32_e32 v13, v5, v37
	v_mul_f32_e32 v4, v5, v4
	s_waitcnt vmcnt(2)
	v_fma_f32 v12, v12, s16, -v13
	s_waitcnt vmcnt(0)
	v_fma_f32 v50, v8, s16, -v4
	s_waitcnt lgkmcnt(1)
	v_mul_f32_e32 v4, v5, v34
	v_fma_f32 v58, v6, s16, -v4
	v_mul_f32_e32 v4, v12, v36
	v_pk_mul_f32 v[12:13], v[4:5], v[38:39]
	v_fma_f32 v13, v9, s16, -v13
	v_pk_mul_f32 v[8:9], v[4:5], v[40:41]
	v_fma_f32 v9, v7, s16, -v9
	ds_read2_b32 v[6:7], v46 offset1:1
	ds_read2_b32 v[34:35], v47 offset1:1
	;; [unrolled: 1-line block ×4, first 2 shown]
	v_mul_f32_e32 v46, v5, v54
	v_fma_f32 v46, v10, s16, -v46
	v_mov_b32_e32 v40, s11
	v_sub_f32_e32 v48, v13, v12
	s_waitcnt lgkmcnt(0)
	v_pk_mul_f32 v[38:39], v[4:5], v[38:39]
	v_fma_f32 v10, v11, s16, -v39
	v_mov_b32_e32 v11, s12
	ds_read_b32 v11, v11
	v_mov_b32_e32 v39, s14
	v_mov_b32_e32 v12, s13
	ds_read2_b32 v[40:41], v40 offset1:1
	ds_read_b32 v39, v39
	v_sub_f32_e32 v54, v9, v8
	ds_read2_b32 v[8:9], v12 offset1:1
	s_waitcnt lgkmcnt(3)
	v_mul_f32_e32 v11, v5, v11
	v_fma_f32 v59, v2, s16, -v11
	s_waitcnt lgkmcnt(1)
	v_mul_f32_e32 v2, v5, v39
	s_add_i32 s9, s8, 0xfffffdf0
	s_waitcnt lgkmcnt(0)
	v_pk_mul_f32 v[8:9], v[4:5], v[8:9]
	v_fma_f32 v60, v0, s16, -v2
	v_fma_f32 v9, v1, s16, -v9
	v_pk_mul_f32 v[0:1], v[4:5], v[40:41]
	s_add_i32 s11, s8, 0xfffffdb4
	v_sub_f32_e32 v47, v10, v38
	v_mov_b32_e32 v10, s9
	v_fma_f32 v1, v3, s16, -v1
	s_add_i32 s9, s8, 0xfffffe34
	s_add_i32 s12, s8, 0xfffffd78
	v_mov_b32_e32 v38, s11
	v_sub_f32_e32 v40, v1, v0
	v_mov_b32_e32 v0, s9
	s_add_i32 s9, s7, 0xfffffe68
	v_mov_b32_e32 v49, s12
	ds_read2_b32 v[10:11], v10 offset1:1
	ds_read2_b32 v[12:13], v38 offset1:1
	;; [unrolled: 1-line block ×4, first 2 shown]
	v_mov_b32_e32 v0, s9
	s_add_i32 s9, s7, 0xfffffe24
	ds_read_b32 v49, v0
	v_mov_b32_e32 v0, s9
	s_add_i32 s9, s7, 0xfffffde0
	ds_read_b32 v61, v0
	;; [unrolled: 3-line block ×4, first 2 shown]
	v_mov_b32_e32 v0, s11
	s_add_i32 s14, s7, 0xfffffd14
	v_sub_f32_e32 v41, v9, v8
	ds_read_b32 v64, v0
	v_mov_b32_e32 v0, s14
	v_mul_f32_e32 v8, v47, v53
	v_mov_b32_e32 v9, v4
	ds_read_b32 v65, v0
	v_pk_mul_f32 v[0:1], v[8:9], v[36:37]
	v_sub_f32_e32 v1, v46, v1
	v_sub_f32_e32 v36, v1, v0
	v_pk_mul_f32 v[0:1], v[8:9], v[6:7]
	v_sub_f32_e32 v1, v50, v1
	v_fma_f32 v42, -v4, v42, v43
	v_fma_f32 v43, -v4, v44, v45
	v_sub_f32_e32 v45, v1, v0
	s_waitcnt lgkmcnt(7)
	v_pk_mul_f32 v[0:1], v[8:9], v[2:3]
	v_pk_mul_f32 v[2:3], v[8:9], v[32:33]
	v_mov_b32_e32 v37, s20
	v_sub_f32_e32 v3, v58, v3
	v_sub_f32_e32 v46, v3, v2
	ds_read2_b32 v[2:3], v37 offset1:1
	v_mov_b32_e32 v44, s17
	v_mov_b32_e32 v6, s19
	;; [unrolled: 1-line block ×3, first 2 shown]
	v_sub_f32_e32 v1, v59, v1
	s_waitcnt lgkmcnt(0)
	v_pk_mul_f32 v[2:3], v[8:9], v[2:3]
	v_sub_f32_e32 v3, v60, v3
	v_sub_f32_e32 v47, v1, v0
	ds_read2_b32 v[0:1], v44 offset1:1
	ds_read2_b32 v[32:33], v6 offset1:1
	;; [unrolled: 1-line block ×3, first 2 shown]
	v_sub_f32_e32 v44, v3, v2
	v_mov_b32_e32 v2, s33
	s_add_i32 s19, s7, 0xfffffc8c
	ds_read_b32 v50, v2
	v_mov_b32_e32 v2, s19
	ds_read_b32 v53, v2
	v_fma_f32 v2, -v4, v29, v51
	v_fma_f32 v51, -v8, v28, v2
	v_mov_b32_e32 v2, s39
	ds_read_b32 v58, v2
	v_fma_f32 v2, -v4, v31, v52
	v_mul_f32_e32 v28, v36, v55
	v_fma_f32 v52, -v8, v30, v2
	v_mov_b32_e32 v29, v8
	v_mov_b32_e32 v3, v8
	;; [unrolled: 1-line block ×3, first 2 shown]
	s_add_i32 s23, s8, 0xfffffdac
	global_store_dwordx4 v[18:19], v[2:5], off offset:-16
	v_mov_b32_e32 v9, s22
	v_pk_mul_f32 v[4:5], v[28:29], v[34:35]
	v_mov_b32_e32 v30, s23
	v_fma_f32 v27, -v8, v27, v43
	v_mov_b32_e32 v36, s24
	v_mov_b32_e32 v43, s25
	v_sub_f32_e32 v5, v48, v5
	ds_read2_b32 v[8:9], v9 offset1:1
	ds_read2_b32 v[30:31], v30 offset1:1
	;; [unrolled: 1-line block ×4, first 2 shown]
	v_sub_f32_e32 v43, v5, v4
	v_pk_mul_f32 v[4:5], v[28:29], v[38:39]
	v_sub_f32_e32 v5, v54, v5
	v_sub_f32_e32 v48, v5, v4
	v_pk_mul_f32 v[4:5], v[28:29], v[12:13]
	v_mov_b32_e32 v34, s29
	v_sub_f32_e32 v5, v40, v5
	v_sub_f32_e32 v54, v5, v4
	ds_read2_b32 v[4:5], v34 offset1:1
	s_add_i32 s26, s8, 0xfffffc70
	s_waitcnt lgkmcnt(1)
	v_pk_mul_f32 v[2:3], v[28:29], v[2:3]
	v_mov_b32_e32 v35, s27
	v_mov_b32_e32 v38, s30
	;; [unrolled: 1-line block ×3, first 2 shown]
	v_sub_f32_e32 v3, v41, v3
	v_sub_f32_e32 v55, v3, v2
	ds_read2_b32 v[12:13], v35 offset1:1
	ds_read2_b32 v[34:35], v38 offset1:1
	;; [unrolled: 1-line block ×3, first 2 shown]
	s_waitcnt lgkmcnt(3)
	v_pk_mul_f32 v[2:3], v[28:29], v[4:5]
	v_fma_f32 v60, -v28, v26, v27
	v_mul_f32_e32 v26, v43, v56
	v_mov_b32_e32 v27, v28
	v_sub_f32_e32 v3, v42, v3
	v_pk_mul_f32 v[10:11], v[26:27], v[10:11]
	v_sub_f32_e32 v42, v3, v2
	v_pk_mul_f32 v[2:3], v[26:27], v[24:25]
	v_sub_f32_e32 v11, v46, v11
	v_sub_f32_e32 v3, v45, v3
	;; [unrolled: 1-line block ×3, first 2 shown]
	v_pk_mul_f32 v[10:11], v[26:27], v[36:37]
	v_sub_f32_e32 v11, v47, v11
	s_add_i32 s39, s8, 0xfffffbe8
	s_add_i32 s22, s8, 0xfffffbd8
	v_sub_f32_e32 v47, v11, v10
	s_waitcnt lgkmcnt(0)
	v_pk_mul_f32 v[10:11], v[26:27], v[38:39]
	v_mov_b32_e32 v59, s39
	s_add_i32 s39, s8, 0xfffffbe0
	v_mov_b32_e32 v5, s22
	s_add_i32 s22, s8, 0xfffffbd0
	v_sub_f32_e32 v43, v3, v2
	v_sub_f32_e32 v11, v51, v11
	s_add_i32 s38, s8, 0xfffffc0c
	v_mov_b32_e32 v4, s39
	v_mov_b32_e32 v40, s22
	v_pk_mul_f32 v[6:7], v[26:27], v[6:7]
	v_sub_f32_e32 v51, v11, v10
	v_mul_f32_e32 v10, v43, v57
	v_mov_b32_e32 v11, v26
	s_add_i32 s37, s8, 0xfffffc14
	v_fma_f32 v23, -v28, v23, v52
	ds_read2_b32 v[24:25], v59 offset1:1
	ds_read2_b32 v[28:29], v4 offset1:1
	;; [unrolled: 1-line block ×4, first 2 shown]
	v_mov_b32_e32 v40, s38
	v_mov_b32_e32 v41, s35
	;; [unrolled: 1-line block ×3, first 2 shown]
	v_sub_f32_e32 v7, v44, v7
	v_pk_mul_f32 v[20:21], v[10:11], v[20:21]
	s_add_i32 s33, s8, 0xfffffc68
	s_add_i32 s36, s8, 0xfffffc2c
	v_mov_b32_e32 v52, s37
	v_sub_f32_e32 v27, v7, v6
	ds_read2_b32 v[6:7], v40 offset1:1
	ds_read2_b32 v[36:37], v41 offset1:1
	ds_read2_b32 v[38:39], v46 offset1:1
	ds_read2_b32 v[40:41], v52 offset1:1
	v_fma_f32 v46, -v26, v22, v23
	v_sub_f32_e32 v21, v48, v21
	v_pk_mul_f32 v[22:23], v[10:11], v[32:33]
	v_sub_f32_e32 v43, v21, v20
	v_pk_mul_f32 v[20:21], v[10:11], v[30:31]
	v_mov_b32_e32 v30, s33
	v_mov_b32_e32 v31, s36
	v_sub_f32_e32 v23, v55, v23
	v_sub_f32_e32 v55, v23, v22
	ds_read2_b32 v[22:23], v30 offset1:1
	ds_read2_b32 v[30:31], v31 offset1:1
	v_sub_f32_e32 v21, v54, v21
	v_sub_f32_e32 v54, v21, v20
	v_pk_mul_f32 v[20:21], v[10:11], v[34:35]
	s_add_i32 s12, s8, 0xfffffda4
	s_waitcnt lgkmcnt(0)
	v_pk_mul_f32 v[30:31], v[10:11], v[30:31]
	v_sub_f32_e32 v11, v60, v31
	v_sub_f32_e32 v57, v11, v30
	v_mul_f32_e32 v30, v43, v49
	v_mov_b32_e32 v31, v10
	v_pk_mul_f32 v[0:1], v[30:31], v[0:1]
	v_sub_f32_e32 v1, v47, v1
	v_sub_f32_e32 v47, v1, v0
	v_pk_mul_f32 v[0:1], v[30:31], v[12:13]
	v_sub_f32_e32 v1, v27, v1
	v_sub_f32_e32 v49, v1, v0
	v_pk_mul_f32 v[0:1], v[30:31], v[22:23]
	v_pk_mul_f32 v[8:9], v[30:31], v[8:9]
	v_sub_f32_e32 v1, v51, v1
	s_add_i32 s9, s8, 0xfffffd60
	s_add_i32 s13, s8, 0xfffffd24
	;; [unrolled: 1-line block ×11, first 2 shown]
	s_addk_i32 s8, 0xfbc8
	v_sub_f32_e32 v21, v42, v21
	v_sub_f32_e32 v9, v45, v9
	;; [unrolled: 1-line block ×3, first 2 shown]
	v_pk_mul_f32 v[0:1], v[30:31], v[24:25]
	v_mov_b32_e32 v44, s28
	v_mov_b32_e32 v52, s21
	v_sub_f32_e32 v56, v21, v20
	v_mov_b32_e32 v20, s8
	v_mov_b32_e32 v11, s15
	v_sub_f32_e32 v8, v9, v8
	v_mov_b32_e32 v9, s12
	v_sub_f32_e32 v1, v46, v1
	v_mov_b32_e32 v48, s34
	ds_read2_b32 v[20:21], v20 offset1:1
	ds_read2_b32 v[32:33], v44 offset1:1
	;; [unrolled: 1-line block ×5, first 2 shown]
	v_mov_b32_e32 v11, s13
	v_mov_b32_e32 v27, s14
	;; [unrolled: 1-line block ×3, first 2 shown]
	v_sub_f32_e32 v46, v1, v0
	ds_read2_b32 v[0:1], v9 offset1:1
	ds_read2_b32 v[12:13], v11 offset1:1
	;; [unrolled: 1-line block ×4, first 2 shown]
	v_mul_f32_e32 v8, v8, v61
	v_mov_b32_e32 v9, v30
	s_waitcnt lgkmcnt(3)
	v_pk_mul_f32 v[0:1], v[8:9], v[0:1]
	v_mov_b32_e32 v11, v26
	v_mov_b32_e32 v48, s20
	v_mov_b32_e32 v27, s9
	v_mov_b32_e32 v30, s11
	v_mov_b32_e32 v31, s17
	v_sub_f32_e32 v1, v54, v1
	global_store_dwordx4 v[18:19], v[8:11], off offset:-32
	s_waitcnt lgkmcnt(2)
	v_pk_mul_f32 v[12:13], v[8:9], v[12:13]
	s_waitcnt lgkmcnt(1)
	v_pk_mul_f32 v[22:23], v[8:9], v[22:23]
	;; [unrolled: 2-line block ×3, first 2 shown]
	v_sub_f32_e32 v0, v1, v0
	v_mov_b32_e32 v1, v8
	ds_read2_b32 v[8:9], v48 offset1:1
	ds_read2_b32 v[10:11], v27 offset1:1
	;; [unrolled: 1-line block ×4, first 2 shown]
	v_mul_f32_e32 v0, v0, v62
	v_sub_f32_e32 v13, v55, v13
	s_waitcnt lgkmcnt(2)
	v_pk_mul_f32 v[10:11], v[0:1], v[10:11]
	v_sub_f32_e32 v11, v47, v11
	v_sub_f32_e32 v23, v56, v23
	;; [unrolled: 1-line block ×3, first 2 shown]
	s_waitcnt lgkmcnt(1)
	v_pk_mul_f32 v[12:13], v[0:1], v[26:27]
	v_sub_f32_e32 v10, v11, v10
	v_sub_f32_e32 v25, v57, v25
	;; [unrolled: 1-line block ×4, first 2 shown]
	s_waitcnt lgkmcnt(0)
	v_pk_mul_f32 v[22:23], v[0:1], v[30:31]
	v_mul_f32_e32 v10, v10, v63
	v_mov_b32_e32 v11, v0
	v_sub_f32_e32 v23, v51, v23
	v_sub_f32_e32 v27, v25, v24
	v_pk_mul_f32 v[24:25], v[10:11], v[42:43]
	v_sub_f32_e32 v30, v13, v12
	v_pk_mul_f32 v[12:13], v[10:11], v[44:45]
	v_sub_f32_e32 v25, v47, v25
	v_sub_f32_e32 v13, v26, v13
	;; [unrolled: 1-line block ×3, first 2 shown]
	v_pk_mul_f32 v[22:23], v[0:1], v[28:29]
	v_pk_mul_f32 v[8:9], v[10:11], v[8:9]
	v_sub_f32_e32 v1, v46, v23
	v_sub_f32_e32 v11, v25, v24
	;; [unrolled: 1-line block ×3, first 2 shown]
	v_mul_f32_e32 v22, v11, v64
	v_mov_b32_e32 v23, v10
	v_pk_mul_f32 v[24:25], v[22:23], v[32:33]
	v_sub_f32_e32 v9, v27, v9
	v_sub_f32_e32 v11, v30, v25
	;; [unrolled: 1-line block ×3, first 2 shown]
	v_pk_mul_f32 v[12:13], v[22:23], v[34:35]
	v_sub_f32_e32 v13, v26, v13
	v_sub_f32_e32 v26, v9, v8
	;; [unrolled: 1-line block ×3, first 2 shown]
	v_mul_f32_e32 v8, v8, v65
	v_mov_b32_e32 v9, v22
	v_pk_mul_f32 v[24:25], v[8:9], v[38:39]
	v_sub_f32_e32 v25, v27, v25
	v_pk_mul_f32 v[4:5], v[22:23], v[4:5]
	v_sub_f32_e32 v1, v1, v5
	v_mov_b32_e32 v11, v0
	v_sub_f32_e32 v0, v25, v24
	v_sub_f32_e32 v23, v1, v4
	v_mul_f32_e32 v0, v0, v50
	v_mov_b32_e32 v1, v8
	v_sub_f32_e32 v27, v13, v12
	v_pk_mul_f32 v[4:5], v[0:1], v[36:37]
	v_sub_f32_e32 v5, v27, v5
	v_pk_mul_f32 v[12:13], v[8:9], v[40:41]
	v_sub_f32_e32 v4, v5, v4
	v_sub_f32_e32 v13, v26, v13
	v_mul_f32_e32 v4, v4, v53
	v_mov_b32_e32 v5, v0
	global_store_dwordx4 v[18:19], v[8:11], off offset:-48
	v_pk_mul_f32 v[6:7], v[4:5], v[6:7]
	v_sub_f32_e32 v8, v13, v12
	v_pk_mul_f32 v[2:3], v[0:1], v[2:3]
	v_sub_f32_e32 v5, v8, v7
	v_sub_f32_e32 v1, v23, v3
	v_sub_f32_e32 v1, v1, v2
	v_sub_f32_e32 v2, v5, v6
	s_addk_i32 s7, 0xfc04
	v_mul_f32_e32 v6, v2, v58
	v_mov_b32_e32 v2, s7
	ds_read_b32 v5, v2
	v_mov_b32_e32 v7, v4
	v_pk_mul_f32 v[2:3], v[6:7], v[20:21]
	v_sub_f32_e32 v1, v1, v3
	v_sub_f32_e32 v1, v1, v2
	s_waitcnt lgkmcnt(0)
	v_mul_f32_e32 v2, v1, v5
	v_mov_b32_e32 v3, v6
	v_mov_b32_e32 v5, v0
	s_sub_i32 s8, s18, 17
	global_store_dwordx4 v[18:19], v[2:5], off offset:-64
	s_cmp_gt_i32 s8, -1
	s_cbranch_scc1 .LBB19_20
	s_branch .LBB19_42
.LBB19_19:
	s_mov_b32 s8, s6
	s_cmp_gt_i32 s8, -1
	s_cbranch_scc0 .LBB19_42
.LBB19_20:
	s_cmp_lt_u32 s8, 11
	s_cbranch_scc1 .LBB19_25
; %bb.21:
	s_mov_b32 s9, 0
	s_lshl_b64 s[12:13], s[8:9], 2
	v_mov_b32_e32 v0, s13
	v_add_co_u32_e32 v6, vcc, s12, v14
	v_addc_co_u32_e32 v7, vcc, v15, v0, vcc
	global_load_dwordx4 v[0:3], v[6:7], off offset:-12
	global_load_dwordx4 v[20:23], v[6:7], off offset:-28
	;; [unrolled: 1-line block ×3, first 2 shown]
	s_cmp_le_i32 s6, s8
	s_waitcnt vmcnt(2)
	v_pk_mul_f32 v[18:19], v[2:3], s[16:17] op_sel_hi:[1,0]
	v_pk_mul_f32 v[12:13], v[0:1], s[16:17] op_sel_hi:[1,0]
	s_waitcnt vmcnt(1)
	v_pk_mul_f32 v[8:9], v[22:23], s[16:17] op_sel_hi:[1,0]
	v_pk_mul_f32 v[10:11], v[20:21], s[16:17] op_sel_hi:[1,0]
	;; [unrolled: 3-line block ×3, first 2 shown]
	s_cbranch_scc1 .LBB19_24
; %bb.22:
	s_lshl_b32 s7, s8, 6
	s_lshl_b32 s9, s18, 2
	s_add_i32 s7, s7, s9
	s_add_i32 s9, s7, 0xfffffd3c
	s_ashr_i32 s7, s6, 31
	s_lshl_b64 s[12:13], s[6:7], 2
	s_add_u32 s7, s2, s12
	s_addc_u32 s11, s3, s13
	s_add_u32 s7, s7, s4
	s_addc_u32 s11, s11, s5
	;; [unrolled: 2-line block ×3, first 2 shown]
	v_mov_b32_e32 v5, s11
	v_add_co_u32_e32 v4, vcc, s7, v16
	v_addc_co_u32_e32 v5, vcc, v5, v17, vcc
	s_mov_b32 s7, s6
.LBB19_23:                              ; =>This Inner Loop Header: Depth=1
	global_load_dword v32, v[4:5], off
	v_mov_b32_e32 v30, s9
	ds_read2_b32 v[20:21], v30 offset0:160 offset1:176
	ds_read2_b32 v[22:23], v30 offset0:128 offset1:144
	;; [unrolled: 1-line block ×5, first 2 shown]
	ds_read2_b32 v[30:31], v30 offset1:16
	s_add_i32 s7, s7, -1
	s_add_i32 s9, s9, -4
	v_add_co_u32_e32 v4, vcc, -4, v4
	v_addc_co_u32_e32 v5, vcc, -1, v5, vcc
	s_cmp_gt_i32 s7, s8
	s_waitcnt vmcnt(0) lgkmcnt(5)
	v_fma_f32 v19, -v32, v21, v19
	v_fma_f32 v18, -v32, v20, v18
	s_waitcnt lgkmcnt(4)
	v_fma_f32 v13, -v32, v23, v13
	v_fma_f32 v12, -v32, v22, v12
	s_waitcnt lgkmcnt(3)
	;; [unrolled: 3-line block ×5, first 2 shown]
	v_fma_f32 v3, -v32, v31, v3
	v_fma_f32 v2, -v32, v30, v2
	s_cbranch_scc1 .LBB19_23
.LBB19_24:
	s_mul_i32 s7, s8, 0x44
	s_add_i32 s9, s7, 0xffffffbc
	v_mov_b32_e32 v21, s9
	s_ashr_i32 s9, s8, 31
	s_lshl_b64 s[12:13], s[8:9], 2
	s_lshl_b32 s9, s8, 4
	s_add_i32 s9, s9, s8
	s_lshl_b32 s21, s9, 2
	s_add_i32 s9, s7, 0xffffff78
	v_mov_b32_e32 v22, s9
	s_add_i32 s9, s21, 0xffffff40
	v_mov_b32_e32 v23, s9
	;; [unrolled: 2-line block ×4, first 2 shown]
	v_mov_b32_e32 v5, s13
	v_add_co_u32_e32 v4, vcc, s12, v14
	v_mov_b32_e32 v25, s9
	s_add_i32 s9, s21, 0xfffffec0
	s_add_i32 s12, s7, 0xfffffeac
	;; [unrolled: 1-line block ×3, first 2 shown]
	v_mov_b32_e32 v26, s9
	v_mov_b32_e32 v27, s12
	ds_read_b32 v44, v20
	ds_read2_b32 v[30:31], v21 offset1:1
	ds_read_b32 v46, v22
	ds_read_b32 v45, v23
	;; [unrolled: 1-line block ×6, first 2 shown]
	v_mov_b32_e32 v20, s13
	s_add_i32 s13, s21, 0xfffffe40
	ds_read_b32 v51, v20
	v_mov_b32_e32 v20, s13
	s_add_i32 s13, s7, 0xfffffe24
	ds_read_b32 v52, v20
	;; [unrolled: 3-line block ×5, first 2 shown]
	v_mov_b32_e32 v20, s14
	s_add_i32 s39, s7, 0xfffffd58
	s_add_i32 s22, s21, 0xffffff7c
	ds_read_b32 v56, v20
	v_mov_b32_e32 v20, s39
	s_add_i32 s39, s21, 0xfffffd40
	ds_read_b32 v57, v20
	v_mov_b32_e32 v20, s39
	s_add_i32 s39, s21, 0xfffffd38
	v_mov_b32_e32 v21, s22
	s_add_i32 s22, s21, 0xfffffd30
	v_mov_b32_e32 v22, s39
	v_mov_b32_e32 v23, s22
	ds_read_b32 v58, v20
	ds_read2_b32 v[32:33], v21 offset1:1
	ds_read2_b32 v[34:35], v22 offset1:1
	;; [unrolled: 1-line block ×3, first 2 shown]
	s_add_i32 s22, s21, 0xfffffd28
	s_waitcnt lgkmcnt(14)
	v_mul_f32_e32 v19, v19, v44
	s_add_i32 s23, s21, 0xffffff38
	s_add_i32 s24, s21, 0xfffffefc
	;; [unrolled: 1-line block ×6, first 2 shown]
	v_mov_b32_e32 v20, s22
	s_add_i32 s22, s21, 0xfffffd20
	v_fma_f32 v18, -v19, v31, v18
	v_mov_b32_e32 v21, s22
	v_mov_b32_e32 v22, s38
	;; [unrolled: 1-line block ×7, first 2 shown]
	v_mul_f32_e32 v18, v18, v30
	s_add_i32 s25, s21, 0xfffffeb8
	s_add_i32 s26, s21, 0xfffffe7c
	ds_read2_b32 v[26:27], v20 offset1:1
	ds_read2_b32 v[20:21], v21 offset1:1
	;; [unrolled: 1-line block ×8, first 2 shown]
	global_store_dword v[6:7], v19, off
	s_waitcnt lgkmcnt(10)
	v_pk_mul_f32 v[6:7], v[18:19], v[32:33]
	s_add_i32 s27, s21, 0xfffffe38
	s_add_i32 s29, s21, 0xfffffdfc
	v_mov_b32_e32 v31, s25
	v_mov_b32_e32 v30, s26
	v_sub_f32_e32 v7, v13, v7
	v_mov_b32_e32 v44, s27
	v_mov_b32_e32 v61, s29
	v_fma_f32 v62, -v19, v45, v12
	v_sub_f32_e32 v63, v7, v6
	ds_read2_b32 v[6:7], v31 offset1:1
	ds_read2_b32 v[12:13], v30 offset1:1
	;; [unrolled: 1-line block ×4, first 2 shown]
	s_add_i32 s33, s21, 0xfffffdb8
	v_fma_f32 v52, -v19, v52, v10
	s_waitcnt lgkmcnt(2)
	v_pk_mul_f32 v[12:13], v[18:19], v[12:13]
	v_sub_f32_e32 v13, v11, v13
	v_pk_mul_f32 v[10:11], v[18:19], v[42:43]
	s_add_i32 s35, s21, 0xfffffd7c
	v_mov_b32_e32 v44, s33
	v_fma_f32 v49, -v19, v49, v8
	v_sub_f32_e32 v8, v9, v11
	v_mov_b32_e32 v45, s35
	v_sub_f32_e32 v61, v8, v10
	ds_read2_b32 v[8:9], v44 offset1:1
	ds_read2_b32 v[10:11], v45 offset1:1
	v_fma_f32 v58, -v19, v58, v2
	v_fma_f32 v55, -v19, v55, v0
	s_add_i32 s11, s21, 0xfffffef4
	s_add_i32 s9, s21, 0xfffffeb0
	s_waitcnt lgkmcnt(0)
	v_pk_mul_f32 v[10:11], v[18:19], v[10:11]
	v_sub_f32_e32 v11, v3, v11
	v_pk_mul_f32 v[2:3], v[18:19], v[32:33]
	v_sub_f32_e32 v0, v1, v3
	v_sub_f32_e32 v65, v0, v2
	v_mul_f32_e32 v2, v63, v46
	v_mov_b32_e32 v3, v18
	v_pk_mul_f32 v[0:1], v[2:3], v[40:41]
	v_sub_f32_e32 v1, v62, v1
	s_add_i32 s12, s21, 0xfffffe74
	s_add_i32 s15, s21, 0xfffffe6c
	;; [unrolled: 1-line block ×10, first 2 shown]
	s_addk_i32 s21, 0xfd18
	v_sub_f32_e32 v46, v1, v0
	v_pk_mul_f32 v[0:1], v[2:3], v[6:7]
	v_mov_b32_e32 v59, s31
	v_mov_b32_e32 v42, s28
	v_sub_f32_e32 v64, v13, v12
	v_mov_b32_e32 v12, s21
	v_mov_b32_e32 v44, s20
	v_sub_f32_e32 v1, v49, v1
	v_pk_mul_f32 v[6:7], v[2:3], v[8:9]
	v_mov_b32_e32 v60, s37
	ds_read2_b32 v[12:13], v12 offset1:1
	v_sub_f32_e32 v66, v11, v10
	ds_read2_b32 v[10:11], v59 offset1:1
	ds_read2_b32 v[32:33], v60 offset1:1
	;; [unrolled: 1-line block ×4, first 2 shown]
	v_mov_b32_e32 v40, s17
	v_mov_b32_e32 v41, s19
	v_sub_f32_e32 v59, v1, v0
	v_pk_mul_f32 v[0:1], v[2:3], v[30:31]
	v_sub_f32_e32 v7, v55, v7
	v_mov_b32_e32 v49, s11
	v_mov_b32_e32 v60, s12
	v_sub_f32_e32 v1, v52, v1
	v_sub_f32_e32 v55, v7, v6
	ds_read2_b32 v[6:7], v40 offset1:1
	ds_read2_b32 v[8:9], v41 offset1:1
	;; [unrolled: 1-line block ×4, first 2 shown]
	v_sub_f32_e32 v52, v1, v0
	v_pk_mul_f32 v[0:1], v[2:3], v[34:35]
	v_sub_f32_e32 v1, v58, v1
	v_sub_f32_e32 v58, v1, v0
	v_mul_f32_e32 v0, v46, v47
	v_mov_b32_e32 v1, v2
	s_waitcnt lgkmcnt(1)
	v_pk_mul_f32 v[30:31], v[0:1], v[30:31]
	v_mov_b32_e32 v19, s15
	s_waitcnt lgkmcnt(0)
	v_pk_mul_f32 v[34:35], v[0:1], v[40:41]
	v_mov_b32_e32 v40, s14
	v_mov_b32_e32 v46, s9
	v_sub_f32_e32 v31, v61, v31
	v_mov_b32_e32 v3, s13
	v_mov_b32_e32 v2, v18
	v_sub_f32_e32 v49, v31, v30
	ds_read2_b32 v[18:19], v19 offset1:1
	ds_read2_b32 v[30:31], v3 offset1:1
	;; [unrolled: 1-line block ×4, first 2 shown]
	v_addc_co_u32_e32 v5, vcc, v15, v5, vcc
	v_mul_f32_e32 v48, v49, v48
	v_mov_b32_e32 v49, v0
	v_pk_mul_f32 v[36:37], v[0:1], v[36:37]
	v_pk_mul_f32 v[38:39], v[0:1], v[38:39]
	global_store_dwordx3 v[4:5], v[0:2], off offset:-12
	v_sub_f32_e32 v3, v64, v35
	s_waitcnt lgkmcnt(0)
	v_pk_mul_f32 v[0:1], v[48:49], v[46:47]
	v_sub_f32_e32 v1, v59, v1
	v_sub_f32_e32 v0, v1, v0
	;; [unrolled: 1-line block ×3, first 2 shown]
	v_pk_mul_f32 v[6:7], v[48:49], v[6:7]
	v_pk_mul_f32 v[8:9], v[48:49], v[8:9]
	v_mul_f32_e32 v2, v0, v50
	v_mov_b32_e32 v3, v48
	v_sub_f32_e32 v35, v65, v37
	v_sub_f32_e32 v37, v66, v39
	;; [unrolled: 1-line block ×4, first 2 shown]
	v_pk_mul_f32 v[0:1], v[2:3], v[18:19]
	v_sub_f32_e32 v35, v35, v36
	v_sub_f32_e32 v36, v37, v38
	v_sub_f32_e32 v1, v34, v1
	v_sub_f32_e32 v34, v7, v6
	v_pk_mul_f32 v[6:7], v[2:3], v[30:31]
	v_sub_f32_e32 v30, v9, v8
	v_pk_mul_f32 v[8:9], v[2:3], v[40:41]
	v_pk_mul_f32 v[18:19], v[48:49], v[28:29]
	v_sub_f32_e32 v3, v36, v9
	v_sub_f32_e32 v9, v58, v19
	v_sub_f32_e32 v0, v1, v0
	v_sub_f32_e32 v28, v9, v18
	v_mul_f32_e32 v18, v0, v51
	v_mov_b32_e32 v19, v2
	v_pk_mul_f32 v[0:1], v[18:19], v[42:43]
	v_sub_f32_e32 v1, v34, v1
	v_sub_f32_e32 v7, v35, v7
	v_sub_f32_e32 v0, v1, v0
	v_sub_f32_e32 v29, v7, v6
	v_pk_mul_f32 v[6:7], v[18:19], v[44:45]
	v_mul_f32_e32 v0, v0, v53
	v_mov_b32_e32 v1, v18
	v_sub_f32_e32 v7, v30, v7
	v_sub_f32_e32 v3, v3, v8
	v_pk_mul_f32 v[8:9], v[0:1], v[10:11]
	v_pk_mul_f32 v[10:11], v[18:19], v[26:27]
	v_sub_f32_e32 v9, v29, v9
	v_sub_f32_e32 v29, v7, v6
	v_pk_mul_f32 v[6:7], v[0:1], v[32:33]
	v_sub_f32_e32 v1, v28, v11
	v_sub_f32_e32 v7, v3, v7
	v_sub_f32_e32 v10, v1, v10
	v_mov_b32_e32 v1, v18
	v_mov_b32_e32 v3, v48
	global_store_dwordx4 v[4:5], v[0:3], off offset:-28
	v_sub_f32_e32 v6, v7, v6
	v_sub_f32_e32 v1, v9, v8
	v_mul_f32_e32 v8, v1, v54
	v_mov_b32_e32 v9, v0
	v_pk_mul_f32 v[0:1], v[8:9], v[24:25]
	v_sub_f32_e32 v1, v29, v1
	v_sub_f32_e32 v0, v1, v0
	v_mul_f32_e32 v2, v0, v56
	v_mov_b32_e32 v3, v8
	v_pk_mul_f32 v[0:1], v[2:3], v[22:23]
	v_sub_f32_e32 v1, v6, v1
	v_pk_mul_f32 v[6:7], v[8:9], v[20:21]
	v_sub_f32_e32 v3, v10, v7
	v_sub_f32_e32 v0, v1, v0
	s_addk_i32 s7, 0xfd14
	v_sub_f32_e32 v3, v3, v6
	v_mul_f32_e32 v6, v0, v57
	v_mov_b32_e32 v0, s7
	ds_read_b32 v9, v0
	v_mov_b32_e32 v7, v2
	v_pk_mul_f32 v[0:1], v[6:7], v[12:13]
	v_sub_f32_e32 v1, v3, v1
	v_sub_f32_e32 v0, v1, v0
	s_waitcnt lgkmcnt(0)
	v_mul_f32_e32 v0, v0, v9
	v_mov_b32_e32 v1, v6
	v_mov_b32_e32 v3, v8
	s_add_i32 s8, s8, -12
	global_store_dwordx4 v[4:5], v[0:3], off offset:-44
.LBB19_25:
	s_cmp_lt_i32 s8, 0
	s_cbranch_scc1 .LBB19_42
; %bb.26:
	s_add_i32 s7, s8, 1
	s_and_b32 s9, s7, 3
	s_cmp_eq_u32 s9, 0
	s_mov_b32 s12, s8
	s_cbranch_scc1 .LBB19_31
; %bb.27:
	s_lshl_b32 s7, s8, 6
	s_lshl_b32 s11, s18, 2
	s_add_i32 s7, s7, s11
	s_add_i32 s11, s7, -4
	s_ashr_i32 s7, s6, 31
	s_lshl_b64 s[12:13], s[6:7], 2
	s_add_u32 s7, s2, s12
	s_addc_u32 s12, s3, s13
	s_add_u32 s7, s7, s4
	s_addc_u32 s12, s12, s5
	;; [unrolled: 2-line block ×3, first 2 shown]
	v_mov_b32_e32 v0, s12
	v_add_co_u32_e32 v2, vcc, s7, v16
	s_mov_b32 s13, 0
	v_addc_co_u32_e32 v3, vcc, v0, v17, vcc
	s_mov_b32 s12, s8
	s_mov_b32 s7, s13
	s_branch .LBB19_29
.LBB19_28:                              ;   in Loop: Header=BB19_29 Depth=1
	s_mul_i32 s14, s12, 0x44
	v_mov_b32_e32 v1, s14
	ds_read_b32 v1, v1
	s_ashr_i32 s15, s12, 31
	s_mov_b32 s14, s12
	s_lshl_b64 s[14:15], s[14:15], 2
	v_mov_b32_e32 v4, s15
	s_waitcnt lgkmcnt(0)
	v_mul_f32_e32 v5, v0, v1
	v_add_co_u32_e32 v0, vcc, s14, v14
	s_add_i32 s12, s12, -1
	s_add_i32 s7, s7, 1
	s_sub_i32 s11, s11, 64
	v_addc_co_u32_e32 v1, vcc, v15, v4, vcc
	s_cmp_lg_u32 s7, s9
	global_store_dword v[0:1], v5, off
	s_cbranch_scc0 .LBB19_31
.LBB19_29:                              ; =>This Loop Header: Depth=1
                                        ;     Child Loop BB19_30 Depth 2
	s_lshl_b64 s[14:15], s[12:13], 2
	v_mov_b32_e32 v1, s15
	v_add_co_u32_e32 v0, vcc, s14, v14
	v_addc_co_u32_e32 v1, vcc, v15, v1, vcc
	global_load_dword v0, v[0:1], off
	v_pk_mov_b32 v[4:5], v[2:3], v[2:3] op_sel:[0,1]
	s_mov_b32 s14, s11
	s_cmp_le_i32 s6, s12
	s_mov_b32 s15, s6
	s_waitcnt vmcnt(0)
	v_mul_f32_e32 v0, s16, v0
	s_cbranch_scc1 .LBB19_28
.LBB19_30:                              ;   Parent Loop BB19_29 Depth=1
                                        ; =>  This Inner Loop Header: Depth=2
	global_load_dword v1, v[4:5], off
	v_mov_b32_e32 v6, s14
	ds_read_b32 v6, v6
	s_add_i32 s15, s15, -1
	s_add_i32 s14, s14, -4
	v_add_co_u32_e32 v4, vcc, -4, v4
	v_addc_co_u32_e32 v5, vcc, -1, v5, vcc
	s_cmp_gt_i32 s15, s12
	s_waitcnt vmcnt(0) lgkmcnt(0)
	v_fma_f32 v0, -v1, v6, v0
	s_cbranch_scc1 .LBB19_30
	s_branch .LBB19_28
.LBB19_31:
	s_cmp_lt_u32 s8, 3
	s_cbranch_scc1 .LBB19_42
; %bb.32:
	s_lshl_b32 s7, s12, 6
	s_lshl_b32 s8, s18, 2
	s_add_i32 s15, s7, s8
	s_add_i32 s14, s15, -4
	s_add_u32 s7, s4, s0
	s_addc_u32 s8, s5, s1
	v_add_co_u32_e32 v1, vcc, s7, v16
	s_ashr_i32 s7, s6, 31
	v_mov_b32_e32 v0, s8
	s_lshl_b64 s[8:9], s[6:7], 2
	s_add_u32 s7, s2, s8
	v_addc_co_u32_e32 v0, vcc, v0, v17, vcc
	s_addc_u32 s8, s3, s9
	s_ashr_i32 s11, s10, 31
	v_mov_b32_e32 v3, s8
	v_add_co_u32_e32 v2, vcc, s7, v1
	s_add_i32 s7, s15, 0xffffffbc
	v_cmp_lt_i64_e64 s[8:9], s[10:11], 16
	s_and_b64 s[8:9], s[8:9], exec
	s_cselect_b32 s9, s11, 0
	s_cselect_b32 s8, s10, 16
	s_lshl_b64 s[8:9], s[8:9], 2
	s_add_u32 s8, s2, s8
	v_addc_co_u32_e32 v3, vcc, v3, v0, vcc
	s_addc_u32 s9, s3, s9
	v_mov_b32_e32 v4, s9
	v_add_co_u32_e32 v1, vcc, s8, v1
	v_addc_co_u32_e32 v0, vcc, v4, v0, vcc
	v_add_co_u32_e32 v4, vcc, -4, v1
	s_mov_b32 s13, 0
	v_addc_co_u32_e32 v5, vcc, -1, v0, vcc
	s_add_i32 s11, s15, 0xffffff7c
	s_addk_i32 s15, 0xff3c
	s_branch .LBB19_34
.LBB19_33:                              ;   in Loop: Header=BB19_34 Depth=1
	s_add_i32 s8, s9, 0xffffffbc
	v_mov_b32_e32 v1, s8
	ds_read_b32 v1, v1
	s_add_i32 s8, s12, -4
	s_addk_i32 s14, 0xff00
	s_addk_i32 s7, 0xff00
	s_addk_i32 s11, 0xff00
	s_addk_i32 s15, 0xff00
	s_waitcnt lgkmcnt(0)
	v_mul_f32_e32 v0, v0, v1
	s_cmp_lt_i32 s12, 4
	s_mov_b32 s12, s8
	global_store_dword v[6:7], v0, off offset:-12
	s_cbranch_scc1 .LBB19_42
.LBB19_34:                              ; =>This Loop Header: Depth=1
                                        ;     Child Loop BB19_35 Depth 2
                                        ;     Child Loop BB19_37 Depth 2
	;; [unrolled: 1-line block ×4, first 2 shown]
	s_lshl_b64 s[8:9], s[12:13], 2
	v_mov_b32_e32 v1, s9
	v_add_co_u32_e32 v0, vcc, s8, v14
	v_addc_co_u32_e32 v1, vcc, v15, v1, vcc
	global_load_dword v0, v[0:1], off
	v_pk_mov_b32 v[6:7], v[2:3], v[2:3] op_sel:[0,1]
	s_mov_b32 s8, s14
	s_cmp_le_i32 s6, s12
	s_mov_b32 s9, s6
	s_waitcnt vmcnt(0)
	v_mul_f32_e32 v0, s16, v0
	s_cbranch_scc1 .LBB19_36
.LBB19_35:                              ;   Parent Loop BB19_34 Depth=1
                                        ; =>  This Inner Loop Header: Depth=2
	global_load_dword v1, v[6:7], off
	v_mov_b32_e32 v8, s8
	ds_read_b32 v8, v8
	s_add_i32 s9, s9, -1
	s_add_i32 s8, s8, -4
	v_add_co_u32_e32 v6, vcc, -4, v6
	v_addc_co_u32_e32 v7, vcc, -1, v7, vcc
	s_cmp_gt_i32 s9, s12
	s_waitcnt vmcnt(0) lgkmcnt(0)
	v_fma_f32 v0, -v1, v8, v0
	s_cbranch_scc1 .LBB19_35
.LBB19_36:                              ;   in Loop: Header=BB19_34 Depth=1
	s_add_i32 s8, s12, -1
	s_mov_b32 s9, s13
	s_lshl_b64 s[8:9], s[8:9], 2
	v_mov_b32_e32 v1, s9
	v_add_co_u32_e32 v6, vcc, s8, v14
	v_addc_co_u32_e32 v7, vcc, v15, v1, vcc
	global_load_dword v1, v[6:7], off
	s_mul_i32 s17, s12, 0x44
	v_mov_b32_e32 v6, s17
	ds_read_b32 v10, v6
	s_ashr_i32 s21, s12, 31
	s_mov_b32 s20, s12
	s_lshl_b64 s[20:21], s[20:21], 2
	v_mov_b32_e32 v7, s21
	v_add_co_u32_e32 v6, vcc, s20, v14
	v_addc_co_u32_e32 v7, vcc, v15, v7, vcc
	s_waitcnt lgkmcnt(0)
	v_mul_f32_e32 v0, v0, v10
	v_pk_mov_b32 v[8:9], v[4:5], v[4:5] op_sel:[0,1]
	s_mov_b32 s8, s7
	s_cmp_le_i32 s18, s12
	global_store_dword v[6:7], v0, off
	s_mov_b32 s9, s18
	s_waitcnt vmcnt(1)
	v_mul_f32_e32 v0, s16, v1
	s_cbranch_scc1 .LBB19_38
.LBB19_37:                              ;   Parent Loop BB19_34 Depth=1
                                        ; =>  This Inner Loop Header: Depth=2
	global_load_dword v1, v[8:9], off
	v_mov_b32_e32 v10, s8
	ds_read_b32 v10, v10
	s_add_i32 s9, s9, -1
	s_add_i32 s8, s8, -4
	v_add_co_u32_e32 v8, vcc, -4, v8
	v_addc_co_u32_e32 v9, vcc, -1, v9, vcc
	s_cmp_gt_i32 s9, s12
	s_waitcnt vmcnt(0) lgkmcnt(0)
	v_fma_f32 v0, -v1, v10, v0
	s_cbranch_scc1 .LBB19_37
.LBB19_38:                              ;   in Loop: Header=BB19_34 Depth=1
	s_add_i32 s8, s12, -2
	s_mov_b32 s9, s13
	s_lshl_b64 s[20:21], s[8:9], 2
	v_mov_b32_e32 v1, s21
	v_add_co_u32_e32 v8, vcc, s20, v14
	v_addc_co_u32_e32 v9, vcc, v15, v1, vcc
	global_load_dword v1, v[8:9], off
	s_addk_i32 s17, 0xffbc
	v_mov_b32_e32 v8, s17
	ds_read_b32 v10, v8
	v_pk_mov_b32 v[8:9], v[2:3], v[2:3] op_sel:[0,1]
	s_mov_b32 s9, s11
	s_cmp_le_i32 s6, s8
	s_mov_b32 s19, s6
	s_waitcnt lgkmcnt(0)
	v_mul_f32_e32 v0, v0, v10
	global_store_dword v[6:7], v0, off offset:-4
	s_waitcnt vmcnt(1)
	v_mul_f32_e32 v0, s16, v1
	s_cbranch_scc1 .LBB19_40
.LBB19_39:                              ;   Parent Loop BB19_34 Depth=1
                                        ; =>  This Inner Loop Header: Depth=2
	global_load_dword v1, v[8:9], off
	v_mov_b32_e32 v10, s9
	ds_read_b32 v10, v10
	s_add_i32 s19, s19, -1
	s_add_i32 s9, s9, -4
	v_add_co_u32_e32 v8, vcc, -4, v8
	v_addc_co_u32_e32 v9, vcc, -1, v9, vcc
	s_cmp_gt_i32 s19, s8
	s_waitcnt vmcnt(0) lgkmcnt(0)
	v_fma_f32 v0, -v1, v10, v0
	s_cbranch_scc1 .LBB19_39
.LBB19_40:                              ;   in Loop: Header=BB19_34 Depth=1
	s_add_i32 s8, s12, -3
	s_mov_b32 s9, s13
	s_lshl_b64 s[20:21], s[8:9], 2
	v_mov_b32_e32 v1, s21
	v_add_co_u32_e32 v8, vcc, s20, v14
	v_addc_co_u32_e32 v9, vcc, v15, v1, vcc
	global_load_dword v1, v[8:9], off
	s_add_i32 s9, s17, 0xffffffbc
	v_mov_b32_e32 v8, s9
	ds_read_b32 v10, v8
	v_pk_mov_b32 v[8:9], v[2:3], v[2:3] op_sel:[0,1]
	s_mov_b32 s17, s15
	s_cmp_le_i32 s6, s8
	s_mov_b32 s19, s6
	s_waitcnt lgkmcnt(0)
	v_mul_f32_e32 v0, v0, v10
	global_store_dword v[6:7], v0, off offset:-8
	s_waitcnt vmcnt(1)
	v_mul_f32_e32 v0, s16, v1
	s_cbranch_scc1 .LBB19_33
.LBB19_41:                              ;   Parent Loop BB19_34 Depth=1
                                        ; =>  This Inner Loop Header: Depth=2
	global_load_dword v1, v[8:9], off
	v_mov_b32_e32 v10, s17
	ds_read_b32 v10, v10
	s_add_i32 s19, s19, -1
	s_add_i32 s17, s17, -4
	v_add_co_u32_e32 v8, vcc, -4, v8
	v_addc_co_u32_e32 v9, vcc, -1, v9, vcc
	s_cmp_gt_i32 s19, s8
	s_waitcnt vmcnt(0) lgkmcnt(0)
	v_fma_f32 v0, -v1, v10, v0
	s_cbranch_scc1 .LBB19_41
	s_branch .LBB19_33
.LBB19_42:
	s_mov_b64 s[6:7], 0
.LBB19_43:
	s_and_b64 vcc, exec, s[6:7]
	s_cbranch_vccz .LBB19_65
; %bb.44:
	s_cmp_gt_i32 s10, 15
	s_cselect_b64 s[8:9], -1, 0
	s_and_b64 vcc, exec, s[8:9]
	s_cbranch_vccz .LBB19_46
; %bb.45:
	global_load_dwordx4 v[6:9], v[14:15], off
	global_load_dwordx4 v[10:13], v[14:15], off offset:16
	global_load_dwordx4 v[2:5], v[14:15], off offset:32
	v_mov_b32_e32 v60, 0
	ds_read_b128 v[18:21], v60
	ds_read_b128 v[22:25], v60 offset:16
	ds_read2_b64 v[26:29], v60 offset0:17 offset1:18
	ds_read2_b64 v[30:33], v60 offset0:19 offset1:20
	ds_read2_b32 v[42:43], v60 offset0:17 offset1:18
	ds_read2_b32 v[44:45], v60 offset0:19 offset1:20
	;; [unrolled: 1-line block ×4, first 2 shown]
	ds_read_b128 v[34:37], v60 offset:272
	ds_read_b128 v[38:41], v60 offset:288
	ds_read2_b32 v[50:51], v60 offset0:51 offset1:52
	ds_read2_b32 v[52:53], v60 offset0:53 offset1:54
	;; [unrolled: 1-line block ×4, first 2 shown]
	s_mov_b32 s6, 16
	s_waitcnt vmcnt(2)
	v_mul_f32_e32 v0, s16, v6
	s_waitcnt lgkmcnt(13)
	v_mul_f32_e32 v0, v0, v18
	v_mul_f32_e32 v1, v0, v19
	;; [unrolled: 1-line block ×4, first 2 shown]
	s_waitcnt lgkmcnt(12)
	v_mul_f32_e32 v19, v0, v22
	v_mul_f32_e32 v20, v0, v23
	;; [unrolled: 1-line block ×4, first 2 shown]
	v_fma_f32 v1, v7, s16, -v1
	v_fma_f32 v23, v8, s16, -v6
	;; [unrolled: 1-line block ×3, first 2 shown]
	s_waitcnt vmcnt(1)
	v_fma_f32 v19, v10, s16, -v19
	v_fma_f32 v20, v11, s16, -v20
	;; [unrolled: 1-line block ×4, first 2 shown]
	ds_read_b128 v[6:9], v60 offset:32
	ds_read_b128 v[10:13], v60 offset:48
	s_waitcnt lgkmcnt(11)
	v_mul_f32_e32 v1, v1, v42
	v_fma_f32 v23, -v1, v43, v23
	s_waitcnt lgkmcnt(10)
	v_fma_f32 v18, -v1, v44, v18
	s_waitcnt lgkmcnt(1)
	v_mul_f32_e32 v6, v0, v6
	v_fma_f32 v19, -v1, v45, v19
	ds_read2_b32 v[42:43], v60 offset0:25 offset1:26
	ds_read2_b32 v[44:45], v60 offset0:27 offset1:28
	;; [unrolled: 1-line block ×3, first 2 shown]
	ds_read_b32 v61, v60 offset:124
	v_mul_f32_e32 v7, v0, v7
	s_waitcnt vmcnt(0)
	v_fma_f32 v2, v2, s16, -v6
	v_fma_f32 v3, v3, s16, -v7
	v_fma_f32 v7, -v1, v49, v2
	v_mul_f32_e32 v2, v23, v26
	s_waitcnt lgkmcnt(3)
	v_fma_f32 v3, -v1, v42, v3
	v_fma_f32 v26, -v2, v27, v18
	;; [unrolled: 1-line block ×7, first 2 shown]
	v_mul_f32_e32 v3, v26, v50
	v_fma_f32 v42, -v2, v29, v20
	v_fma_f32 v30, -v2, v30, v21
	;; [unrolled: 1-line block ×4, first 2 shown]
	ds_read2_b64 v[18:21], v60 offset0:51 offset1:52
	ds_read2_b64 v[22:25], v60 offset0:53 offset1:54
	v_fma_f32 v46, -v3, v51, v27
	ds_read2_b32 v[6:7], v60 offset0:85 offset1:86
	ds_read_b128 v[26:29], v60 offset:304
	v_fma_f32 v42, -v3, v52, v42
	v_fma_f32 v47, -v3, v53, v30
	v_mul_f32_e32 v30, v46, v34
	v_fma_f32 v31, -v3, v54, v31
	v_fma_f32 v34, -v30, v35, v42
	;; [unrolled: 1-line block ×4, first 2 shown]
	s_waitcnt lgkmcnt(1)
	v_mul_f32_e32 v31, v34, v6
	v_fma_f32 v32, -v3, v55, v32
	v_fma_f32 v37, -v31, v7, v35
	ds_read2_b32 v[6:7], v60 offset0:87 offset1:88
	ds_read2_b32 v[34:35], v60 offset0:89 offset1:90
	;; [unrolled: 1-line block ×4, first 2 shown]
	v_fma_f32 v32, -v30, v38, v32
	s_waitcnt lgkmcnt(3)
	v_fma_f32 v6, -v31, v6, v36
	v_fma_f32 v7, -v31, v7, v32
	v_mul_f32_e32 v32, v37, v18
	v_fma_f32 v18, -v32, v19, v6
	v_fma_f32 v19, -v32, v20, v7
	ds_read2_b32 v[6:7], v60 offset0:119 offset1:120
	v_fma_f32 v33, -v3, v56, v33
	v_fma_f32 v33, -v30, v39, v33
	s_waitcnt lgkmcnt(3)
	v_fma_f32 v33, -v31, v34, v33
	v_fma_f32 v34, -v32, v21, v33
	s_waitcnt lgkmcnt(0)
	v_mul_f32_e32 v33, v18, v6
	v_mul_f32_e32 v6, v0, v8
	v_fma_f32 v4, v4, s16, -v6
	ds_read2_b32 v[36:37], v60 offset0:121 offset1:122
	ds_read2_b32 v[38:39], v60 offset0:123 offset1:124
	ds_read_b64 v[50:51], v60 offset:440
	v_fma_f32 v56, -v33, v7, v19
	v_fma_f32 v4, -v1, v43, v4
	ds_read_b64 v[42:43], v60 offset:184
	ds_read2_b64 v[18:21], v60 offset0:21 offset1:22
	ds_read2_b32 v[52:53], v60 offset0:59 offset1:60
	ds_read2_b32 v[54:55], v60 offset0:61 offset1:62
	s_waitcnt lgkmcnt(6)
	v_fma_f32 v34, -v33, v36, v34
	v_mul_f32_e32 v10, v0, v10
	s_waitcnt lgkmcnt(2)
	v_fma_f32 v4, -v2, v18, v4
	v_fma_f32 v4, -v3, v57, v4
	v_fma_f32 v4, -v30, v40, v4
	v_fma_f32 v4, -v31, v35, v4
	v_mul_f32_e32 v18, v0, v9
	ds_read_b128 v[6:9], v60 offset:544
	v_fma_f32 v4, -v32, v22, v4
	v_fma_f32 v22, -v33, v37, v4
	v_fma_f32 v4, v5, s16, -v18
	v_fma_f32 v4, -v1, v44, v4
	v_fma_f32 v4, -v2, v19, v4
	s_waitcnt lgkmcnt(2)
	v_fma_f32 v4, -v3, v52, v4
	v_fma_f32 v5, -v30, v41, v4
	ds_read2_b32 v[40:41], v60 offset0:125 offset1:126
	s_waitcnt lgkmcnt(1)
	v_mul_f32_e32 v4, v56, v6
	v_fma_f32 v18, -v4, v7, v34
	ds_read2_b32 v[6:7], v60 offset0:153 offset1:154
	ds_read_b128 v[34:37], v60 offset:560
	v_fma_f32 v5, -v31, v46, v5
	v_fma_f32 v5, -v32, v23, v5
	;; [unrolled: 1-line block ×5, first 2 shown]
	s_waitcnt lgkmcnt(1)
	v_mul_f32_e32 v5, v18, v6
	v_fma_f32 v44, -v5, v7, v8
	global_load_dwordx4 v[6:9], v[14:15], off offset:48
	v_mul_f32_e32 v12, v0, v12
	s_waitcnt vmcnt(0)
	v_fma_f32 v6, v6, s16, -v10
	v_fma_f32 v6, -v1, v45, v6
	v_fma_f32 v6, -v2, v20, v6
	;; [unrolled: 1-line block ×7, first 2 shown]
	v_mul_f32_e32 v6, v0, v11
	v_fma_f32 v11, v7, s16, -v6
	ds_read2_b32 v[6:7], v60 offset0:155 offset1:156
	v_fma_f32 v11, -v1, v58, v11
	v_fma_f32 v24, -v2, v21, v11
	ds_read2_b32 v[22:23], v60 offset0:157 offset1:158
	ds_read2_b64 v[18:21], v60 offset0:85 offset1:86
	v_fma_f32 v8, v8, s16, -v12
	s_waitcnt lgkmcnt(2)
	v_fma_f32 v11, -v5, v6, v38
	v_fma_f32 v6, -v4, v34, v10
	;; [unrolled: 1-line block ×3, first 2 shown]
	s_waitcnt lgkmcnt(0)
	v_mul_f32_e32 v6, v44, v18
	ds_read_b64 v[38:39], v60 offset:696
	v_fma_f32 v7, -v6, v19, v11
	ds_read2_b32 v[10:11], v60 offset0:187 offset1:188
	ds_read2_b32 v[44:45], v60 offset0:189 offset1:190
	v_fma_f32 v8, -v1, v59, v8
	v_fma_f32 v8, -v2, v42, v8
	;; [unrolled: 1-line block ×3, first 2 shown]
	s_waitcnt lgkmcnt(1)
	v_mul_f32_e32 v7, v7, v10
	v_fma_f32 v10, -v6, v20, v26
	v_fma_f32 v10, -v7, v11, v10
	;; [unrolled: 1-line block ×8, first 2 shown]
	global_store_dwordx4 v[14:15], v[0:3], off
	global_store_dwordx4 v[14:15], v[30:33], off offset:16
	global_store_dwordx4 v[14:15], v[4:7], off offset:32
	v_fma_f32 v11, -v5, v22, v11
	v_fma_f32 v11, -v6, v21, v11
	ds_read_b128 v[18:21], v60 offset:816
	ds_read2_b32 v[24:25], v60 offset0:221 offset1:222
	v_mul_f32_e32 v0, v0, v13
	ds_read2_b32 v[12:13], v60 offset0:63 offset1:95
	v_fma_f32 v0, v9, s16, -v0
	v_fma_f32 v0, -v1, v61, v0
	v_fma_f32 v2, -v2, v43, v0
	ds_read2_b32 v[0:1], v60 offset0:127 offset1:159
	s_waitcnt lgkmcnt(1)
	v_fma_f32 v2, -v3, v12, v2
	v_fma_f32 v2, -v30, v29, v2
	v_fma_f32 v8, -v30, v28, v8
	v_fma_f32 v2, -v31, v13, v2
	v_fma_f32 v8, -v31, v49, v8
	v_fma_f32 v2, -v32, v51, v2
	v_fma_f32 v8, -v32, v50, v8
	s_waitcnt lgkmcnt(0)
	v_fma_f32 v0, -v33, v0, v2
	ds_read2_b32 v[2:3], v60 offset0:191 offset1:223
	v_fma_f32 v8, -v33, v41, v8
	v_fma_f32 v0, -v4, v37, v0
	v_fma_f32 v8, -v4, v36, v8
	v_fma_f32 v0, -v5, v1, v0
	v_fma_f32 v8, -v5, v23, v8
	v_fma_f32 v4, -v6, v39, v0
	ds_read_b64 v[0:1], v60 offset:952
	v_fma_f32 v11, -v7, v44, v11
	v_mul_f32_e32 v10, v10, v18
	v_fma_f32 v8, -v6, v38, v8
	v_fma_f32 v11, -v10, v19, v11
	;; [unrolled: 1-line block ×3, first 2 shown]
	s_waitcnt lgkmcnt(1)
	v_fma_f32 v2, -v7, v2, v4
	ds_read_b32 v4, v60 offset:1020
	v_mul_f32_e32 v11, v11, v24
	v_fma_f32 v8, -v10, v20, v8
	v_fma_f32 v8, -v11, v25, v8
	;; [unrolled: 1-line block ×4, first 2 shown]
	s_waitcnt lgkmcnt(1)
	v_mul_f32_e32 v12, v8, v0
	v_fma_f32 v0, -v12, v1, v2
	s_waitcnt lgkmcnt(0)
	v_mul_f32_e32 v13, v0, v4
	global_store_dwordx4 v[14:15], v[10:13], off offset:48
	s_cmp_lt_i32 s6, s18
	s_cbranch_scc1 .LBB19_47
	s_branch .LBB19_65
.LBB19_46:
	s_mov_b32 s6, 0
	s_cmp_lt_i32 s6, s18
	s_cbranch_scc0 .LBB19_65
.LBB19_47:
	s_or_b32 s7, s6, 11
	s_cmp_ge_u32 s7, s18
	s_cbranch_scc1 .LBB19_54
; %bb.48:
	s_lshl_b32 s10, s6, 2
	v_add_co_u32_e32 v0, vcc, s10, v14
	v_addc_co_u32_e32 v1, vcc, 0, v15, vcc
	global_load_dwordx4 v[2:5], v[0:1], off
	global_load_dwordx4 v[18:21], v[0:1], off offset:16
	global_load_dwordx4 v[22:25], v[0:1], off offset:32
	s_andn2_b64 vcc, exec, s[8:9]
	s_waitcnt vmcnt(2)
	v_pk_mul_f32 v[12:13], v[2:3], s[16:17] op_sel_hi:[1,0]
	v_pk_mul_f32 v[10:11], v[4:5], s[16:17] op_sel_hi:[1,0]
	s_waitcnt vmcnt(1)
	v_pk_mul_f32 v[8:9], v[18:19], s[16:17] op_sel_hi:[1,0]
	v_pk_mul_f32 v[6:7], v[20:21], s[16:17] op_sel_hi:[1,0]
	;; [unrolled: 3-line block ×3, first 2 shown]
	s_cbranch_vccnz .LBB19_53
; %bb.49:
	s_max_u32 s8, s6, 1
	s_and_b32 s9, s8, 16
	v_pk_mov_b32 v[18:19], v[14:15], v[14:15] op_sel:[0,1]
.LBB19_50:                              ; =>This Inner Loop Header: Depth=1
	global_load_dwordx4 v[20:23], v[18:19], off
	v_mov_b32_e32 v36, s10
	ds_read_b128 v[24:27], v36
	ds_read_b128 v[28:31], v36 offset:16
	ds_read_b128 v[32:35], v36 offset:32
	v_add_co_u32_e32 v18, vcc, 16, v18
	s_addk_i32 s10, 0x100
	s_add_i32 s9, s9, -4
	v_addc_co_u32_e32 v19, vcc, 0, v19, vcc
	s_cmp_lg_u32 s9, 0
	s_waitcnt vmcnt(0) lgkmcnt(2)
	v_pk_fma_f32 v[12:13], v[20:21], v[24:25], v[12:13] op_sel_hi:[0,1,1] neg_lo:[1,0,0] neg_hi:[1,0,0]
	v_pk_fma_f32 v[10:11], v[20:21], v[26:27], v[10:11] op_sel_hi:[0,1,1] neg_lo:[1,0,0] neg_hi:[1,0,0]
	s_waitcnt lgkmcnt(0)
	v_pk_fma_f32 v[24:25], v[20:21], v[32:33], v[4:5] op_sel_hi:[0,1,1] neg_lo:[1,0,0] neg_hi:[1,0,0]
	v_pk_fma_f32 v[26:27], v[20:21], v[34:35], v[2:3] op_sel_hi:[0,1,1] neg_lo:[1,0,0] neg_hi:[1,0,0]
	ds_read_b128 v[2:5], v36 offset:64
	v_pk_fma_f32 v[8:9], v[20:21], v[28:29], v[8:9] op_sel_hi:[0,1,1] neg_lo:[1,0,0] neg_hi:[1,0,0]
	v_pk_fma_f32 v[6:7], v[20:21], v[30:31], v[6:7] op_sel_hi:[0,1,1] neg_lo:[1,0,0] neg_hi:[1,0,0]
	v_mov_b32_e32 v28, v23
	s_waitcnt lgkmcnt(0)
	v_pk_fma_f32 v[12:13], v[20:21], v[2:3], v[12:13] op_sel:[1,0,0] neg_lo:[1,0,0] neg_hi:[1,0,0]
	v_pk_fma_f32 v[10:11], v[20:21], v[4:5], v[10:11] op_sel:[1,0,0] neg_lo:[1,0,0] neg_hi:[1,0,0]
	ds_read_b128 v[2:5], v36 offset:80
	s_waitcnt lgkmcnt(0)
	v_pk_fma_f32 v[8:9], v[20:21], v[2:3], v[8:9] op_sel:[1,0,0] neg_lo:[1,0,0] neg_hi:[1,0,0]
	v_pk_fma_f32 v[6:7], v[20:21], v[4:5], v[6:7] op_sel:[1,0,0] neg_lo:[1,0,0] neg_hi:[1,0,0]
	ds_read_b128 v[2:5], v36 offset:96
	;; [unrolled: 4-line block ×3, first 2 shown]
	s_waitcnt lgkmcnt(0)
	v_pk_fma_f32 v[12:13], v[22:23], v[2:3], v[12:13] op_sel_hi:[0,1,1] neg_lo:[1,0,0] neg_hi:[1,0,0]
	v_pk_fma_f32 v[10:11], v[22:23], v[4:5], v[10:11] op_sel_hi:[0,1,1] neg_lo:[1,0,0] neg_hi:[1,0,0]
	ds_read_b128 v[2:5], v36 offset:144
	s_waitcnt lgkmcnt(0)
	v_pk_fma_f32 v[8:9], v[22:23], v[2:3], v[8:9] op_sel_hi:[0,1,1] neg_lo:[1,0,0] neg_hi:[1,0,0]
	v_pk_fma_f32 v[6:7], v[22:23], v[4:5], v[6:7] op_sel_hi:[0,1,1] neg_lo:[1,0,0] neg_hi:[1,0,0]
	ds_read_b128 v[2:5], v36 offset:160
	;; [unrolled: 4-line block ×3, first 2 shown]
	ds_read_b128 v[20:23], v36 offset:224
	s_waitcnt lgkmcnt(1)
	v_pk_fma_f32 v[12:13], v[28:29], v[2:3], v[12:13] op_sel_hi:[0,1,1] neg_lo:[1,0,0] neg_hi:[1,0,0]
	v_pk_fma_f32 v[10:11], v[28:29], v[4:5], v[10:11] op_sel_hi:[0,1,1] neg_lo:[1,0,0] neg_hi:[1,0,0]
	ds_read_b128 v[2:5], v36 offset:208
	s_waitcnt lgkmcnt(0)
	v_pk_fma_f32 v[8:9], v[28:29], v[2:3], v[8:9] op_sel_hi:[0,1,1] neg_lo:[1,0,0] neg_hi:[1,0,0]
	v_pk_fma_f32 v[6:7], v[28:29], v[4:5], v[6:7] op_sel_hi:[0,1,1] neg_lo:[1,0,0] neg_hi:[1,0,0]
	;; [unrolled: 1-line block ×4, first 2 shown]
	s_cbranch_scc1 .LBB19_50
; %bb.51:
	s_and_b32 s8, s8, 1
	s_cmp_eq_u32 s8, 0
	s_cbranch_scc1 .LBB19_53
.LBB19_52:                              ; =>This Inner Loop Header: Depth=1
	global_load_dword v32, v[18:19], off
	v_mov_b32_e32 v28, s10
	ds_read_b128 v[20:23], v28
	ds_read_b128 v[24:27], v28 offset:16
	ds_read_b128 v[28:31], v28 offset:32
	s_add_i32 s10, s10, 64
	v_add_co_u32_e32 v18, vcc, 4, v18
	s_add_i32 s8, s8, -1
	v_addc_co_u32_e32 v19, vcc, 0, v19, vcc
	s_cmp_lg_u32 s8, 0
	s_waitcnt vmcnt(0) lgkmcnt(2)
	v_pk_fma_f32 v[12:13], v[32:33], v[20:21], v[12:13] op_sel_hi:[0,1,1] neg_lo:[1,0,0] neg_hi:[1,0,0]
	v_pk_fma_f32 v[10:11], v[32:33], v[22:23], v[10:11] op_sel_hi:[0,1,1] neg_lo:[1,0,0] neg_hi:[1,0,0]
	s_waitcnt lgkmcnt(1)
	v_pk_fma_f32 v[8:9], v[32:33], v[24:25], v[8:9] op_sel_hi:[0,1,1] neg_lo:[1,0,0] neg_hi:[1,0,0]
	v_pk_fma_f32 v[6:7], v[32:33], v[26:27], v[6:7] op_sel_hi:[0,1,1] neg_lo:[1,0,0] neg_hi:[1,0,0]
	s_waitcnt lgkmcnt(0)
	v_pk_fma_f32 v[4:5], v[32:33], v[28:29], v[4:5] op_sel_hi:[0,1,1] neg_lo:[1,0,0] neg_hi:[1,0,0]
	v_pk_fma_f32 v[2:3], v[32:33], v[30:31], v[2:3] op_sel_hi:[0,1,1] neg_lo:[1,0,0] neg_hi:[1,0,0]
	s_cbranch_scc1 .LBB19_52
.LBB19_53:
	s_mul_i32 s8, s6, 0x44
	v_mov_b32_e32 v50, s8
	ds_read_b128 v[18:21], v50
	ds_read_b128 v[22:25], v50 offset:16
	ds_read2_b32 v[30:31], v50 offset0:17 offset1:18
	ds_read_b128 v[26:29], v50 offset:32
	s_lshl_b32 s8, s6, 4
	s_waitcnt lgkmcnt(3)
	v_mul_f32_e32 v18, v12, v18
	s_add_i32 s8, s6, s8
	v_fma_f32 v12, -v18, v19, v13
	s_lshl_b32 s8, s8, 2
	v_fma_f32 v10, -v18, v20, v10
	s_waitcnt lgkmcnt(1)
	v_mul_f32_e32 v19, v12, v30
	v_mov_b32_e32 v51, s8
	v_fma_f32 v20, -v19, v31, v10
	v_fma_f32 v21, -v18, v21, v11
	ds_read2_b32 v[30:31], v51 offset0:19 offset1:20
	ds_read2_b64 v[10:13], v50 offset0:17 offset1:18
	ds_read2_b32 v[32:33], v50 offset0:51 offset1:52
	ds_read2_b32 v[34:35], v51 offset0:21 offset1:22
	;; [unrolled: 1-line block ×4, first 2 shown]
	s_waitcnt lgkmcnt(5)
	v_fma_f32 v21, -v19, v30, v21
	s_waitcnt lgkmcnt(4)
	v_mul_f32_e32 v20, v20, v10
	v_fma_f32 v8, -v18, v22, v8
	v_fma_f32 v10, -v20, v11, v21
	;; [unrolled: 1-line block ×3, first 2 shown]
	s_waitcnt lgkmcnt(3)
	v_mul_f32_e32 v21, v10, v32
	v_fma_f32 v8, -v20, v12, v8
	v_fma_f32 v30, -v21, v33, v8
	;; [unrolled: 1-line block ×3, first 2 shown]
	global_store_dwordx4 v[0:1], v[18:21], off
	s_waitcnt lgkmcnt(2)
	v_fma_f32 v8, -v19, v34, v8
	v_fma_f32 v31, -v20, v13, v8
	ds_read2_b32 v[12:13], v51 offset0:53 offset1:54
	ds_read_b128 v[8:11], v50 offset:272
	ds_read2_b32 v[22:23], v50 offset0:85 offset1:86
	ds_read2_b32 v[40:41], v51 offset0:55 offset1:56
	;; [unrolled: 1-line block ×3, first 2 shown]
	ds_read_b64 v[44:45], v51 offset:168
	s_waitcnt lgkmcnt(5)
	v_fma_f32 v12, -v21, v12, v31
	s_waitcnt lgkmcnt(4)
	v_mul_f32_e32 v8, v30, v8
	ds_read2_b64 v[30:33], v51 offset0:19 offset1:20
	ds_read_b32 v52, v51 offset:108
	v_fma_f32 v6, -v18, v24, v6
	v_fma_f32 v6, -v19, v35, v6
	;; [unrolled: 1-line block ×3, first 2 shown]
	s_waitcnt lgkmcnt(1)
	v_fma_f32 v6, -v20, v30, v6
	v_fma_f32 v6, -v21, v13, v6
	v_mul_f32_e32 v9, v9, v22
	v_fma_f32 v6, -v8, v10, v6
	v_fma_f32 v10, -v9, v23, v6
	;; [unrolled: 1-line block ×4, first 2 shown]
	ds_read2_b32 v[12:13], v50 offset0:102 offset1:119
	v_fma_f32 v22, -v20, v31, v6
	ds_read2_b32 v[6:7], v51 offset0:87 offset1:88
	v_fma_f32 v22, -v21, v40, v22
	v_fma_f32 v11, -v8, v11, v22
	ds_read_b128 v[22:25], v51 offset:288
	ds_read2_b32 v[30:31], v51 offset0:103 offset1:104
	v_fma_f32 v4, -v18, v26, v4
	v_fma_f32 v4, -v19, v37, v4
	ds_read2_b32 v[46:47], v51 offset0:105 offset1:106
	ds_read2_b32 v[48:49], v51 offset0:89 offset1:90
	v_fma_f32 v4, -v20, v32, v4
	ds_read_b128 v[34:37], v51 offset:480
	s_waitcnt lgkmcnt(6)
	v_mul_f32_e32 v10, v10, v12
	v_fma_f32 v4, -v21, v41, v4
	ds_read_b32 v12, v50 offset:544
	v_fma_f32 v5, -v18, v27, v5
	s_waitcnt lgkmcnt(6)
	v_fma_f32 v6, -v9, v6, v11
	s_waitcnt lgkmcnt(5)
	v_fma_f32 v4, -v8, v22, v4
	v_fma_f32 v5, -v19, v38, v5
	;; [unrolled: 1-line block ×3, first 2 shown]
	s_waitcnt lgkmcnt(4)
	v_fma_f32 v6, -v10, v30, v6
	v_fma_f32 v4, -v9, v7, v4
	s_or_b32 s8, s6, 9
	v_fma_f32 v5, -v20, v33, v5
	v_fma_f32 v2, -v19, v39, v2
	v_mul_f32_e32 v11, v6, v13
	v_fma_f32 v4, -v10, v31, v4
	ds_read2_b32 v[6:7], v51 offset0:137 offset1:138
	v_fma_f32 v5, -v21, v42, v5
	s_mul_i32 s9, s8, 0x44
	v_fma_f32 v2, -v20, v44, v2
	s_waitcnt lgkmcnt(2)
	v_fma_f32 v4, -v11, v34, v4
	v_fma_f32 v5, -v8, v23, v5
	v_mov_b32_e32 v13, s9
	v_fma_f32 v2, -v21, v43, v2
	v_fma_f32 v5, -v9, v48, v5
	s_waitcnt lgkmcnt(1)
	v_mul_f32_e32 v4, v4, v12
	ds_read2_b32 v[12:13], v13 offset1:1
	s_lshl_b32 s8, s8, 4
	v_fma_f32 v2, -v8, v24, v2
	v_fma_f32 v5, -v10, v46, v5
	s_or_b32 s9, s6, 10
	s_add_i32 s8, s6, s8
	v_fma_f32 v2, -v9, v49, v2
	v_fma_f32 v5, -v11, v35, v5
	s_lshl_b32 s8, s8, 2
	s_mulk_i32 s9, 0x44
	s_mulk_i32 s7, 0x44
	v_fma_f32 v2, -v10, v47, v2
	global_store_dwordx4 v[0:1], v[8:11], off offset:16
	s_waitcnt lgkmcnt(1)
	v_fma_f32 v5, -v4, v6, v5
	v_mov_b32_e32 v6, s9
	v_mov_b32_e32 v26, s8
	;; [unrolled: 1-line block ×3, first 2 shown]
	v_fma_f32 v2, -v11, v36, v2
	ds_read_b64 v[22:23], v6
	ds_read_b32 v26, v26 offset:44
	ds_read_b32 v27, v27
	v_fma_f32 v2, -v4, v7, v2
	ds_read2_b32 v[6:7], v51 offset0:59 offset1:91
	s_waitcnt lgkmcnt(4)
	v_mul_f32_e32 v5, v5, v12
	v_fma_f32 v12, -v5, v13, v2
	v_fma_f32 v2, -v18, v29, v3
	;; [unrolled: 1-line block ×3, first 2 shown]
	ds_read2_b32 v[2:3], v51 offset0:107 offset1:139
	v_fma_f32 v13, -v20, v45, v13
	s_waitcnt lgkmcnt(1)
	v_fma_f32 v6, -v21, v6, v13
	v_fma_f32 v6, -v8, v25, v6
	v_fma_f32 v6, -v9, v7, v6
	s_waitcnt lgkmcnt(0)
	v_fma_f32 v2, -v10, v2, v6
	v_fma_f32 v2, -v11, v37, v2
	;; [unrolled: 1-line block ×4, first 2 shown]
	v_mul_f32_e32 v6, v12, v22
	v_fma_f32 v2, -v6, v23, v2
	v_mul_f32_e32 v7, v2, v27
	s_or_b32 s6, s6, 12
	global_store_dwordx4 v[0:1], v[4:7], off offset:32
.LBB19_54:
	s_cmp_ge_i32 s6, s18
	s_cbranch_scc1 .LBB19_65
; %bb.55:
	s_add_i32 s8, s6, -1
	s_lshl_b32 s9, s6, 2
	s_add_u32 s2, s2, s4
	s_addc_u32 s3, s3, s5
	s_add_u32 s0, s2, s0
	s_addc_u32 s1, s3, s1
	v_mov_b32_e32 v0, s1
	v_add_co_u32_e32 v1, vcc, s0, v16
	v_addc_co_u32_e32 v8, vcc, v0, v17, vcc
	v_add_co_u32_e32 v2, vcc, 28, v1
	v_addc_co_u32_e32 v3, vcc, 0, v8, vcc
	s_mov_b32 s1, 0
	s_mov_b32 s3, s6
	;; [unrolled: 1-line block ×3, first 2 shown]
	s_branch .LBB19_57
.LBB19_56:                              ;   in Loop: Header=BB19_57 Depth=1
	s_mul_i32 s0, s6, 0x44
	v_mov_b32_e32 v6, s0
	ds_read_b32 v6, v6
	s_add_i32 s6, s6, 1
	s_add_i32 s2, s2, 1
	;; [unrolled: 1-line block ×3, first 2 shown]
	v_add_u16_e64 v7, s3, 1
	s_waitcnt lgkmcnt(0)
	v_mul_f32_e32 v0, v0, v6
	s_cmp_ge_i32 s6, s18
	v_readfirstlane_b32 s3, v7
	global_store_dword v[4:5], v0, off
	s_cbranch_scc1 .LBB19_65
.LBB19_57:                              ; =>This Loop Header: Depth=1
                                        ;     Child Loop BB19_60 Depth 2
                                        ;     Child Loop BB19_64 Depth 2
	s_ashr_i32 s7, s6, 31
	s_lshl_b64 s[4:5], s[6:7], 2
	v_mov_b32_e32 v0, s5
	v_add_co_u32_e32 v4, vcc, s4, v14
	v_addc_co_u32_e32 v5, vcc, v15, v0, vcc
	global_load_dword v0, v[4:5], off
	s_cmp_eq_u32 s6, 0
	s_waitcnt vmcnt(0)
	v_mul_f32_e32 v0, s16, v0
	s_cbranch_scc1 .LBB19_56
; %bb.58:                               ;   in Loop: Header=BB19_57 Depth=1
	s_add_i32 s0, s8, s2
	s_cmp_lt_u32 s0, 7
	s_cbranch_scc1 .LBB19_62
; %bb.59:                               ;   in Loop: Header=BB19_57 Depth=1
	s_and_b32 s0, s6, -8
	s_mov_b32 s4, 0
	v_pk_mov_b32 v[6:7], v[2:3], v[2:3] op_sel:[0,1]
	s_mov_b32 s5, s9
.LBB19_60:                              ;   Parent Loop BB19_57 Depth=1
                                        ; =>  This Inner Loop Header: Depth=2
	global_load_dwordx4 v[10:13], v[6:7], off offset:-28
	global_load_dwordx4 v[16:19], v[6:7], off offset:-12
	v_mov_b32_e32 v9, s5
	ds_read2_b32 v[20:21], v9 offset1:16
	ds_read2_b32 v[22:23], v9 offset0:32 offset1:48
	ds_read2_b32 v[24:25], v9 offset0:64 offset1:80
	;; [unrolled: 1-line block ×3, first 2 shown]
	s_add_i32 s4, s4, 8
	s_addk_i32 s5, 0x200
	v_add_co_u32_e32 v6, vcc, 32, v6
	v_addc_co_u32_e32 v7, vcc, 0, v7, vcc
	s_cmp_lg_u32 s0, s4
	s_waitcnt vmcnt(1) lgkmcnt(3)
	v_fma_f32 v0, -v10, v20, v0
	v_fma_f32 v0, -v11, v21, v0
	s_waitcnt lgkmcnt(2)
	v_fma_f32 v0, -v12, v22, v0
	v_fma_f32 v0, -v13, v23, v0
	s_waitcnt vmcnt(0) lgkmcnt(1)
	v_fma_f32 v0, -v16, v24, v0
	v_fma_f32 v0, -v17, v25, v0
	s_waitcnt lgkmcnt(0)
	v_fma_f32 v0, -v18, v26, v0
	v_fma_f32 v0, -v19, v27, v0
	s_cbranch_scc1 .LBB19_60
; %bb.61:                               ;   in Loop: Header=BB19_57 Depth=1
	s_and_b32 s4, s6, 7
	s_cmp_eq_u32 s4, 0
	s_cbranch_scc0 .LBB19_63
	s_branch .LBB19_56
.LBB19_62:                              ;   in Loop: Header=BB19_57 Depth=1
	s_mov_b32 s0, 0
	s_and_b32 s4, s6, 7
	s_cmp_eq_u32 s4, 0
	s_cbranch_scc1 .LBB19_56
.LBB19_63:                              ;   in Loop: Header=BB19_57 Depth=1
	s_lshl_b64 s[10:11], s[0:1], 2
	v_mov_b32_e32 v7, s11
	v_add_co_u32_e32 v6, vcc, s10, v1
	s_and_b32 s4, s3, 7
	s_lshl_b32 s5, s0, 6
	v_addc_co_u32_e32 v7, vcc, v8, v7, vcc
.LBB19_64:                              ;   Parent Loop BB19_57 Depth=1
                                        ; =>  This Inner Loop Header: Depth=2
	global_load_dword v9, v[6:7], off
	s_add_i32 s0, s9, s5
	v_mov_b32_e32 v10, s0
	ds_read_b32 v10, v10
	s_add_i32 s5, s5, 64
	v_add_co_u32_e32 v6, vcc, 4, v6
	s_add_i32 s4, s4, -1
	v_addc_co_u32_e32 v7, vcc, 0, v7, vcc
	s_cmp_lg_u32 s4, 0
	s_waitcnt vmcnt(0) lgkmcnt(0)
	v_fma_f32 v0, -v9, v10, v0
	s_cbranch_scc1 .LBB19_64
	s_branch .LBB19_56
.LBB19_65:
	s_endpgm
	.section	.rodata,"a",@progbits
	.p2align	6, 0x0
	.amdhsa_kernel _ZL30rocblas_trsm_small_left_deviceILi16ELi16ELb1EffPKfPfEv13rocblas_fill_18rocblas_operation_17rocblas_diagonal_iiT3_T4_lilT5_lili
		.amdhsa_group_segment_fixed_size 1024
		.amdhsa_private_segment_fixed_size 0
		.amdhsa_kernarg_size 352
		.amdhsa_user_sgpr_count 6
		.amdhsa_user_sgpr_private_segment_buffer 1
		.amdhsa_user_sgpr_dispatch_ptr 0
		.amdhsa_user_sgpr_queue_ptr 0
		.amdhsa_user_sgpr_kernarg_segment_ptr 1
		.amdhsa_user_sgpr_dispatch_id 0
		.amdhsa_user_sgpr_flat_scratch_init 0
		.amdhsa_user_sgpr_kernarg_preload_length 0
		.amdhsa_user_sgpr_kernarg_preload_offset 0
		.amdhsa_user_sgpr_private_segment_size 0
		.amdhsa_uses_dynamic_stack 0
		.amdhsa_system_sgpr_private_segment_wavefront_offset 0
		.amdhsa_system_sgpr_workgroup_id_x 1
		.amdhsa_system_sgpr_workgroup_id_y 0
		.amdhsa_system_sgpr_workgroup_id_z 1
		.amdhsa_system_sgpr_workgroup_info 0
		.amdhsa_system_vgpr_workitem_id 0
		.amdhsa_next_free_vgpr 67
		.amdhsa_next_free_sgpr 43
		.amdhsa_accum_offset 68
		.amdhsa_reserve_vcc 1
		.amdhsa_reserve_flat_scratch 0
		.amdhsa_float_round_mode_32 0
		.amdhsa_float_round_mode_16_64 0
		.amdhsa_float_denorm_mode_32 3
		.amdhsa_float_denorm_mode_16_64 3
		.amdhsa_dx10_clamp 1
		.amdhsa_ieee_mode 1
		.amdhsa_fp16_overflow 0
		.amdhsa_tg_split 0
		.amdhsa_exception_fp_ieee_invalid_op 0
		.amdhsa_exception_fp_denorm_src 0
		.amdhsa_exception_fp_ieee_div_zero 0
		.amdhsa_exception_fp_ieee_overflow 0
		.amdhsa_exception_fp_ieee_underflow 0
		.amdhsa_exception_fp_ieee_inexact 0
		.amdhsa_exception_int_div_zero 0
	.end_amdhsa_kernel
	.section	.text._ZL30rocblas_trsm_small_left_deviceILi16ELi16ELb1EffPKfPfEv13rocblas_fill_18rocblas_operation_17rocblas_diagonal_iiT3_T4_lilT5_lili,"axG",@progbits,_ZL30rocblas_trsm_small_left_deviceILi16ELi16ELb1EffPKfPfEv13rocblas_fill_18rocblas_operation_17rocblas_diagonal_iiT3_T4_lilT5_lili,comdat
.Lfunc_end19:
	.size	_ZL30rocblas_trsm_small_left_deviceILi16ELi16ELb1EffPKfPfEv13rocblas_fill_18rocblas_operation_17rocblas_diagonal_iiT3_T4_lilT5_lili, .Lfunc_end19-_ZL30rocblas_trsm_small_left_deviceILi16ELi16ELb1EffPKfPfEv13rocblas_fill_18rocblas_operation_17rocblas_diagonal_iiT3_T4_lilT5_lili
                                        ; -- End function
	.section	.AMDGPU.csdata,"",@progbits
; Kernel info:
; codeLenInByte = 11344
; NumSgprs: 47
; NumVgprs: 67
; NumAgprs: 0
; TotalNumVgprs: 67
; ScratchSize: 0
; MemoryBound: 0
; FloatMode: 240
; IeeeMode: 1
; LDSByteSize: 1024 bytes/workgroup (compile time only)
; SGPRBlocks: 5
; VGPRBlocks: 8
; NumSGPRsForWavesPerEU: 47
; NumVGPRsForWavesPerEU: 67
; AccumOffset: 68
; Occupancy: 7
; WaveLimiterHint : 0
; COMPUTE_PGM_RSRC2:SCRATCH_EN: 0
; COMPUTE_PGM_RSRC2:USER_SGPR: 6
; COMPUTE_PGM_RSRC2:TRAP_HANDLER: 0
; COMPUTE_PGM_RSRC2:TGID_X_EN: 1
; COMPUTE_PGM_RSRC2:TGID_Y_EN: 0
; COMPUTE_PGM_RSRC2:TGID_Z_EN: 1
; COMPUTE_PGM_RSRC2:TIDIG_COMP_CNT: 0
; COMPUTE_PGM_RSRC3_GFX90A:ACCUM_OFFSET: 16
; COMPUTE_PGM_RSRC3_GFX90A:TG_SPLIT: 0
	.section	.text._ZL31rocblas_trsm_small_right_deviceIffPKfPfLi16EEv13rocblas_fill_18rocblas_operation_17rocblas_diagonal_iiT0_T1_lilT2_lili,"axG",@progbits,_ZL31rocblas_trsm_small_right_deviceIffPKfPfLi16EEv13rocblas_fill_18rocblas_operation_17rocblas_diagonal_iiT0_T1_lilT2_lili,comdat
	.globl	_ZL31rocblas_trsm_small_right_deviceIffPKfPfLi16EEv13rocblas_fill_18rocblas_operation_17rocblas_diagonal_iiT0_T1_lilT2_lili ; -- Begin function _ZL31rocblas_trsm_small_right_deviceIffPKfPfLi16EEv13rocblas_fill_18rocblas_operation_17rocblas_diagonal_iiT0_T1_lilT2_lili
	.p2align	8
	.type	_ZL31rocblas_trsm_small_right_deviceIffPKfPfLi16EEv13rocblas_fill_18rocblas_operation_17rocblas_diagonal_iiT0_T1_lilT2_lili,@function
_ZL31rocblas_trsm_small_right_deviceIffPKfPfLi16EEv13rocblas_fill_18rocblas_operation_17rocblas_diagonal_iiT0_T1_lilT2_lili: ; @_ZL31rocblas_trsm_small_right_deviceIffPKfPfLi16EEv13rocblas_fill_18rocblas_operation_17rocblas_diagonal_iiT0_T1_lilT2_lili
; %bb.0:
	s_load_dwordx4 s[12:15], s[4:5], 0x0
	s_load_dwordx2 s[20:21], s[4:5], 0x10
	s_load_dwordx4 s[8:11], s[4:5], 0x30
	s_load_dwordx2 s[2:3], s[4:5], 0x40
	s_mov_b32 s0, s7
	s_mov_b32 s28, 0
	s_waitcnt lgkmcnt(0)
	s_min_i32 s1, s20, 16
	v_cmp_gt_i32_e32 vcc, s1, v0
	s_and_saveexec_b64 s[22:23], vcc
	s_cbranch_execz .LBB20_14
; %bb.1:
	s_load_dword s24, s[4:5], 0x28
	s_load_dwordx4 s[16:19], s[4:5], 0x18
	s_cmp_gt_u32 s1, 1
	s_cselect_b64 s[26:27], -1, 0
	s_mov_b32 s7, 1
	s_waitcnt lgkmcnt(0)
	s_cmp_eq_u32 s24, 1
	s_cselect_b64 s[30:31], -1, 0
	s_and_b64 s[30:31], s[26:27], s[30:31]
	s_mov_b64 s[26:27], -1
	s_and_b64 vcc, exec, s[30:31]
	s_cbranch_vccz .LBB20_9
; %bb.2:
	s_add_i32 s26, s1, -2
	s_lshr_b32 s27, s26, 1
	s_add_i32 s27, s27, 1
	s_mov_b32 s25, 0
	s_cmp_lt_u32 s26, 14
	s_mov_b32 s26, s25
	s_cbranch_scc1 .LBB20_5
; %bb.3:
	s_mul_i32 s7, s9, s0
	s_mul_hi_u32 s25, s8, s0
	s_add_i32 s31, s25, s7
	s_mul_i32 s30, s8, s0
	s_and_b32 s28, s27, -8
	s_lshl_b64 s[30:31], s[30:31], 2
	s_lshl_b64 s[34:35], s[18:19], 2
	s_add_u32 s7, s30, s34
	s_addc_u32 s25, s31, s35
	s_add_u32 s7, s16, s7
	v_lshlrev_b32_e32 v1, 2, v0
	s_addc_u32 s25, s17, s25
	v_mov_b32_e32 v2, s25
	v_add_co_u32_e32 v1, vcc, s7, v1
	v_addc_co_u32_e32 v3, vcc, 0, v2, vcc
	v_add_co_u32_e32 v2, vcc, 56, v1
	v_addc_co_u32_e32 v3, vcc, 0, v3, vcc
	s_mov_b32 s7, 1
	s_mov_b32 s26, 0
	;; [unrolled: 1-line block ×3, first 2 shown]
.LBB20_4:                               ; =>This Inner Loop Header: Depth=1
	global_load_dwordx4 v[4:7], v[2:3], off offset:-56
	global_load_dwordx4 v[8:11], v[2:3], off offset:-40
	;; [unrolled: 1-line block ×4, first 2 shown]
	s_lshl_b32 s29, s25, 4
	s_lshl_b32 s30, s7, 4
	s_add_i32 s26, s26, 16
	s_add_i32 s7, s7, 16
	;; [unrolled: 1-line block ×3, first 2 shown]
	s_add_i32 s28, s28, -8
	v_add_co_u32_e32 v2, vcc, 64, v2
	v_or_b32_e32 v1, s30, v0
	v_or_b32_e32 v20, s29, v0
	s_add_i32 s31, s29, 32
	s_add_i32 s33, s30, 32
	;; [unrolled: 1-line block ×12, first 2 shown]
	s_addk_i32 s29, 0xe0
	s_addk_i32 s30, 0xe0
	v_addc_co_u32_e32 v3, vcc, 0, v3, vcc
	v_lshlrev_b32_e32 v20, 2, v20
	v_or_b32_e32 v21, s33, v0
	v_or_b32_e32 v22, s31, v0
	v_or_b32_e32 v23, s35, v0
	v_or_b32_e32 v24, s34, v0
	v_or_b32_e32 v25, s37, v0
	v_or_b32_e32 v26, s36, v0
	v_or_b32_e32 v27, s39, v0
	v_or_b32_e32 v28, s38, v0
	v_or_b32_e32 v29, s41, v0
	v_or_b32_e32 v30, s40, v0
	v_or_b32_e32 v31, s43, v0
	v_or_b32_e32 v32, s42, v0
	v_or_b32_e32 v33, s30, v0
	v_or_b32_e32 v34, s29, v0
	s_cmp_lg_u32 s28, 0
	v_lshlrev_b32_e32 v1, 2, v1
	v_lshlrev_b32_e32 v22, 2, v22
	;; [unrolled: 1-line block ×15, first 2 shown]
	s_waitcnt vmcnt(3)
	ds_write_b32 v20, v4
	ds_write_b32 v1, v5
	ds_write_b32 v22, v6
	ds_write_b32 v21, v7
	s_waitcnt vmcnt(2)
	ds_write_b32 v24, v8
	ds_write_b32 v23, v9
	ds_write_b32 v26, v10
	ds_write_b32 v25, v11
	;; [unrolled: 5-line block ×4, first 2 shown]
	s_cbranch_scc1 .LBB20_4
.LBB20_5:
	s_and_b32 s28, s27, 7
	s_cmp_eq_u32 s28, 0
	s_mov_b32 s27, 0
	s_cbranch_scc1 .LBB20_8
; %bb.6:
	s_mul_i32 s29, s9, s0
	s_mul_hi_u32 s30, s8, s0
	s_add_i32 s31, s30, s29
	s_mul_i32 s30, s8, s0
	s_lshl_b64 s[30:31], s[30:31], 2
	s_lshl_b64 s[34:35], s[18:19], 2
	s_add_u32 s29, s30, s34
	s_addc_u32 s30, s31, s35
	s_lshl_b64 s[26:27], s[26:27], 2
	s_add_u32 s26, s16, s26
	s_addc_u32 s27, s17, s27
	s_add_u32 s26, s26, s29
	v_lshlrev_b32_e32 v1, 2, v0
	s_addc_u32 s27, s27, s30
	v_mov_b32_e32 v3, s27
	v_add_co_u32_e32 v2, vcc, s26, v1
	v_addc_co_u32_e32 v3, vcc, 0, v3, vcc
	s_lshl_b32 s26, s28, 3
.LBB20_7:                               ; =>This Inner Loop Header: Depth=1
	global_load_dwordx2 v[4:5], v[2:3], off
	v_lshl_or_b32 v6, s25, 6, v1
	v_lshl_or_b32 v7, s7, 6, v1
	s_add_i32 s7, s7, 2
	s_add_i32 s25, s25, 2
	v_add_co_u32_e32 v2, vcc, 8, v2
	s_add_i32 s26, s26, -8
	v_addc_co_u32_e32 v3, vcc, 0, v3, vcc
	s_cmp_lg_u32 s26, 0
	s_waitcnt vmcnt(0)
	ds_write_b32 v6, v4
	ds_write_b32 v7, v5
	s_cbranch_scc1 .LBB20_7
.LBB20_8:
	s_and_b32 s28, s1, -2
	s_cmp_lg_u32 s1, s28
	s_cselect_b64 s[26:27], -1, 0
.LBB20_9:
	s_and_b64 vcc, exec, s[26:27]
	s_cbranch_vccz .LBB20_12
; %bb.10:
	s_ashr_i32 s25, s24, 31
	s_mul_i32 s7, s9, s0
	s_mul_hi_u32 s9, s8, s0
	s_add_i32 s9, s9, s7
	s_mul_hi_u32 s7, s24, s28
	s_mul_i32 s26, s25, s28
	s_mul_i32 s8, s8, s0
	s_add_i32 s27, s7, s26
	s_mul_i32 s26, s24, s28
	s_lshl_b64 s[8:9], s[8:9], 2
	s_lshl_b64 s[26:27], s[26:27], 2
	s_add_u32 s7, s8, s26
	s_addc_u32 s26, s9, s27
	s_lshl_b64 s[8:9], s[18:19], 2
	s_add_u32 s7, s7, s8
	s_addc_u32 s8, s26, s9
	s_add_u32 s7, s16, s7
	v_lshlrev_b32_e32 v1, 2, v0
	s_addc_u32 s8, s17, s8
	v_mov_b32_e32 v3, s8
	v_add_co_u32_e32 v2, vcc, s7, v1
	s_lshl_b64 s[8:9], s[24:25], 2
	v_addc_co_u32_e32 v3, vcc, 0, v3, vcc
	v_lshl_or_b32 v1, s28, 6, v1
	s_sub_i32 s7, s1, s28
	v_mov_b32_e32 v4, s9
.LBB20_11:                              ; =>This Inner Loop Header: Depth=1
	global_load_dword v5, v[2:3], off
	v_add_co_u32_e32 v2, vcc, s8, v2
	s_add_i32 s7, s7, -1
	v_addc_co_u32_e32 v3, vcc, v3, v4, vcc
	s_cmp_eq_u32 s7, 0
	s_waitcnt vmcnt(0)
	ds_write_b32 v1, v5
	v_add_u32_e32 v1, 64, v1
	s_cbranch_scc0 .LBB20_11
.LBB20_12:
	s_cmpk_eq_i32 s14, 0x84
	s_cbranch_scc0 .LBB20_14
; %bb.13:
	v_mul_u32_u24_e32 v1, 17, v0
	v_lshlrev_b32_e32 v1, 2, v1
	v_mov_b32_e32 v2, 1.0
	ds_write_b32 v1, v2
.LBB20_14:
	s_or_b64 exec, exec, s[22:23]
	s_load_dword s7, s[4:5], 0x60
	s_load_dword s8, s[4:5], 0x48
	s_load_dwordx2 s[16:17], s[4:5], 0x50
	s_lshl_b32 s4, s6, 4
	s_sub_i32 s4, s15, s4
	s_waitcnt lgkmcnt(0)
	s_add_i32 s7, s7, -1
	s_cmp_ge_u32 s6, s7
	s_cselect_b32 s9, s4, 16
	s_ashr_i32 s7, s6, 31
	s_lshl_b64 s[4:5], s[6:7], 6
	s_cmp_gt_i32 s20, 0
	v_cmp_gt_i32_e32 vcc, s9, v0
	s_cselect_b64 s[6:7], -1, 0
	s_mov_b32 s23, 0
	s_and_b64 s[6:7], vcc, s[6:7]
	s_and_saveexec_b64 s[14:15], s[6:7]
	s_cbranch_execz .LBB20_26
; %bb.15:
	s_cmp_lt_u32 s20, 2
	s_cselect_b64 s[24:25], -1, 0
	s_cmp_lg_u32 s8, 1
	s_cselect_b64 s[26:27], -1, 0
	s_or_b64 s[24:25], s[24:25], s[26:27]
	s_mov_b32 s9, 1
	s_mov_b64 s[18:19], -1
	s_and_b64 vcc, exec, s[24:25]
	s_cbranch_vccnz .LBB20_23
; %bb.16:
	s_add_i32 s22, s20, -2
	s_lshr_b32 s23, s22, 1
	s_add_i32 s23, s23, 1
	s_mov_b32 s24, 0
	s_mov_b32 s18, s21
	;; [unrolled: 1-line block ×3, first 2 shown]
	s_cmp_lt_u32 s22, 14
	s_mov_b32 s22, s24
	s_cbranch_scc1 .LBB20_19
; %bb.17:
	s_mul_i32 s9, s17, s0
	s_mul_hi_u32 s22, s16, s0
	s_add_i32 s27, s22, s9
	s_mul_i32 s26, s16, s0
	s_and_b32 s25, s23, -8
	s_lshl_b64 s[26:27], s[26:27], 2
	s_add_u32 s9, s26, s4
	s_addc_u32 s22, s27, s5
	s_lshl_b64 s[26:27], s[2:3], 2
	s_add_u32 s9, s9, s26
	s_addc_u32 s22, s22, s27
	s_add_u32 s9, s10, s9
	v_lshlrev_b32_e32 v1, 2, v0
	s_addc_u32 s22, s11, s22
	v_mov_b32_e32 v2, s22
	v_add_co_u32_e32 v1, vcc, s9, v1
	v_addc_co_u32_e32 v3, vcc, 0, v2, vcc
	v_add_co_u32_e32 v2, vcc, 56, v1
	v_addc_co_u32_e32 v3, vcc, 0, v3, vcc
	s_mov_b32 s9, 1
	s_mov_b32 s22, 0
.LBB20_18:                              ; =>This Inner Loop Header: Depth=1
	global_load_dwordx4 v[4:7], v[2:3], off offset:-56
	global_load_dwordx4 v[8:11], v[2:3], off offset:-40
	;; [unrolled: 1-line block ×4, first 2 shown]
	s_lshl_b32 s26, s24, 4
	s_lshl_b32 s27, s9, 4
	s_add_i32 s22, s22, 16
	s_add_i32 s9, s9, 16
	;; [unrolled: 1-line block ×3, first 2 shown]
	s_add_i32 s25, s25, -8
	v_add_co_u32_e32 v2, vcc, 64, v2
	v_or_b32_e32 v1, s27, v0
	v_or_b32_e32 v20, s26, v0
	s_add_i32 s28, s26, 32
	s_add_i32 s29, s27, 32
	;; [unrolled: 1-line block ×12, first 2 shown]
	s_addk_i32 s26, 0xe0
	s_addk_i32 s27, 0xe0
	v_addc_co_u32_e32 v3, vcc, 0, v3, vcc
	v_lshlrev_b32_e32 v20, 2, v20
	v_or_b32_e32 v21, s29, v0
	v_or_b32_e32 v22, s28, v0
	;; [unrolled: 1-line block ×14, first 2 shown]
	s_cmp_lg_u32 s25, 0
	v_lshlrev_b32_e32 v1, 2, v1
	v_lshlrev_b32_e32 v22, 2, v22
	;; [unrolled: 1-line block ×15, first 2 shown]
	s_waitcnt vmcnt(3)
	v_pk_mul_f32 v[4:5], v[4:5], s[18:19]
	v_pk_mul_f32 v[6:7], v[6:7], s[18:19]
	s_waitcnt vmcnt(2)
	v_pk_mul_f32 v[8:9], v[8:9], s[18:19]
	v_pk_mul_f32 v[10:11], v[10:11], s[18:19]
	s_waitcnt vmcnt(1)
	v_pk_mul_f32 v[12:13], v[12:13], s[18:19]
	v_pk_mul_f32 v[14:15], v[14:15], s[18:19]
	s_waitcnt vmcnt(0)
	v_pk_mul_f32 v[16:17], v[16:17], s[18:19]
	v_pk_mul_f32 v[18:19], v[18:19], s[18:19]
	ds_write_b32 v20, v4 offset:1024
	ds_write_b32 v1, v5 offset:1024
	;; [unrolled: 1-line block ×16, first 2 shown]
	s_cbranch_scc1 .LBB20_18
.LBB20_19:
	s_and_b32 s25, s23, 7
	s_cmp_eq_u32 s25, 0
	s_mov_b32 s23, 0
	s_cbranch_scc1 .LBB20_22
; %bb.20:
	s_mul_i32 s26, s17, s0
	s_mul_hi_u32 s27, s16, s0
	s_add_i32 s27, s27, s26
	s_mul_i32 s26, s16, s0
	s_lshl_b64 s[26:27], s[26:27], 2
	s_add_u32 s28, s26, s4
	s_addc_u32 s29, s27, s5
	s_lshl_b64 s[26:27], s[2:3], 2
	s_add_u32 s26, s28, s26
	s_addc_u32 s27, s29, s27
	;; [unrolled: 3-line block ×3, first 2 shown]
	s_add_u32 s22, s22, s26
	v_lshlrev_b32_e32 v1, 2, v0
	s_addc_u32 s23, s23, s27
	v_mov_b32_e32 v3, s23
	v_add_co_u32_e32 v2, vcc, s22, v1
	v_addc_co_u32_e32 v3, vcc, 0, v3, vcc
.LBB20_21:                              ; =>This Inner Loop Header: Depth=1
	global_load_dwordx2 v[4:5], v[2:3], off
	v_lshl_or_b32 v6, s24, 6, v1
	v_lshl_or_b32 v7, s9, 6, v1
	s_add_i32 s9, s9, 2
	s_add_i32 s24, s24, 2
	v_add_co_u32_e32 v2, vcc, 8, v2
	s_add_i32 s25, s25, -1
	v_addc_co_u32_e32 v3, vcc, 0, v3, vcc
	s_cmp_lg_u32 s25, 0
	s_waitcnt vmcnt(0)
	v_pk_mul_f32 v[4:5], v[4:5], s[18:19]
	ds_write_b32 v6, v4 offset:1024
	ds_write_b32 v7, v5 offset:1024
	s_cbranch_scc1 .LBB20_21
.LBB20_22:
	s_and_b32 s23, s20, 0x7ffffffe
	s_cmp_lg_u32 s23, s20
	s_cselect_b64 s[18:19], -1, 0
.LBB20_23:
	s_and_b64 vcc, exec, s[18:19]
	s_cbranch_vccz .LBB20_26
; %bb.24:
	s_mul_i32 s18, s17, s0
	s_mul_hi_u32 s19, s16, s0
	s_add_i32 s19, s19, s18
	s_mul_i32 s18, s16, s0
	s_mul_hi_i32 s25, s8, s23
	s_mul_i32 s24, s8, s23
	s_ashr_i32 s9, s8, 31
	s_sub_i32 s22, s20, s23
	s_lshl_b64 s[18:19], s[18:19], 2
	s_lshl_b64 s[24:25], s[24:25], 2
	s_add_u32 s18, s18, s24
	v_lshlrev_b32_e32 v2, 2, v0
	s_addc_u32 s19, s19, s25
	v_lshl_or_b32 v1, s23, 6, v2
	s_add_u32 s23, s18, s4
	s_addc_u32 s24, s19, s5
	s_lshl_b64 s[18:19], s[2:3], 2
	s_add_u32 s18, s23, s18
	s_addc_u32 s19, s24, s19
	s_add_u32 s18, s10, s18
	s_addc_u32 s19, s11, s19
	v_mov_b32_e32 v3, s19
	v_add_co_u32_e32 v2, vcc, s18, v2
	s_lshl_b64 s[18:19], s[8:9], 2
	v_add_u32_e32 v1, 0x400, v1
	v_addc_co_u32_e32 v3, vcc, 0, v3, vcc
	v_mov_b32_e32 v4, s19
.LBB20_25:                              ; =>This Inner Loop Header: Depth=1
	global_load_dword v5, v[2:3], off
	s_add_i32 s22, s22, -1
	v_add_co_u32_e32 v2, vcc, s18, v2
	v_addc_co_u32_e32 v3, vcc, v3, v4, vcc
	s_cmp_lg_u32 s22, 0
	s_waitcnt vmcnt(0)
	v_mul_f32_e32 v5, s21, v5
	ds_write_b32 v1, v5
	v_add_u32_e32 v1, 64, v1
	s_cbranch_scc1 .LBB20_25
.LBB20_26:
	s_or_b64 exec, exec, s[14:15]
	s_cmpk_eq_i32 s13, 0x6f
	s_cselect_b64 s[18:19], -1, 0
	s_cmpk_eq_i32 s12, 0x79
	s_cselect_b64 s[22:23], -1, 0
	s_cmpk_lg_i32 s12, 0x79
	s_cselect_b64 s[14:15], -1, 0
	s_and_b64 s[22:23], s[22:23], s[18:19]
	s_andn2_b64 vcc, exec, s[22:23]
	s_mov_b64 s[22:23], -1
	s_waitcnt lgkmcnt(0)
	; wave barrier
	s_waitcnt lgkmcnt(0)
	s_cbranch_vccz .LBB20_101
; %bb.27:
	s_cmpk_lg_i32 s12, 0x7a
	s_cselect_b64 s[12:13], -1, 0
	s_xor_b64 s[18:19], s[18:19], -1
	s_add_i32 s9, s1, -1
	s_or_b64 s[18:19], s[12:13], s[18:19]
	s_cmp_gt_i32 s20, 3
	s_cselect_b64 s[12:13], -1, 0
	s_and_b64 vcc, exec, s[18:19]
	s_cbranch_vccz .LBB20_80
; %bb.28:
	s_andn2_b64 vcc, exec, s[14:15]
	s_mov_b64 s[14:15], -1
	s_cbranch_vccnz .LBB20_53
; %bb.29:
	s_andn2_b64 vcc, exec, s[12:13]
	s_mov_b32 s21, 0
	s_cbranch_vccnz .LBB20_41
; %bb.30:
	v_mov_b32_e32 v1, 0x400
	v_lshl_or_b32 v1, v0, 2, v1
	s_mov_b32 s18, 0
	s_mov_b32 s19, 0
	s_mov_b64 s[14:15], 0
.LBB20_31:                              ; =>This Loop Header: Depth=1
                                        ;     Child Loop BB20_34 Depth 2
                                        ;     Child Loop BB20_38 Depth 2
	s_lshl_b32 s21, s19, 4
	s_lshl_b32 s22, s19, 6
	v_or_b32_e32 v2, s21, v0
	s_or_b32 s21, s21, 16
	v_lshlrev_b32_e32 v6, 2, v2
	v_or_b32_e32 v2, s21, v0
	v_lshl_or_b32 v8, v0, 2, s22
	v_lshlrev_b32_e32 v7, 2, v2
	v_add_u32_e32 v2, 0x400, v8
	ds_read_b32 v4, v6 offset:1024
	ds_read_b32 v5, v7 offset:1024
	ds_read2_b32 v[2:3], v2 offset0:32 offset1:48
	s_cmp_eq_u32 s19, 0
	s_cbranch_scc1 .LBB20_39
; %bb.32:                               ;   in Loop: Header=BB20_31 Depth=1
	s_cmp_lt_u32 s19, 8
	s_cbranch_scc1 .LBB20_36
; %bb.33:                               ;   in Loop: Header=BB20_31 Depth=1
	s_and_b32 s22, s19, -8
	s_mov_b32 s23, 0
	v_mov_b32_e32 v9, v1
	s_mov_b32 s24, s18
.LBB20_34:                              ;   Parent Loop BB20_31 Depth=1
                                        ; =>  This Inner Loop Header: Depth=2
	ds_read2_b32 v[42:43], v9 offset1:16
	v_mov_b32_e32 v38, s24
	ds_read2_b32 v[44:45], v9 offset0:32 offset1:48
	ds_read2_b32 v[46:47], v9 offset0:64 offset1:80
	;; [unrolled: 1-line block ×3, first 2 shown]
	ds_read_b128 v[10:13], v38
	ds_read_b128 v[14:17], v38 offset:64
	ds_read_b128 v[18:21], v38 offset:128
	;; [unrolled: 1-line block ×7, first 2 shown]
	s_add_i32 s23, s23, 8
	s_waitcnt lgkmcnt(11)
	v_mov_b32_e32 v50, v43
	s_waitcnt lgkmcnt(7)
	v_pk_fma_f32 v[4:5], v[42:43], v[10:11], v[4:5] op_sel_hi:[0,1,1] neg_lo:[1,0,0] neg_hi:[1,0,0]
	v_pk_fma_f32 v[2:3], v[42:43], v[12:13], v[2:3] op_sel_hi:[0,1,1] neg_lo:[1,0,0] neg_hi:[1,0,0]
	s_waitcnt lgkmcnt(6)
	v_pk_fma_f32 v[4:5], v[50:51], v[14:15], v[4:5] op_sel_hi:[0,1,1] neg_lo:[1,0,0] neg_hi:[1,0,0]
	v_pk_fma_f32 v[2:3], v[50:51], v[16:17], v[2:3] op_sel_hi:[0,1,1] neg_lo:[1,0,0] neg_hi:[1,0,0]
	v_mov_b32_e32 v52, v45
	s_waitcnt lgkmcnt(5)
	v_pk_fma_f32 v[4:5], v[44:45], v[18:19], v[4:5] op_sel_hi:[0,1,1] neg_lo:[1,0,0] neg_hi:[1,0,0]
	v_pk_fma_f32 v[2:3], v[44:45], v[20:21], v[2:3] op_sel_hi:[0,1,1] neg_lo:[1,0,0] neg_hi:[1,0,0]
	s_waitcnt lgkmcnt(4)
	v_pk_fma_f32 v[4:5], v[52:53], v[22:23], v[4:5] op_sel_hi:[0,1,1] neg_lo:[1,0,0] neg_hi:[1,0,0]
	v_pk_fma_f32 v[2:3], v[52:53], v[24:25], v[2:3] op_sel_hi:[0,1,1] neg_lo:[1,0,0] neg_hi:[1,0,0]
	;; [unrolled: 7-line block ×3, first 2 shown]
	s_addk_i32 s24, 0x200
	v_mov_b32_e32 v56, v49
	s_waitcnt lgkmcnt(1)
	v_pk_fma_f32 v[4:5], v[48:49], v[34:35], v[4:5] op_sel_hi:[0,1,1] neg_lo:[1,0,0] neg_hi:[1,0,0]
	v_pk_fma_f32 v[2:3], v[48:49], v[36:37], v[2:3] op_sel_hi:[0,1,1] neg_lo:[1,0,0] neg_hi:[1,0,0]
	v_add_u32_e32 v9, 0x200, v9
	s_cmp_eq_u32 s22, s23
	s_waitcnt lgkmcnt(0)
	v_pk_fma_f32 v[4:5], v[56:57], v[38:39], v[4:5] op_sel_hi:[0,1,1] neg_lo:[1,0,0] neg_hi:[1,0,0]
	v_pk_fma_f32 v[2:3], v[56:57], v[40:41], v[2:3] op_sel_hi:[0,1,1] neg_lo:[1,0,0] neg_hi:[1,0,0]
	s_cbranch_scc0 .LBB20_34
; %bb.35:                               ;   in Loop: Header=BB20_31 Depth=1
	s_bitcmp0_b32 s19, 2
	s_cbranch_scc0 .LBB20_37
	s_branch .LBB20_39
.LBB20_36:                              ;   in Loop: Header=BB20_31 Depth=1
	s_mov_b32 s22, 0
	s_bitcmp0_b32 s19, 2
	s_cbranch_scc1 .LBB20_39
.LBB20_37:                              ;   in Loop: Header=BB20_31 Depth=1
	v_cndmask_b32_e64 v9, 0, 1, s[14:15]
	v_readfirstlane_b32 s23, v9
	s_lshl_b32 s23, s23, 2
	s_lshl_b32 s22, s22, 6
.LBB20_38:                              ;   Parent Loop BB20_31 Depth=1
                                        ; =>  This Inner Loop Header: Depth=2
	v_add_u32_e32 v9, s22, v1
	s_add_i32 s24, s18, s22
	ds_read_b32 v14, v9
	v_mov_b32_e32 v9, s24
	ds_read_b128 v[10:13], v9
	s_add_i32 s22, s22, 64
	s_add_i32 s23, s23, -1
	s_cmp_lg_u32 s23, 0
	s_waitcnt lgkmcnt(0)
	v_pk_fma_f32 v[4:5], v[14:15], v[10:11], v[4:5] op_sel_hi:[0,1,1] neg_lo:[1,0,0] neg_hi:[1,0,0]
	v_pk_fma_f32 v[2:3], v[14:15], v[12:13], v[2:3] op_sel_hi:[0,1,1] neg_lo:[1,0,0] neg_hi:[1,0,0]
	s_cbranch_scc1 .LBB20_38
.LBB20_39:                              ;   in Loop: Header=BB20_31 Depth=1
	s_mul_i32 s22, s19, 0x44
	v_add_u32_e32 v9, 0x400, v6
	v_add_u32_e32 v10, 0x480, v8
	;; [unrolled: 1-line block ×3, first 2 shown]
	v_mov_b32_e32 v8, s22
	ds_read_b128 v[12:15], v8
	ds_read2_b32 v[16:17], v8 offset0:17 offset1:18
	s_add_i32 s21, s21, s19
	s_lshl_b32 s21, s21, 2
	v_add_u32_e32 v7, 0x400, v7
	s_waitcnt lgkmcnt(1)
	v_div_scale_f32 v11, s[22:23], v12, v12, v4
	v_rcp_f32_e32 v18, v11
	v_div_scale_f32 v19, vcc, v4, v12, v4
	s_add_i32 s18, s18, 16
	v_fma_f32 v20, -v11, v18, 1.0
	v_fmac_f32_e32 v18, v20, v18
	v_mul_f32_e32 v20, v19, v18
	v_fma_f32 v21, -v11, v20, v19
	v_fmac_f32_e32 v20, v21, v18
	v_fma_f32 v11, -v11, v20, v19
	v_div_fmas_f32 v11, v11, v18, v20
	v_div_fixup_f32 v11, v11, v12, v4
	v_fma_f32 v4, -v11, v13, v5
	s_waitcnt lgkmcnt(0)
	v_div_scale_f32 v5, s[22:23], v16, v16, v4
	v_rcp_f32_e32 v12, v5
	v_fma_f32 v2, -v11, v14, v2
	v_div_scale_f32 v13, vcc, v4, v16, v4
	v_fma_f32 v14, -v5, v12, 1.0
	v_fmac_f32_e32 v12, v14, v12
	v_mul_f32_e32 v14, v13, v12
	v_fma_f32 v18, -v5, v14, v13
	v_fmac_f32_e32 v14, v18, v12
	v_fma_f32 v5, -v5, v14, v13
	v_div_fmas_f32 v5, v5, v12, v14
	v_div_fixup_f32 v12, v5, v16, v4
	ds_read_b64 v[4:5], v8 offset:136
	v_fma_f32 v2, -v12, v17, v2
	v_mov_b32_e32 v16, s21
	ds_read_b32 v16, v16 offset:12
	ds_read_b32 v8, v8 offset:204
	s_waitcnt lgkmcnt(2)
	v_div_scale_f32 v13, s[22:23], v4, v4, v2
	v_rcp_f32_e32 v14, v13
	v_fma_f32 v3, -v11, v15, v3
	s_waitcnt lgkmcnt(1)
	v_fma_f32 v3, -v12, v16, v3
	s_add_i32 s21, s19, 4
	v_fma_f32 v17, -v13, v14, 1.0
	v_fmac_f32_e32 v14, v17, v14
	v_div_scale_f32 v17, vcc, v2, v4, v2
	v_mul_f32_e32 v18, v17, v14
	v_fma_f32 v19, -v13, v18, v17
	v_fmac_f32_e32 v18, v19, v14
	v_fma_f32 v13, -v13, v18, v17
	v_div_fmas_f32 v13, v13, v14, v18
	v_div_fixup_f32 v2, v13, v4, v2
	v_fma_f32 v3, -v2, v5, v3
	s_waitcnt lgkmcnt(0)
	v_div_scale_f32 v4, s[22:23], v8, v8, v3
	v_rcp_f32_e32 v5, v4
	ds_write_b32 v9, v11
	ds_write_b32 v7, v12
	;; [unrolled: 1-line block ×3, first 2 shown]
	s_add_i32 s19, s19, 7
	s_not_b64 s[14:15], s[14:15]
	v_fma_f32 v2, -v4, v5, 1.0
	v_fmac_f32_e32 v5, v2, v5
	v_div_scale_f32 v2, vcc, v3, v8, v3
	v_mul_f32_e32 v7, v2, v5
	v_fma_f32 v9, -v4, v7, v2
	v_fmac_f32_e32 v7, v9, v5
	v_fma_f32 v2, -v4, v7, v2
	v_div_fmas_f32 v2, v2, v5, v7
	v_div_fixup_f32 v2, v2, v8, v3
	s_cmp_ge_i32 s19, s1
	ds_write_b32 v6, v2
	s_cbranch_scc1 .LBB20_41
; %bb.40:                               ;   in Loop: Header=BB20_31 Depth=1
	s_mov_b32 s19, s21
	s_branch .LBB20_31
.LBB20_41:
	s_cmp_ge_i32 s21, s1
	s_cbranch_scc1 .LBB20_52
; %bb.42:
	v_mov_b32_e32 v1, 0x400
	s_add_i32 s14, s21, -1
	v_lshl_or_b32 v1, v0, 2, v1
	s_lshl_b32 s15, s21, 2
	s_mov_b32 s18, 0
	v_lshlrev_b32_e32 v2, 2, v0
	s_mov_b32 s19, s21
	s_branch .LBB20_44
.LBB20_43:                              ;   in Loop: Header=BB20_44 Depth=1
	s_mul_i32 s22, s21, 0x44
	v_mov_b32_e32 v5, s22
	ds_read_b32 v5, v5
	v_add_u32_e32 v4, 0x400, v4
	s_add_i32 s21, s21, 1
	s_add_i32 s18, s18, 1
	;; [unrolled: 1-line block ×3, first 2 shown]
	s_waitcnt lgkmcnt(0)
	v_div_scale_f32 v6, s[22:23], v5, v5, v3
	v_rcp_f32_e32 v7, v6
	v_div_scale_f32 v8, vcc, v3, v5, v3
	s_cmp_ge_i32 s21, s1
	v_fma_f32 v9, -v6, v7, 1.0
	v_fmac_f32_e32 v7, v9, v7
	v_mul_f32_e32 v9, v8, v7
	v_fma_f32 v10, -v6, v9, v8
	v_fmac_f32_e32 v9, v10, v7
	v_fma_f32 v6, -v6, v9, v8
	v_div_fmas_f32 v6, v6, v7, v9
	v_div_fixup_f32 v3, v6, v5, v3
	ds_write_b32 v4, v3
	v_add_u16_e64 v3, s19, 1
	v_readfirstlane_b32 s19, v3
	s_cbranch_scc1 .LBB20_52
.LBB20_44:                              ; =>This Loop Header: Depth=1
                                        ;     Child Loop BB20_47 Depth 2
                                        ;     Child Loop BB20_51 Depth 2
	v_lshl_or_b32 v4, s21, 6, v2
	ds_read_b32 v3, v4 offset:1024
	s_cmp_eq_u32 s21, 0
	s_cbranch_scc1 .LBB20_43
; %bb.45:                               ;   in Loop: Header=BB20_44 Depth=1
	s_add_i32 s22, s14, s18
	s_cmp_lt_u32 s22, 7
	s_cbranch_scc1 .LBB20_49
; %bb.46:                               ;   in Loop: Header=BB20_44 Depth=1
	s_and_b32 s22, s21, -8
	s_mov_b32 s23, 0
	s_mov_b32 s24, s15
	v_mov_b32_e32 v5, v1
.LBB20_47:                              ;   Parent Loop BB20_44 Depth=1
                                        ; =>  This Inner Loop Header: Depth=2
	ds_read2_b32 v[6:7], v5 offset1:16
	v_mov_b32_e32 v20, s24
	ds_read2_b32 v[8:9], v5 offset0:32 offset1:48
	ds_read2_b32 v[10:11], v5 offset0:64 offset1:80
	;; [unrolled: 1-line block ×3, first 2 shown]
	ds_read2_b32 v[14:15], v20 offset1:16
	ds_read2_b32 v[16:17], v20 offset0:32 offset1:48
	ds_read2_b32 v[18:19], v20 offset0:64 offset1:80
	ds_read2_b32 v[20:21], v20 offset0:96 offset1:112
	s_add_i32 s23, s23, 8
	s_waitcnt lgkmcnt(3)
	v_fma_f32 v3, -v6, v14, v3
	v_fma_f32 v3, -v7, v15, v3
	s_waitcnt lgkmcnt(2)
	v_fma_f32 v3, -v8, v16, v3
	v_fma_f32 v3, -v9, v17, v3
	s_waitcnt lgkmcnt(1)
	v_fma_f32 v3, -v10, v18, v3
	v_fma_f32 v3, -v11, v19, v3
	s_addk_i32 s24, 0x200
	s_waitcnt lgkmcnt(0)
	v_fma_f32 v3, -v12, v20, v3
	v_add_u32_e32 v5, 0x200, v5
	s_cmp_eq_u32 s22, s23
	v_fma_f32 v3, -v13, v21, v3
	s_cbranch_scc0 .LBB20_47
; %bb.48:                               ;   in Loop: Header=BB20_44 Depth=1
	s_and_b32 s23, s21, 7
	s_cmp_eq_u32 s23, 0
	s_cbranch_scc0 .LBB20_50
	s_branch .LBB20_43
.LBB20_49:                              ;   in Loop: Header=BB20_44 Depth=1
	s_mov_b32 s22, 0
	s_and_b32 s23, s21, 7
	s_cmp_eq_u32 s23, 0
	s_cbranch_scc1 .LBB20_43
.LBB20_50:                              ;   in Loop: Header=BB20_44 Depth=1
	s_and_b32 s23, s19, 7
	s_lshl_b32 s22, s22, 6
.LBB20_51:                              ;   Parent Loop BB20_44 Depth=1
                                        ; =>  This Inner Loop Header: Depth=2
	s_add_i32 s24, s15, s22
	v_add_u32_e32 v5, s22, v1
	v_mov_b32_e32 v6, s24
	ds_read_b32 v5, v5
	ds_read_b32 v6, v6
	s_add_i32 s22, s22, 64
	s_add_i32 s23, s23, -1
	s_cmp_lg_u32 s23, 0
	s_waitcnt lgkmcnt(0)
	v_fma_f32 v3, -v5, v6, v3
	s_cbranch_scc1 .LBB20_51
	s_branch .LBB20_43
.LBB20_52:
	s_mov_b64 s[14:15], 0
.LBB20_53:
	s_and_b64 vcc, exec, s[14:15]
	s_cbranch_vccz .LBB20_79
; %bb.54:
	s_andn2_b64 vcc, exec, s[12:13]
	s_mov_b32 s23, s9
	s_cbranch_vccnz .LBB20_66
; %bb.55:
	s_mul_i32 s14, s1, 0x44
	v_lshlrev_b32_e32 v1, 2, v0
	s_add_i32 s18, s14, 0xffffffb0
	v_lshl_or_b32 v2, s1, 6, v1
	s_lshl_b32 s14, s1, 2
	v_add_u32_e32 v6, 0x3c0, v2
	v_or_b32_e32 v7, 0x240, v1
	s_add_i32 s19, s14, 0xfffffe30
	s_mov_b32 s21, 0
	s_mov_b64 s[14:15], 0
	s_mov_b32 s22, s9
.LBB20_56:                              ; =>This Loop Header: Depth=1
                                        ;     Child Loop BB20_59 Depth 2
                                        ;     Child Loop BB20_63 Depth 2
	s_lshl_b32 s25, s22, 4
	s_add_i32 s27, s22, -1
	v_or_b32_e32 v2, s25, v0
	s_lshl_b32 s26, s27, 4
	v_lshlrev_b32_e32 v8, 2, v2
	v_or_b32_e32 v2, s26, v0
	s_sub_i32 s23, s25, 32
	v_lshlrev_b32_e32 v9, 2, v2
	v_or_b32_e32 v2, s23, v0
	s_add_i32 s24, s22, -3
	v_lshlrev_b32_e32 v10, 2, v2
	v_lshl_or_b32 v11, s24, 6, v1
	ds_read_b32 v5, v8 offset:1024
	ds_read_b32 v4, v9 offset:1024
	ds_read_b32 v3, v10 offset:1024
	ds_read_b32 v2, v11 offset:1024
	s_cmp_le_i32 s9, s22
	s_cbranch_scc1 .LBB20_64
; %bb.57:                               ;   in Loop: Header=BB20_56 Depth=1
	s_lshl_b32 s29, s21, 2
	s_bitcmp0_b32 s29, 2
	s_cbranch_scc1 .LBB20_61
; %bb.58:                               ;   in Loop: Header=BB20_56 Depth=1
	v_cndmask_b32_e64 v12, 0, 1, s[14:15]
	v_readfirstlane_b32 s28, v12
	s_lshl_b32 s30, s28, 2
	v_mov_b32_e32 v12, v6
	s_mov_b32 s31, s18
	s_mov_b32 s28, s9
.LBB20_59:                              ;   Parent Loop BB20_56 Depth=1
                                        ; =>  This Inner Loop Header: Depth=2
	v_mov_b32_e32 v13, s31
	ds_read_b32 v14, v12
	ds_read2_b32 v[16:17], v13 offset0:2 offset1:3
	ds_read2_b32 v[18:19], v13 offset1:1
	s_add_i32 s28, s28, -1
	s_sub_i32 s31, s31, 64
	s_add_i32 s30, s30, -1
	v_subrev_u32_e32 v12, 64, v12
	s_cmp_lg_u32 s30, 0
	s_waitcnt lgkmcnt(1)
	v_pk_fma_f32 v[4:5], v[14:15], v[16:17], v[4:5] op_sel_hi:[0,1,1] neg_lo:[1,0,0] neg_hi:[1,0,0]
	s_waitcnt lgkmcnt(0)
	v_pk_fma_f32 v[2:3], v[14:15], v[18:19], v[2:3] op_sel_hi:[0,1,1] neg_lo:[1,0,0] neg_hi:[1,0,0]
	s_cbranch_scc1 .LBB20_59
; %bb.60:                               ;   in Loop: Header=BB20_56 Depth=1
	s_add_i32 s29, s29, -1
	s_cmp_lt_u32 s29, 7
	s_cbranch_scc0 .LBB20_62
	s_branch .LBB20_64
.LBB20_61:                              ;   in Loop: Header=BB20_56 Depth=1
	s_mov_b32 s28, s9
	s_add_i32 s29, s29, -1
	s_cmp_lt_u32 s29, 7
	s_cbranch_scc1 .LBB20_64
.LBB20_62:                              ;   in Loop: Header=BB20_56 Depth=1
	s_lshl_b32 s29, s28, 6
	v_add_u32_e32 v12, s29, v7
	s_add_i32 s29, s19, s29
.LBB20_63:                              ;   Parent Loop BB20_56 Depth=1
                                        ; =>  This Inner Loop Header: Depth=2
	ds_read2_b32 v[14:15], v12 offset0:96 offset1:112
	ds_read2_b32 v[16:17], v12 offset0:64 offset1:80
	;; [unrolled: 1-line block ×3, first 2 shown]
	ds_read2_b32 v[20:21], v12 offset1:16
	v_mov_b32_e32 v13, s29
	ds_read2_b32 v[22:23], v13 offset0:114 offset1:115
	ds_read2_b32 v[24:25], v13 offset0:112 offset1:113
	;; [unrolled: 1-line block ×15, first 2 shown]
	ds_read2_b32 v[52:53], v13 offset1:1
	s_waitcnt lgkmcnt(14)
	v_mov_b32_e32 v56, v17
	v_mov_b32_e32 v54, v15
	v_pk_fma_f32 v[4:5], v[54:55], v[22:23], v[4:5] op_sel_hi:[0,1,1] neg_lo:[1,0,0] neg_hi:[1,0,0]
	v_pk_fma_f32 v[2:3], v[54:55], v[24:25], v[2:3] op_sel_hi:[0,1,1] neg_lo:[1,0,0] neg_hi:[1,0,0]
	s_waitcnt lgkmcnt(13)
	v_pk_fma_f32 v[4:5], v[14:15], v[26:27], v[4:5] op_sel_hi:[0,1,1] neg_lo:[1,0,0] neg_hi:[1,0,0]
	s_waitcnt lgkmcnt(12)
	;; [unrolled: 2-line block ×4, first 2 shown]
	v_pk_fma_f32 v[2:3], v[56:57], v[32:33], v[2:3] op_sel_hi:[0,1,1] neg_lo:[1,0,0] neg_hi:[1,0,0]
	v_mov_b32_e32 v58, v19
	s_waitcnt lgkmcnt(9)
	v_pk_fma_f32 v[4:5], v[16:17], v[34:35], v[4:5] op_sel_hi:[0,1,1] neg_lo:[1,0,0] neg_hi:[1,0,0]
	s_waitcnt lgkmcnt(8)
	v_pk_fma_f32 v[2:3], v[16:17], v[36:37], v[2:3] op_sel_hi:[0,1,1] neg_lo:[1,0,0] neg_hi:[1,0,0]
	;; [unrolled: 2-line block ×4, first 2 shown]
	v_mov_b32_e32 v60, v21
	s_waitcnt lgkmcnt(5)
	v_pk_fma_f32 v[4:5], v[18:19], v[42:43], v[4:5] op_sel_hi:[0,1,1] neg_lo:[1,0,0] neg_hi:[1,0,0]
	s_waitcnt lgkmcnt(4)
	v_pk_fma_f32 v[2:3], v[18:19], v[44:45], v[2:3] op_sel_hi:[0,1,1] neg_lo:[1,0,0] neg_hi:[1,0,0]
	s_add_i32 s28, s28, -8
	s_addk_i32 s29, 0xfe00
	s_waitcnt lgkmcnt(3)
	v_pk_fma_f32 v[4:5], v[60:61], v[46:47], v[4:5] op_sel_hi:[0,1,1] neg_lo:[1,0,0] neg_hi:[1,0,0]
	s_waitcnt lgkmcnt(2)
	v_pk_fma_f32 v[2:3], v[60:61], v[48:49], v[2:3] op_sel_hi:[0,1,1] neg_lo:[1,0,0] neg_hi:[1,0,0]
	v_add_u32_e32 v12, 0xfffffe00, v12
	s_cmp_le_i32 s28, s22
	s_waitcnt lgkmcnt(1)
	v_pk_fma_f32 v[4:5], v[20:21], v[50:51], v[4:5] op_sel_hi:[0,1,1] neg_lo:[1,0,0] neg_hi:[1,0,0]
	s_waitcnt lgkmcnt(0)
	v_pk_fma_f32 v[2:3], v[20:21], v[52:53], v[2:3] op_sel_hi:[0,1,1] neg_lo:[1,0,0] neg_hi:[1,0,0]
	s_cbranch_scc0 .LBB20_63
.LBB20_64:                              ;   in Loop: Header=BB20_56 Depth=1
	s_add_i32 s27, s25, s27
	s_add_i32 s25, s25, s24
	s_lshl_b32 s25, s25, 2
	s_add_i32 s26, s26, s24
	s_mul_i32 s28, s22, 0x44
	s_lshl_b32 s27, s27, 2
	v_mov_b32_e32 v16, s25
	s_lshl_b32 s25, s26, 2
	v_add_u32_e32 v12, 0x400, v8
	v_add_u32_e32 v8, 0x400, v11
	v_mov_b32_e32 v11, s27
	s_add_i32 s27, s28, 0xffffffbc
	v_mov_b32_e32 v18, s25
	v_mov_b32_e32 v13, s27
	ds_read2_b32 v[14:15], v11 offset1:1
	ds_read_b32 v11, v13
	ds_read2_b32 v[16:17], v16 offset1:1
	ds_read2_b32 v[18:19], v18 offset1:1
	s_add_i32 s23, s23, s24
	s_waitcnt lgkmcnt(3)
	v_div_scale_f32 v13, s[26:27], v15, v15, v5
	v_rcp_f32_e32 v20, v13
	s_lshl_b32 s23, s23, 2
	v_add_u32_e32 v9, 0x400, v9
	v_add_u32_e32 v10, 0x400, v10
	v_fma_f32 v21, -v13, v20, 1.0
	v_fmac_f32_e32 v20, v21, v20
	v_div_scale_f32 v21, vcc, v5, v15, v5
	v_mul_f32_e32 v22, v21, v20
	v_fma_f32 v23, -v13, v22, v21
	v_fmac_f32_e32 v22, v23, v20
	v_fma_f32 v13, -v13, v22, v21
	v_div_fmas_f32 v13, v13, v20, v22
	v_div_fixup_f32 v13, v13, v15, v5
	v_fma_f32 v4, -v13, v14, v4
	s_waitcnt lgkmcnt(2)
	v_div_scale_f32 v5, s[26:27], v11, v11, v4
	v_rcp_f32_e32 v14, v5
	s_waitcnt lgkmcnt(1)
	v_fma_f32 v3, -v13, v17, v3
	v_fma_f32 v2, -v13, v16, v2
	s_add_i32 s21, s21, 1
	v_fma_f32 v15, -v5, v14, 1.0
	v_fmac_f32_e32 v14, v15, v14
	v_div_scale_f32 v15, vcc, v4, v11, v4
	v_mul_f32_e32 v20, v15, v14
	v_fma_f32 v21, -v5, v20, v15
	v_fmac_f32_e32 v20, v21, v14
	v_fma_f32 v5, -v5, v20, v15
	v_div_fmas_f32 v5, v5, v14, v20
	v_div_fixup_f32 v11, v5, v11, v4
	v_mov_b32_e32 v4, s23
	ds_read2_b32 v[4:5], v4 offset1:1
	s_add_i32 s23, s28, 0xffffff34
	s_waitcnt lgkmcnt(1)
	v_fma_f32 v3, -v11, v19, v3
	v_mov_b32_e32 v14, s23
	ds_read_b32 v14, v14
	s_waitcnt lgkmcnt(1)
	v_div_scale_f32 v15, s[24:25], v5, v5, v3
	v_rcp_f32_e32 v17, v15
	v_fma_f32 v2, -v11, v18, v2
	s_add_i32 s23, s22, -4
	s_add_i32 s18, s18, -16
	v_fma_f32 v19, -v15, v17, 1.0
	v_fmac_f32_e32 v17, v19, v17
	v_div_scale_f32 v19, vcc, v3, v5, v3
	v_mul_f32_e32 v20, v19, v17
	v_fma_f32 v21, -v15, v20, v19
	v_fmac_f32_e32 v20, v21, v17
	v_fma_f32 v15, -v15, v20, v19
	v_div_fmas_f32 v15, v15, v17, v20
	v_div_fixup_f32 v3, v15, v5, v3
	v_fma_f32 v2, -v3, v4, v2
	s_waitcnt lgkmcnt(0)
	v_div_scale_f32 v4, s[24:25], v14, v14, v2
	v_rcp_f32_e32 v5, v4
	ds_write_b32 v12, v13
	ds_write_b32 v9, v11
	ds_write_b32 v10, v3
	s_not_b64 s[14:15], s[14:15]
	s_add_i32 s19, s19, -16
	v_fma_f32 v3, -v4, v5, 1.0
	v_fmac_f32_e32 v5, v3, v5
	v_div_scale_f32 v3, vcc, v2, v14, v2
	v_mul_f32_e32 v9, v3, v5
	v_fma_f32 v10, -v4, v9, v3
	v_fmac_f32_e32 v9, v10, v5
	v_fma_f32 v3, -v4, v9, v3
	v_div_fmas_f32 v3, v3, v5, v9
	v_div_fixup_f32 v2, v3, v14, v2
	s_cmp_lt_i32 s22, 7
	ds_write_b32 v8, v2
	s_cbranch_scc1 .LBB20_66
; %bb.65:                               ;   in Loop: Header=BB20_56 Depth=1
	s_mov_b32 s22, s23
	s_branch .LBB20_56
.LBB20_66:
	s_cmp_lt_i32 s23, 0
	s_cbranch_scc1 .LBB20_79
; %bb.67:
	s_bitcmp1_b32 s23, 0
	s_cselect_b64 s[14:15], -1, 0
	s_and_b64 vcc, exec, s[14:15]
	s_mov_b32 s14, s23
	s_cbranch_vccnz .LBB20_72
; %bb.68:
	v_lshlrev_b32_e32 v1, 2, v0
	v_lshl_or_b32 v2, s23, 6, v1
	ds_read_b32 v1, v2 offset:1024
	s_cmp_le_i32 s9, s23
	s_cbranch_scc1 .LBB20_71
; %bb.69:
	s_lshl_b32 s15, s1, 6
	s_lshl_b32 s14, s23, 2
	s_add_i32 s14, s15, s14
	v_lshl_or_b32 v3, v0, 2, s15
	s_sub_i32 s14, s14, 64
	v_add_u32_e32 v3, 0x3c0, v3
	s_mov_b32 s15, s9
.LBB20_70:                              ; =>This Inner Loop Header: Depth=1
	v_mov_b32_e32 v5, s14
	ds_read_b32 v4, v3
	ds_read_b32 v5, v5
	s_add_i32 s15, s15, -1
	s_sub_i32 s14, s14, 64
	v_subrev_u32_e32 v3, 64, v3
	s_cmp_gt_i32 s15, s23
	s_waitcnt lgkmcnt(0)
	v_fma_f32 v1, -v4, v5, v1
	s_cbranch_scc1 .LBB20_70
.LBB20_71:
	s_mul_i32 s14, s23, 0x44
	v_mov_b32_e32 v3, s14
	ds_read_b32 v3, v3
	v_add_u32_e32 v2, 0x400, v2
	s_waitcnt lgkmcnt(0)
	v_div_scale_f32 v4, s[14:15], v3, v3, v1
	v_rcp_f32_e32 v5, v4
	v_div_scale_f32 v6, vcc, v1, v3, v1
	s_add_i32 s14, s23, -1
	v_fma_f32 v7, -v4, v5, 1.0
	v_fmac_f32_e32 v5, v7, v5
	v_mul_f32_e32 v7, v6, v5
	v_fma_f32 v8, -v4, v7, v6
	v_fmac_f32_e32 v7, v8, v5
	v_fma_f32 v4, -v4, v7, v6
	v_div_fmas_f32 v4, v4, v5, v7
	v_div_fixup_f32 v1, v4, v3, v1
	ds_write_b32 v2, v1
.LBB20_72:
	s_cmp_eq_u32 s23, 0
	s_cbranch_scc1 .LBB20_79
; %bb.73:
	s_lshl_b32 s15, s1, 6
	s_lshl_b32 s18, s14, 2
	v_lshl_or_b32 v1, v0, 2, s15
	s_add_i32 s18, s15, s18
	v_add_u32_e32 v1, 0x3c0, v1
	s_sub_i32 s15, s18, 64
	s_addk_i32 s18, 0xffbc
	v_lshlrev_b32_e32 v2, 2, v0
	s_branch .LBB20_75
.LBB20_74:                              ;   in Loop: Header=BB20_75 Depth=1
	s_addk_i32 s19, 0xffbc
	v_add_u32_e32 v4, 0x400, v5
	v_mov_b32_e32 v5, s19
	ds_read_b32 v5, v5
	s_add_i32 s19, s14, -2
	s_add_i32 s15, s15, -8
	;; [unrolled: 1-line block ×3, first 2 shown]
	s_cmp_lt_i32 s14, 2
	s_waitcnt lgkmcnt(0)
	v_div_scale_f32 v6, s[22:23], v5, v5, v3
	v_rcp_f32_e32 v7, v6
	v_div_scale_f32 v8, vcc, v3, v5, v3
	s_mov_b32 s14, s19
	v_fma_f32 v9, -v6, v7, 1.0
	v_fmac_f32_e32 v7, v9, v7
	v_mul_f32_e32 v9, v8, v7
	v_fma_f32 v10, -v6, v9, v8
	v_fmac_f32_e32 v9, v10, v7
	v_fma_f32 v6, -v6, v9, v8
	v_div_fmas_f32 v6, v6, v7, v9
	v_div_fixup_f32 v3, v6, v5, v3
	ds_write_b32 v4, v3
	s_cbranch_scc1 .LBB20_79
.LBB20_75:                              ; =>This Loop Header: Depth=1
                                        ;     Child Loop BB20_76 Depth 2
                                        ;     Child Loop BB20_78 Depth 2
	v_lshl_or_b32 v3, s14, 6, v2
	ds_read_b32 v4, v3 offset:1024
	s_cmp_le_i32 s9, s14
	s_mov_b32 s19, s15
	v_mov_b32_e32 v5, v1
	s_mov_b32 s21, s9
	s_cbranch_scc1 .LBB20_77
.LBB20_76:                              ;   Parent Loop BB20_75 Depth=1
                                        ; =>  This Inner Loop Header: Depth=2
	v_mov_b32_e32 v7, s19
	ds_read_b32 v6, v5
	ds_read_b32 v7, v7
	s_add_i32 s21, s21, -1
	s_sub_i32 s19, s19, 64
	v_subrev_u32_e32 v5, 64, v5
	s_cmp_le_i32 s21, s14
	s_waitcnt lgkmcnt(0)
	v_fma_f32 v4, -v6, v7, v4
	s_cbranch_scc0 .LBB20_76
.LBB20_77:                              ;   in Loop: Header=BB20_75 Depth=1
	s_mul_i32 s19, s14, 0x44
	v_add_u32_e32 v6, 0x400, v3
	v_mov_b32_e32 v3, s19
	ds_read_b32 v7, v3
	s_lshl_b32 s21, s14, 6
	s_sub_i32 s21, s21, 64
	v_lshl_or_b32 v5, v0, 2, s21
	ds_read_b32 v3, v5 offset:1024
	s_waitcnt lgkmcnt(1)
	v_div_scale_f32 v8, s[22:23], v7, v7, v4
	v_rcp_f32_e32 v9, v8
	v_div_scale_f32 v10, vcc, v4, v7, v4
	s_cmp_le_i32 s1, s14
	v_fma_f32 v11, -v8, v9, 1.0
	v_fmac_f32_e32 v9, v11, v9
	v_mul_f32_e32 v11, v10, v9
	v_fma_f32 v12, -v8, v11, v10
	v_fmac_f32_e32 v11, v12, v9
	v_fma_f32 v8, -v8, v11, v10
	v_div_fmas_f32 v8, v8, v9, v11
	v_div_fixup_f32 v4, v8, v7, v4
	ds_write_b32 v6, v4
	v_mov_b32_e32 v4, v1
	s_mov_b32 s21, s18
	s_mov_b32 s22, s1
	s_cbranch_scc1 .LBB20_74
.LBB20_78:                              ;   Parent Loop BB20_75 Depth=1
                                        ; =>  This Inner Loop Header: Depth=2
	v_mov_b32_e32 v7, s21
	ds_read_b32 v6, v4
	ds_read_b32 v7, v7
	s_add_i32 s22, s22, -1
	s_sub_i32 s21, s21, 64
	v_subrev_u32_e32 v4, 64, v4
	s_cmp_gt_i32 s22, s14
	s_waitcnt lgkmcnt(0)
	v_fma_f32 v3, -v6, v7, v3
	s_cbranch_scc1 .LBB20_78
	s_branch .LBB20_74
.LBB20_79:
	s_mov_b64 s[22:23], 0
.LBB20_80:
	s_andn2_b64 vcc, exec, s[22:23]
	s_cbranch_vccnz .LBB20_100
; %bb.81:
	s_andn2_b64 vcc, exec, s[12:13]
	s_mov_b32 s14, s9
	s_cbranch_vccnz .LBB20_87
; %bb.82:
	v_lshlrev_b32_e32 v1, 2, v0
	s_mul_i32 s12, s1, 0x44
	v_lshl_or_b32 v2, s1, 6, v1
	s_addk_i32 s12, 0xfef0
	v_add_u32_e32 v2, 0x300, v2
	s_mov_b32 s13, s9
.LBB20_83:                              ; =>This Loop Header: Depth=1
                                        ;     Child Loop BB20_84 Depth 2
	s_lshl_b32 s15, s13, 4
	v_or_b32_e32 v3, s15, v0
	s_sub_i32 s18, s15, 32
	v_lshlrev_b32_e32 v7, 2, v3
	v_or_b32_e32 v3, s18, v0
	s_sub_i32 s15, s15, 48
	s_add_i32 s14, s13, -1
	v_lshlrev_b32_e32 v10, 2, v3
	v_or_b32_e32 v3, s15, v0
	v_lshl_or_b32 v9, s14, 6, v1
	v_lshlrev_b32_e32 v11, 2, v3
	ds_read_b32 v6, v7 offset:1024
	ds_read_b32 v5, v9 offset:1024
	;; [unrolled: 1-line block ×4, first 2 shown]
	s_cmp_le_i32 s9, s13
	v_mov_b32_e32 v8, v2
	s_mov_b32 s19, s12
	s_mov_b32 s21, s9
	s_cbranch_scc1 .LBB20_85
.LBB20_84:                              ;   Parent Loop BB20_83 Depth=1
                                        ; =>  This Inner Loop Header: Depth=2
	ds_read2_b32 v[12:13], v8 offset0:32 offset1:48
	v_mov_b32_e32 v30, s19
	ds_read2_b32 v[14:15], v8 offset1:16
	ds_read2_b32 v[16:17], v30 offset0:50 offset1:51
	ds_read2_b32 v[18:19], v30 offset0:48 offset1:49
	;; [unrolled: 1-line block ×7, first 2 shown]
	ds_read2_b32 v[30:31], v30 offset1:1
	s_add_i32 s21, s21, -4
	s_waitcnt lgkmcnt(7)
	v_fma_f32 v6, -v13, v17, v6
	s_waitcnt lgkmcnt(5)
	v_fma_f32 v5, -v13, v21, v5
	;; [unrolled: 2-line block ×4, first 2 shown]
	v_fma_f32 v6, -v12, v16, v6
	v_fma_f32 v5, -v12, v20, v5
	;; [unrolled: 1-line block ×4, first 2 shown]
	s_add_i32 s19, s19, -16
	v_fma_f32 v6, -v15, v19, v6
	v_fma_f32 v5, -v15, v23, v5
	;; [unrolled: 1-line block ×3, first 2 shown]
	s_waitcnt lgkmcnt(0)
	v_fma_f32 v3, -v15, v31, v3
	v_add_u32_e32 v8, 0xffffff00, v8
	s_cmp_le_i32 s21, s13
	v_fma_f32 v6, -v14, v18, v6
	v_fma_f32 v5, -v14, v22, v5
	;; [unrolled: 1-line block ×4, first 2 shown]
	s_cbranch_scc0 .LBB20_84
.LBB20_85:                              ;   in Loop: Header=BB20_83 Depth=1
	s_add_i32 s18, s18, s13
	s_mul_i32 s21, s13, 0x44
	s_lshl_b32 s18, s18, 2
	s_add_i32 s19, s21, 0xffffffbc
	v_mov_b32_e32 v14, s18
	s_add_i32 s18, s21, 0xffffff78
	v_add_u32_e32 v8, 0x400, v7
	v_add_u32_e32 v7, 0x400, v11
	v_mov_b32_e32 v11, s21
	v_mov_b32_e32 v12, s19
	;; [unrolled: 1-line block ×3, first 2 shown]
	ds_read_b32 v11, v11
	ds_read2_b32 v[12:13], v12 offset1:1
	ds_read_b32 v16, v14
	ds_read2_b32 v[14:15], v15 offset1:1
	s_add_i32 s15, s15, s14
	s_waitcnt lgkmcnt(3)
	v_div_scale_f32 v17, s[18:19], v11, v11, v6
	v_rcp_f32_e32 v18, v17
	s_lshl_b32 s14, s15, 2
	v_add_u32_e32 v9, 0x400, v9
	v_add_u32_e32 v10, 0x400, v10
	v_fma_f32 v19, -v17, v18, 1.0
	v_fmac_f32_e32 v18, v19, v18
	v_div_scale_f32 v19, vcc, v6, v11, v6
	v_mul_f32_e32 v20, v19, v18
	v_fma_f32 v21, -v17, v20, v19
	v_fmac_f32_e32 v20, v21, v18
	v_fma_f32 v17, -v17, v20, v19
	v_div_fmas_f32 v17, v17, v18, v20
	v_div_fixup_f32 v6, v17, v11, v6
	s_waitcnt lgkmcnt(2)
	v_fma_f32 v5, -v6, v13, v5
	v_div_scale_f32 v11, s[18:19], v12, v12, v5
	v_rcp_f32_e32 v13, v11
	s_waitcnt lgkmcnt(1)
	v_fma_f32 v4, -v6, v16, v4
	s_addk_i32 s12, 0xff00
	v_fma_f32 v17, -v11, v13, 1.0
	v_fmac_f32_e32 v13, v17, v13
	v_div_scale_f32 v17, vcc, v5, v12, v5
	v_mul_f32_e32 v18, v17, v13
	v_fma_f32 v19, -v11, v18, v17
	v_fmac_f32_e32 v18, v19, v13
	v_fma_f32 v11, -v11, v18, v17
	v_div_fmas_f32 v11, v11, v13, v18
	v_div_fixup_f32 v11, v11, v12, v5
	s_waitcnt lgkmcnt(0)
	v_fma_f32 v15, -v11, v15, v4
	v_div_scale_f32 v4, s[18:19], v14, v14, v15
	v_rcp_f32_e32 v16, v4
	v_fma_f32 v5, -v4, v16, 1.0
	v_fmac_f32_e32 v16, v5, v16
	v_div_scale_f32 v5, vcc, v15, v14, v15
	v_mul_f32_e32 v17, v5, v16
	v_fma_f32 v12, -v4, v17, v5
	v_fmac_f32_e32 v17, v12, v16
	v_fma_f32 v18, -v4, v17, v5
	v_mov_b32_e32 v4, s14
	s_add_i32 s14, s21, 0xffffff34
	v_mov_b32_e32 v12, s14
	ds_read2_b32 v[4:5], v4 offset1:1
	ds_read2_b32 v[12:13], v12 offset1:1
	v_div_fmas_f32 v16, v18, v16, v17
	v_div_fixup_f32 v14, v16, v14, v15
	ds_write_b32 v8, v6
	ds_write_b32 v9, v11
	;; [unrolled: 1-line block ×3, first 2 shown]
	s_waitcnt lgkmcnt(4)
	v_fma_f32 v3, -v6, v5, v3
	v_fma_f32 v3, -v11, v4, v3
	s_waitcnt lgkmcnt(3)
	v_fma_f32 v3, -v14, v13, v3
	v_div_scale_f32 v4, s[14:15], v12, v12, v3
	v_rcp_f32_e32 v5, v4
	s_add_i32 s14, s13, -4
	s_cmp_lt_i32 s13, 7
	v_fma_f32 v6, -v4, v5, 1.0
	v_fmac_f32_e32 v5, v6, v5
	v_div_scale_f32 v6, vcc, v3, v12, v3
	v_mul_f32_e32 v8, v6, v5
	v_fma_f32 v9, -v4, v8, v6
	v_fmac_f32_e32 v8, v9, v5
	v_fma_f32 v4, -v4, v8, v6
	v_div_fmas_f32 v4, v4, v5, v8
	v_div_fixup_f32 v3, v4, v12, v3
	ds_write_b32 v7, v3
	s_cbranch_scc1 .LBB20_87
; %bb.86:                               ;   in Loop: Header=BB20_83 Depth=1
	s_mov_b32 s13, s14
	s_branch .LBB20_83
.LBB20_87:
	s_cmp_lt_i32 s14, 0
	s_cbranch_scc1 .LBB20_100
; %bb.88:
	s_bitcmp1_b32 s14, 0
	s_cselect_b64 s[12:13], -1, 0
	s_and_b64 vcc, exec, s[12:13]
	s_mov_b32 s12, s14
	s_cbranch_vccnz .LBB20_93
; %bb.89:
	v_lshlrev_b32_e32 v3, 2, v0
	v_lshl_or_b32 v2, s14, 6, v3
	ds_read_b32 v1, v2 offset:1024
	s_cmp_le_i32 s9, s14
	s_cbranch_scc1 .LBB20_92
; %bb.90:
	s_lshl_b32 s12, s14, 6
	s_lshl_b32 s13, s1, 2
	s_add_i32 s12, s12, s13
	v_lshl_or_b32 v3, s1, 6, v3
	s_add_i32 s12, s12, -4
	v_add_u32_e32 v3, 0x3c0, v3
	s_mov_b32 s13, s9
.LBB20_91:                              ; =>This Inner Loop Header: Depth=1
	v_mov_b32_e32 v5, s12
	ds_read_b32 v4, v3
	ds_read_b32 v5, v5
	s_add_i32 s13, s13, -1
	s_add_i32 s12, s12, -4
	v_subrev_u32_e32 v3, 64, v3
	s_cmp_gt_i32 s13, s14
	s_waitcnt lgkmcnt(0)
	v_fma_f32 v1, -v4, v5, v1
	s_cbranch_scc1 .LBB20_91
.LBB20_92:
	s_mul_i32 s12, s14, 0x44
	v_mov_b32_e32 v3, s12
	ds_read_b32 v3, v3
	v_add_u32_e32 v2, 0x400, v2
	s_waitcnt lgkmcnt(0)
	v_div_scale_f32 v4, s[12:13], v3, v3, v1
	v_rcp_f32_e32 v5, v4
	v_div_scale_f32 v6, vcc, v1, v3, v1
	s_add_i32 s12, s14, -1
	v_fma_f32 v7, -v4, v5, 1.0
	v_fmac_f32_e32 v5, v7, v5
	v_mul_f32_e32 v7, v6, v5
	v_fma_f32 v8, -v4, v7, v6
	v_fmac_f32_e32 v7, v8, v5
	v_fma_f32 v4, -v4, v7, v6
	v_div_fmas_f32 v4, v4, v5, v7
	v_div_fixup_f32 v1, v4, v3, v1
	ds_write_b32 v2, v1
.LBB20_93:
	s_cmp_eq_u32 s14, 0
	s_cbranch_scc1 .LBB20_100
; %bb.94:
	v_lshlrev_b32_e32 v1, 2, v0
	s_lshl_b32 s13, s12, 6
	s_lshl_b32 s14, s1, 2
	v_lshl_or_b32 v2, s1, 6, v1
	s_add_i32 s14, s13, s14
	v_add_u32_e32 v2, 0x3c0, v2
	s_add_i32 s13, s14, -4
	s_addk_i32 s14, 0xffbc
	s_branch .LBB20_96
.LBB20_95:                              ;   in Loop: Header=BB20_96 Depth=1
	s_addk_i32 s15, 0xffbc
	v_add_u32_e32 v4, 0x400, v5
	v_mov_b32_e32 v5, s15
	ds_read_b32 v5, v5
	s_add_i32 s15, s12, -2
	s_addk_i32 s13, 0xff80
	s_addk_i32 s14, 0xff80
	s_cmp_lt_i32 s12, 2
	s_waitcnt lgkmcnt(0)
	v_div_scale_f32 v6, s[18:19], v5, v5, v3
	v_rcp_f32_e32 v7, v6
	v_div_scale_f32 v8, vcc, v3, v5, v3
	s_mov_b32 s12, s15
	v_fma_f32 v9, -v6, v7, 1.0
	v_fmac_f32_e32 v7, v9, v7
	v_mul_f32_e32 v9, v8, v7
	v_fma_f32 v10, -v6, v9, v8
	v_fmac_f32_e32 v9, v10, v7
	v_fma_f32 v6, -v6, v9, v8
	v_div_fmas_f32 v6, v6, v7, v9
	v_div_fixup_f32 v3, v6, v5, v3
	ds_write_b32 v4, v3
	s_cbranch_scc1 .LBB20_100
.LBB20_96:                              ; =>This Loop Header: Depth=1
                                        ;     Child Loop BB20_97 Depth 2
                                        ;     Child Loop BB20_99 Depth 2
	v_lshl_or_b32 v3, s12, 6, v1
	ds_read_b32 v4, v3 offset:1024
	s_cmp_le_i32 s9, s12
	s_mov_b32 s15, s13
	v_mov_b32_e32 v5, v2
	s_mov_b32 s18, s9
	s_cbranch_scc1 .LBB20_98
.LBB20_97:                              ;   Parent Loop BB20_96 Depth=1
                                        ; =>  This Inner Loop Header: Depth=2
	v_mov_b32_e32 v7, s15
	ds_read_b32 v6, v5
	ds_read_b32 v7, v7
	s_add_i32 s18, s18, -1
	s_add_i32 s15, s15, -4
	v_subrev_u32_e32 v5, 64, v5
	s_cmp_le_i32 s18, s12
	s_waitcnt lgkmcnt(0)
	v_fma_f32 v4, -v6, v7, v4
	s_cbranch_scc0 .LBB20_97
.LBB20_98:                              ;   in Loop: Header=BB20_96 Depth=1
	s_mul_i32 s15, s12, 0x44
	v_add_u32_e32 v6, 0x400, v3
	v_mov_b32_e32 v3, s15
	ds_read_b32 v7, v3
	s_lshl_b32 s18, s12, 6
	s_sub_i32 s18, s18, 64
	v_lshl_or_b32 v5, v0, 2, s18
	ds_read_b32 v3, v5 offset:1024
	s_waitcnt lgkmcnt(1)
	v_div_scale_f32 v8, s[18:19], v7, v7, v4
	v_rcp_f32_e32 v9, v8
	v_div_scale_f32 v10, vcc, v4, v7, v4
	s_cmp_le_i32 s1, s12
	v_fma_f32 v11, -v8, v9, 1.0
	v_fmac_f32_e32 v9, v11, v9
	v_mul_f32_e32 v11, v10, v9
	v_fma_f32 v12, -v8, v11, v10
	v_fmac_f32_e32 v11, v12, v9
	v_fma_f32 v8, -v8, v11, v10
	v_div_fmas_f32 v8, v8, v9, v11
	v_div_fixup_f32 v4, v8, v7, v4
	ds_write_b32 v6, v4
	v_mov_b32_e32 v4, v2
	s_mov_b32 s18, s14
	s_mov_b32 s19, s1
	s_cbranch_scc1 .LBB20_95
.LBB20_99:                              ;   Parent Loop BB20_96 Depth=1
                                        ; =>  This Inner Loop Header: Depth=2
	v_mov_b32_e32 v7, s18
	ds_read_b32 v6, v4
	ds_read_b32 v7, v7
	s_add_i32 s19, s19, -1
	s_add_i32 s18, s18, -4
	v_subrev_u32_e32 v4, 64, v4
	s_cmp_gt_i32 s19, s12
	s_waitcnt lgkmcnt(0)
	v_fma_f32 v3, -v6, v7, v3
	s_cbranch_scc1 .LBB20_99
	s_branch .LBB20_95
.LBB20_100:
	s_mov_b64 s[22:23], 0
.LBB20_101:
	s_andn2_b64 vcc, exec, s[22:23]
	s_cbranch_vccnz .LBB20_120
; %bb.102:
	s_cmp_lt_i32 s20, 4
	s_mov_b32 s13, 0
	s_cbranch_scc1 .LBB20_109
; %bb.103:
	v_mov_b32_e32 v1, 0x400
	v_lshl_or_b32 v1, v0, 2, v1
	s_mov_b32 s9, 0
	s_mov_b32 s12, 0
.LBB20_104:                             ; =>This Loop Header: Depth=1
                                        ;     Child Loop BB20_106 Depth 2
	s_lshl_b32 s13, s12, 4
	v_or_b32_e32 v2, s13, v0
	s_or_b32 s15, s13, 16
	v_lshlrev_b32_e32 v6, 2, v2
	v_or_b32_e32 v2, s15, v0
	s_or_b32 s14, s13, 32
	v_lshlrev_b32_e32 v7, 2, v2
	;; [unrolled: 3-line block ×3, first 2 shown]
	v_or_b32_e32 v2, s13, v0
	v_lshlrev_b32_e32 v10, 2, v2
	ds_read_b32 v5, v6 offset:1024
	ds_read_b32 v4, v7 offset:1024
	;; [unrolled: 1-line block ×4, first 2 shown]
	s_cmp_eq_u32 s12, 0
	s_cbranch_scc1 .LBB20_107
; %bb.105:                              ;   in Loop: Header=BB20_104 Depth=1
	s_mov_b32 s18, 0
	s_mov_b32 s19, s9
	v_mov_b32_e32 v8, v1
.LBB20_106:                             ;   Parent Loop BB20_104 Depth=1
                                        ; =>  This Inner Loop Header: Depth=2
	v_mov_b32_e32 v11, s19
	ds_read2_b32 v[28:29], v8 offset1:16
	ds_read2_b32 v[30:31], v8 offset0:32 offset1:48
	ds_read_b128 v[12:15], v11
	ds_read_b128 v[16:19], v11 offset:64
	ds_read_b128 v[20:23], v11 offset:128
	;; [unrolled: 1-line block ×3, first 2 shown]
	s_add_i32 s18, s18, 4
	s_add_i32 s19, s19, 16
	s_waitcnt lgkmcnt(3)
	v_fma_f32 v5, -v28, v12, v5
	s_waitcnt lgkmcnt(2)
	v_fma_f32 v4, -v28, v16, v4
	;; [unrolled: 2-line block ×4, first 2 shown]
	v_fma_f32 v5, -v29, v13, v5
	v_fma_f32 v4, -v29, v17, v4
	;; [unrolled: 1-line block ×8, first 2 shown]
	v_add_u32_e32 v8, 0x100, v8
	s_cmp_ge_u32 s18, s12
	v_fma_f32 v5, -v31, v15, v5
	v_fma_f32 v4, -v31, v19, v4
	;; [unrolled: 1-line block ×4, first 2 shown]
	s_cbranch_scc0 .LBB20_106
.LBB20_107:                             ;   in Loop: Header=BB20_104 Depth=1
	s_mul_i32 s18, s12, 0x44
	v_add_u32_e32 v8, 0x400, v6
	v_add_u32_e32 v6, 0x400, v10
	v_mov_b32_e32 v10, s18
	ds_read_b32 v15, v10
	s_add_i32 s15, s15, s12
	s_add_i32 s14, s14, s12
	s_lshl_b32 s15, s15, 2
	s_lshl_b32 s14, s14, 2
	v_mov_b32_e32 v11, s15
	v_mov_b32_e32 v12, s14
	s_waitcnt lgkmcnt(0)
	v_div_scale_f32 v16, s[14:15], v15, v15, v5
	v_rcp_f32_e32 v17, v16
	ds_read_b64 v[10:11], v11
	ds_read_b96 v[12:14], v12
	s_add_i32 s13, s13, s12
	s_lshl_b32 s13, s13, 2
	v_fma_f32 v18, -v16, v17, 1.0
	v_fmac_f32_e32 v17, v18, v17
	v_div_scale_f32 v18, vcc, v5, v15, v5
	v_mul_f32_e32 v19, v18, v17
	v_fma_f32 v20, -v16, v19, v18
	v_fmac_f32_e32 v19, v20, v17
	v_fma_f32 v16, -v16, v19, v18
	v_div_fmas_f32 v16, v16, v17, v19
	v_div_fixup_f32 v5, v16, v15, v5
	s_waitcnt lgkmcnt(1)
	v_fma_f32 v4, -v5, v10, v4
	v_div_scale_f32 v10, s[14:15], v11, v11, v4
	v_rcp_f32_e32 v15, v10
	s_waitcnt lgkmcnt(0)
	v_fma_f32 v3, -v5, v12, v3
	v_add_u32_e32 v7, 0x400, v7
	v_add_u32_e32 v9, 0x400, v9
	v_fma_f32 v16, -v10, v15, 1.0
	v_fmac_f32_e32 v15, v16, v15
	v_div_scale_f32 v16, vcc, v4, v11, v4
	v_mul_f32_e32 v17, v16, v15
	v_fma_f32 v18, -v10, v17, v16
	v_fmac_f32_e32 v17, v18, v15
	v_fma_f32 v10, -v10, v17, v16
	v_div_fmas_f32 v10, v10, v15, v17
	v_div_fixup_f32 v4, v10, v11, v4
	v_fma_f32 v3, -v4, v13, v3
	v_div_scale_f32 v15, s[14:15], v14, v14, v3
	v_rcp_f32_e32 v16, v15
	v_div_scale_f32 v17, vcc, v3, v14, v3
	s_addk_i32 s9, 0x100
	v_fma_f32 v10, -v15, v16, 1.0
	v_fmac_f32_e32 v16, v10, v16
	v_mul_f32_e32 v18, v17, v16
	v_fma_f32 v10, -v15, v18, v17
	v_fmac_f32_e32 v18, v10, v16
	v_mov_b32_e32 v10, s13
	ds_read_b128 v[10:13], v10
	v_fma_f32 v15, -v15, v18, v17
	v_div_fmas_f32 v15, v15, v16, v18
	v_div_fixup_f32 v3, v15, v14, v3
	ds_write_b32 v8, v5
	ds_write_b32 v7, v4
	;; [unrolled: 1-line block ×3, first 2 shown]
	s_waitcnt lgkmcnt(3)
	v_fma_f32 v2, -v5, v10, v2
	v_fma_f32 v2, -v4, v11, v2
	;; [unrolled: 1-line block ×3, first 2 shown]
	v_div_scale_f32 v10, s[14:15], v13, v13, v2
	v_rcp_f32_e32 v11, v10
	s_add_i32 s13, s12, 4
	s_add_i32 s12, s12, 7
	s_cmp_ge_i32 s12, s1
	v_fma_f32 v3, -v10, v11, 1.0
	v_fmac_f32_e32 v11, v3, v11
	v_div_scale_f32 v3, vcc, v2, v13, v2
	v_mul_f32_e32 v4, v3, v11
	v_fma_f32 v5, -v10, v4, v3
	v_fmac_f32_e32 v4, v5, v11
	v_fma_f32 v3, -v10, v4, v3
	v_div_fmas_f32 v3, v3, v11, v4
	v_div_fixup_f32 v2, v3, v13, v2
	ds_write_b32 v6, v2
	s_cbranch_scc1 .LBB20_109
; %bb.108:                              ;   in Loop: Header=BB20_104 Depth=1
	s_mov_b32 s12, s13
	s_branch .LBB20_104
.LBB20_109:
	s_cmp_ge_i32 s13, s1
	s_cbranch_scc1 .LBB20_120
; %bb.110:
	v_mov_b32_e32 v1, 0x400
	s_add_i32 s9, s13, -1
	v_lshl_or_b32 v1, v0, 2, v1
	s_lshl_b32 s12, s13, 6
	s_mov_b32 s14, 0
	v_lshlrev_b32_e32 v2, 2, v0
	s_mov_b32 s15, s13
	s_branch .LBB20_112
.LBB20_111:                             ;   in Loop: Header=BB20_112 Depth=1
	s_mul_i32 s18, s13, 0x44
	v_mov_b32_e32 v5, s18
	ds_read_b32 v5, v5
	v_add_u32_e32 v4, 0x400, v4
	s_add_i32 s13, s13, 1
	s_add_i32 s14, s14, 1
	;; [unrolled: 1-line block ×3, first 2 shown]
	s_waitcnt lgkmcnt(0)
	v_div_scale_f32 v6, s[18:19], v5, v5, v3
	v_rcp_f32_e32 v7, v6
	v_div_scale_f32 v8, vcc, v3, v5, v3
	s_cmp_ge_i32 s13, s1
	v_fma_f32 v9, -v6, v7, 1.0
	v_fmac_f32_e32 v7, v9, v7
	v_mul_f32_e32 v9, v8, v7
	v_fma_f32 v10, -v6, v9, v8
	v_fmac_f32_e32 v9, v10, v7
	v_fma_f32 v6, -v6, v9, v8
	v_div_fmas_f32 v6, v6, v7, v9
	v_div_fixup_f32 v3, v6, v5, v3
	ds_write_b32 v4, v3
	v_add_u16_e64 v3, s15, 1
	v_readfirstlane_b32 s15, v3
	s_cbranch_scc1 .LBB20_120
.LBB20_112:                             ; =>This Loop Header: Depth=1
                                        ;     Child Loop BB20_115 Depth 2
                                        ;     Child Loop BB20_119 Depth 2
	v_lshl_or_b32 v4, s13, 6, v2
	ds_read_b32 v3, v4 offset:1024
	s_cmp_eq_u32 s13, 0
	s_cbranch_scc1 .LBB20_111
; %bb.113:                              ;   in Loop: Header=BB20_112 Depth=1
	s_add_i32 s18, s9, s14
	s_cmp_lt_u32 s18, 7
	s_cbranch_scc1 .LBB20_117
; %bb.114:                              ;   in Loop: Header=BB20_112 Depth=1
	s_and_b32 s18, s13, -8
	s_mov_b32 s19, 0
	s_mov_b32 s21, s12
	v_mov_b32_e32 v5, v1
.LBB20_115:                             ;   Parent Loop BB20_112 Depth=1
                                        ; =>  This Inner Loop Header: Depth=2
	v_mov_b32_e32 v10, s21
	ds_read2_b32 v[14:15], v5 offset1:16
	ds_read2_b32 v[16:17], v5 offset0:32 offset1:48
	ds_read2_b32 v[18:19], v5 offset0:64 offset1:80
	ds_read2_b32 v[20:21], v5 offset0:96 offset1:112
	ds_read_b128 v[6:9], v10
	ds_read_b128 v[10:13], v10 offset:16
	s_add_i32 s19, s19, 8
	s_add_i32 s21, s21, 32
	v_add_u32_e32 v5, 0x200, v5
	s_waitcnt lgkmcnt(1)
	v_fma_f32 v3, -v14, v6, v3
	v_fma_f32 v3, -v15, v7, v3
	;; [unrolled: 1-line block ×4, first 2 shown]
	s_waitcnt lgkmcnt(0)
	v_fma_f32 v3, -v18, v10, v3
	v_fma_f32 v3, -v19, v11, v3
	;; [unrolled: 1-line block ×3, first 2 shown]
	s_cmp_eq_u32 s18, s19
	v_fma_f32 v3, -v21, v13, v3
	s_cbranch_scc0 .LBB20_115
; %bb.116:                              ;   in Loop: Header=BB20_112 Depth=1
	s_and_b32 s19, s13, 7
	s_cmp_eq_u32 s19, 0
	s_cbranch_scc0 .LBB20_118
	s_branch .LBB20_111
.LBB20_117:                             ;   in Loop: Header=BB20_112 Depth=1
	s_mov_b32 s18, 0
	s_and_b32 s19, s13, 7
	s_cmp_eq_u32 s19, 0
	s_cbranch_scc1 .LBB20_111
.LBB20_118:                             ;   in Loop: Header=BB20_112 Depth=1
	s_and_b32 s19, s15, 7
	s_lshl_b32 s21, s18, 2
	v_lshl_add_u32 v5, s18, 6, v1
.LBB20_119:                             ;   Parent Loop BB20_112 Depth=1
                                        ; =>  This Inner Loop Header: Depth=2
	s_add_i32 s18, s12, s21
	v_mov_b32_e32 v7, s18
	ds_read_b32 v6, v5
	ds_read_b32 v7, v7
	s_add_i32 s21, s21, 4
	s_add_i32 s19, s19, -1
	v_add_u32_e32 v5, 64, v5
	s_cmp_lg_u32 s19, 0
	s_waitcnt lgkmcnt(0)
	v_fma_f32 v3, -v6, v7, v3
	s_cbranch_scc1 .LBB20_119
	s_branch .LBB20_111
.LBB20_120:
	s_and_saveexec_b64 s[12:13], s[6:7]
	s_cbranch_execz .LBB20_132
; %bb.121:
	s_cmp_lt_u32 s20, 2
	s_cselect_b64 s[6:7], -1, 0
	s_cmp_lg_u32 s8, 1
	s_cselect_b64 s[12:13], -1, 0
	s_or_b64 s[6:7], s[6:7], s[12:13]
	s_mov_b32 s1, 1
	s_and_b64 vcc, exec, s[6:7]
	s_cbranch_vccnz .LBB20_129
; %bb.122:
	s_add_i32 s6, s20, -2
	s_lshr_b32 s7, s6, 1
	s_add_i32 s7, s7, 1
	s_mov_b32 s9, 0
	s_cmp_lt_u32 s6, 14
	s_mov_b32 s6, s9
	s_cbranch_scc1 .LBB20_125
; %bb.123:
	s_mul_i32 s1, s17, s0
	s_mul_hi_u32 s6, s16, s0
	s_add_i32 s15, s6, s1
	s_mul_i32 s14, s16, s0
	s_and_b32 s12, s7, -8
	s_lshl_b64 s[14:15], s[14:15], 2
	s_add_u32 s1, s14, s4
	s_addc_u32 s6, s15, s5
	s_lshl_b64 s[14:15], s[2:3], 2
	s_add_u32 s1, s1, s14
	s_addc_u32 s6, s6, s15
	s_add_u32 s1, s10, s1
	v_lshlrev_b32_e32 v1, 2, v0
	s_addc_u32 s6, s11, s6
	v_mov_b32_e32 v2, s6
	v_add_co_u32_e32 v1, vcc, s1, v1
	v_addc_co_u32_e32 v3, vcc, 0, v2, vcc
	v_add_co_u32_e32 v2, vcc, 56, v1
	v_addc_co_u32_e32 v3, vcc, 0, v3, vcc
	s_mov_b32 s1, 1
	s_mov_b32 s6, 0
.LBB20_124:                             ; =>This Inner Loop Header: Depth=1
	s_lshl_b32 s13, s9, 4
	s_lshl_b32 s14, s1, 4
	v_or_b32_e32 v4, s13, v0
	s_add_i32 s15, s13, 32
	s_add_i32 s18, s14, 32
	;; [unrolled: 1-line block ×7, first 2 shown]
	s_addk_i32 s13, 0xe0
	v_or_b32_e32 v1, s14, v0
	s_add_i32 s21, s14, 64
	s_add_i32 s23, s14, 0x60
	;; [unrolled: 1-line block ×5, first 2 shown]
	s_addk_i32 s14, 0xe0
	v_or_b32_e32 v5, s18, v0
	v_or_b32_e32 v6, s15, v0
	;; [unrolled: 1-line block ×8, first 2 shown]
	v_lshlrev_b32_e32 v4, 2, v4
	v_or_b32_e32 v7, s21, v0
	v_or_b32_e32 v9, s23, v0
	;; [unrolled: 1-line block ×6, first 2 shown]
	v_lshlrev_b32_e32 v6, 2, v6
	v_lshlrev_b32_e32 v19, 2, v5
	;; [unrolled: 1-line block ×15, first 2 shown]
	ds_read_b32 v4, v4 offset:1024
	ds_read_b32 v5, v1 offset:1024
	;; [unrolled: 1-line block ×16, first 2 shown]
	s_add_i32 s6, s6, 16
	s_add_i32 s1, s1, 16
	;; [unrolled: 1-line block ×3, first 2 shown]
	s_add_i32 s12, s12, -8
	s_waitcnt lgkmcnt(12)
	global_store_dwordx4 v[2:3], v[4:7], off offset:-56
	s_waitcnt lgkmcnt(8)
	global_store_dwordx4 v[2:3], v[8:11], off offset:-40
	;; [unrolled: 2-line block ×4, first 2 shown]
	v_add_co_u32_e32 v2, vcc, 64, v2
	s_cmp_lg_u32 s12, 0
	v_addc_co_u32_e32 v3, vcc, 0, v3, vcc
	s_cbranch_scc1 .LBB20_124
.LBB20_125:
	s_and_b32 s12, s7, 7
	s_cmp_eq_u32 s12, 0
	s_mov_b32 s7, 0
	s_cbranch_scc1 .LBB20_128
; %bb.126:
	s_mul_i32 s13, s17, s0
	s_mul_hi_u32 s14, s16, s0
	s_add_i32 s15, s14, s13
	s_mul_i32 s14, s16, s0
	s_lshl_b64 s[14:15], s[14:15], 2
	s_add_u32 s13, s14, s4
	s_addc_u32 s18, s15, s5
	s_lshl_b64 s[14:15], s[2:3], 2
	s_add_u32 s13, s13, s14
	s_addc_u32 s14, s18, s15
	;; [unrolled: 3-line block ×3, first 2 shown]
	s_add_u32 s6, s6, s13
	v_lshlrev_b32_e32 v1, 2, v0
	s_addc_u32 s7, s7, s14
	v_mov_b32_e32 v3, s7
	v_add_co_u32_e32 v2, vcc, s6, v1
	v_addc_co_u32_e32 v3, vcc, 0, v3, vcc
.LBB20_127:                             ; =>This Inner Loop Header: Depth=1
	v_lshl_or_b32 v4, s9, 6, v1
	v_lshl_or_b32 v5, s1, 6, v1
	ds_read_b32 v4, v4 offset:1024
	ds_read_b32 v5, v5 offset:1024
	s_add_i32 s1, s1, 2
	s_add_i32 s9, s9, 2
	s_add_i32 s12, s12, -1
	s_cmp_lg_u32 s12, 0
	s_waitcnt lgkmcnt(0)
	global_store_dwordx2 v[2:3], v[4:5], off
	v_add_co_u32_e32 v2, vcc, 8, v2
	v_addc_co_u32_e32 v3, vcc, 0, v3, vcc
	s_cbranch_scc1 .LBB20_127
.LBB20_128:
	s_and_b32 s1, s20, 0x7ffffffe
	s_cmp_lg_u32 s1, s20
	s_cselect_b64 s[6:7], -1, 0
	s_and_b64 vcc, exec, s[6:7]
	s_cbranch_vccnz .LBB20_130
	s_branch .LBB20_132
.LBB20_129:
	s_mov_b32 s1, 0
	s_cbranch_execz .LBB20_132
.LBB20_130:
	s_mul_i32 s7, s17, s0
	s_mul_hi_u32 s12, s16, s0
	v_lshlrev_b32_e32 v0, 2, v0
	s_add_i32 s13, s12, s7
	s_mul_i32 s12, s16, s0
	s_mul_hi_i32 s15, s8, s1
	s_mul_i32 s14, s8, s1
	s_ashr_i32 s9, s8, 31
	v_lshl_or_b32 v1, s1, 6, v0
	s_sub_i32 s6, s20, s1
	s_lshl_b64 s[12:13], s[12:13], 2
	s_lshl_b64 s[0:1], s[14:15], 2
	s_add_u32 s0, s12, s0
	s_addc_u32 s1, s13, s1
	s_add_u32 s4, s0, s4
	s_addc_u32 s5, s1, s5
	s_lshl_b64 s[0:1], s[2:3], 2
	s_add_u32 s0, s4, s0
	s_addc_u32 s1, s5, s1
	s_add_u32 s0, s10, s0
	s_addc_u32 s1, s11, s1
	v_add_u32_e32 v2, 0x400, v1
	v_mov_b32_e32 v1, s1
	v_add_co_u32_e32 v0, vcc, s0, v0
	s_lshl_b64 s[0:1], s[8:9], 2
	v_addc_co_u32_e32 v1, vcc, 0, v1, vcc
	v_mov_b32_e32 v3, s1
.LBB20_131:                             ; =>This Inner Loop Header: Depth=1
	ds_read_b32 v4, v2
	s_add_i32 s6, s6, -1
	v_add_u32_e32 v2, 64, v2
	s_cmp_lg_u32 s6, 0
	s_waitcnt lgkmcnt(0)
	global_store_dword v[0:1], v4, off
	v_add_co_u32_e32 v0, vcc, s0, v0
	v_addc_co_u32_e32 v1, vcc, v1, v3, vcc
	s_cbranch_scc1 .LBB20_131
.LBB20_132:
	s_endpgm
	.section	.rodata,"a",@progbits
	.p2align	6, 0x0
	.amdhsa_kernel _ZL31rocblas_trsm_small_right_deviceIffPKfPfLi16EEv13rocblas_fill_18rocblas_operation_17rocblas_diagonal_iiT0_T1_lilT2_lili
		.amdhsa_group_segment_fixed_size 2048
		.amdhsa_private_segment_fixed_size 0
		.amdhsa_kernarg_size 352
		.amdhsa_user_sgpr_count 6
		.amdhsa_user_sgpr_private_segment_buffer 1
		.amdhsa_user_sgpr_dispatch_ptr 0
		.amdhsa_user_sgpr_queue_ptr 0
		.amdhsa_user_sgpr_kernarg_segment_ptr 1
		.amdhsa_user_sgpr_dispatch_id 0
		.amdhsa_user_sgpr_flat_scratch_init 0
		.amdhsa_user_sgpr_kernarg_preload_length 0
		.amdhsa_user_sgpr_kernarg_preload_offset 0
		.amdhsa_user_sgpr_private_segment_size 0
		.amdhsa_uses_dynamic_stack 0
		.amdhsa_system_sgpr_private_segment_wavefront_offset 0
		.amdhsa_system_sgpr_workgroup_id_x 1
		.amdhsa_system_sgpr_workgroup_id_y 0
		.amdhsa_system_sgpr_workgroup_id_z 1
		.amdhsa_system_sgpr_workgroup_info 0
		.amdhsa_system_vgpr_workitem_id 0
		.amdhsa_next_free_vgpr 62
		.amdhsa_next_free_sgpr 44
		.amdhsa_accum_offset 64
		.amdhsa_reserve_vcc 1
		.amdhsa_reserve_flat_scratch 0
		.amdhsa_float_round_mode_32 0
		.amdhsa_float_round_mode_16_64 0
		.amdhsa_float_denorm_mode_32 3
		.amdhsa_float_denorm_mode_16_64 3
		.amdhsa_dx10_clamp 1
		.amdhsa_ieee_mode 1
		.amdhsa_fp16_overflow 0
		.amdhsa_tg_split 0
		.amdhsa_exception_fp_ieee_invalid_op 0
		.amdhsa_exception_fp_denorm_src 0
		.amdhsa_exception_fp_ieee_div_zero 0
		.amdhsa_exception_fp_ieee_overflow 0
		.amdhsa_exception_fp_ieee_underflow 0
		.amdhsa_exception_fp_ieee_inexact 0
		.amdhsa_exception_int_div_zero 0
	.end_amdhsa_kernel
	.section	.text._ZL31rocblas_trsm_small_right_deviceIffPKfPfLi16EEv13rocblas_fill_18rocblas_operation_17rocblas_diagonal_iiT0_T1_lilT2_lili,"axG",@progbits,_ZL31rocblas_trsm_small_right_deviceIffPKfPfLi16EEv13rocblas_fill_18rocblas_operation_17rocblas_diagonal_iiT0_T1_lilT2_lili,comdat
.Lfunc_end20:
	.size	_ZL31rocblas_trsm_small_right_deviceIffPKfPfLi16EEv13rocblas_fill_18rocblas_operation_17rocblas_diagonal_iiT0_T1_lilT2_lili, .Lfunc_end20-_ZL31rocblas_trsm_small_right_deviceIffPKfPfLi16EEv13rocblas_fill_18rocblas_operation_17rocblas_diagonal_iiT0_T1_lilT2_lili
                                        ; -- End function
	.section	.AMDGPU.csdata,"",@progbits
; Kernel info:
; codeLenInByte = 9936
; NumSgprs: 48
; NumVgprs: 62
; NumAgprs: 0
; TotalNumVgprs: 62
; ScratchSize: 0
; MemoryBound: 0
; FloatMode: 240
; IeeeMode: 1
; LDSByteSize: 2048 bytes/workgroup (compile time only)
; SGPRBlocks: 5
; VGPRBlocks: 7
; NumSGPRsForWavesPerEU: 48
; NumVGPRsForWavesPerEU: 62
; AccumOffset: 64
; Occupancy: 8
; WaveLimiterHint : 0
; COMPUTE_PGM_RSRC2:SCRATCH_EN: 0
; COMPUTE_PGM_RSRC2:USER_SGPR: 6
; COMPUTE_PGM_RSRC2:TRAP_HANDLER: 0
; COMPUTE_PGM_RSRC2:TGID_X_EN: 1
; COMPUTE_PGM_RSRC2:TGID_Y_EN: 0
; COMPUTE_PGM_RSRC2:TGID_Z_EN: 1
; COMPUTE_PGM_RSRC2:TIDIG_COMP_CNT: 0
; COMPUTE_PGM_RSRC3_GFX90A:ACCUM_OFFSET: 15
; COMPUTE_PGM_RSRC3_GFX90A:TG_SPLIT: 0
	.section	.text._ZL38rocblas_trsm_small_left_device_sharedBILi20ELi20ELb0EffPKfPfEv13rocblas_fill_18rocblas_operation_17rocblas_diagonal_iiT3_T4_lilT5_lili,"axG",@progbits,_ZL38rocblas_trsm_small_left_device_sharedBILi20ELi20ELb0EffPKfPfEv13rocblas_fill_18rocblas_operation_17rocblas_diagonal_iiT3_T4_lilT5_lili,comdat
	.globl	_ZL38rocblas_trsm_small_left_device_sharedBILi20ELi20ELb0EffPKfPfEv13rocblas_fill_18rocblas_operation_17rocblas_diagonal_iiT3_T4_lilT5_lili ; -- Begin function _ZL38rocblas_trsm_small_left_device_sharedBILi20ELi20ELb0EffPKfPfEv13rocblas_fill_18rocblas_operation_17rocblas_diagonal_iiT3_T4_lilT5_lili
	.p2align	8
	.type	_ZL38rocblas_trsm_small_left_device_sharedBILi20ELi20ELb0EffPKfPfEv13rocblas_fill_18rocblas_operation_17rocblas_diagonal_iiT3_T4_lilT5_lili,@function
_ZL38rocblas_trsm_small_left_device_sharedBILi20ELi20ELb0EffPKfPfEv13rocblas_fill_18rocblas_operation_17rocblas_diagonal_iiT3_T4_lilT5_lili: ; @_ZL38rocblas_trsm_small_left_device_sharedBILi20ELi20ELb0EffPKfPfEv13rocblas_fill_18rocblas_operation_17rocblas_diagonal_iiT3_T4_lilT5_lili
; %bb.0:
	s_load_dwordx4 s[8:11], s[4:5], 0x4
	s_load_dword s18, s[4:5], 0x14
	s_load_dwordx4 s[0:3], s[4:5], 0x30
	s_load_dwordx2 s[16:17], s[4:5], 0x40
	s_mov_b32 s27, 0
	s_waitcnt lgkmcnt(0)
	s_min_i32 s26, s10, 20
	v_cmp_gt_i32_e32 vcc, s26, v0
	s_and_saveexec_b64 s[20:21], vcc
	s_cbranch_execz .LBB21_15
; %bb.1:
	s_load_dword s22, s[4:5], 0x28
	s_load_dwordx4 s[12:15], s[4:5], 0x18
	s_cmp_gt_u32 s26, 1
	s_cselect_b64 s[24:25], -1, 0
	s_mov_b32 s19, 1
	s_waitcnt lgkmcnt(0)
	s_cmp_eq_u32 s22, 1
	s_cselect_b64 s[28:29], -1, 0
	s_and_b64 s[28:29], s[24:25], s[28:29]
	s_mov_b64 s[24:25], -1
	s_and_b64 vcc, exec, s[28:29]
	s_cbranch_vccz .LBB21_9
; %bb.2:
	s_add_i32 s24, s26, -2
	s_lshr_b32 s25, s24, 1
	s_add_i32 s25, s25, 1
	s_mov_b32 s23, 0
	s_cmp_lt_u32 s24, 14
	s_mov_b32 s24, s23
	s_cbranch_scc1 .LBB21_5
; %bb.3:
	s_mul_i32 s19, s1, s7
	s_mul_hi_u32 s23, s0, s7
	s_add_i32 s29, s23, s19
	s_mul_i32 s28, s0, s7
	s_and_b32 s27, s25, -8
	s_lshl_b64 s[28:29], s[28:29], 2
	s_lshl_b64 s[30:31], s[14:15], 2
	s_add_u32 s19, s28, s30
	s_addc_u32 s23, s29, s31
	s_add_u32 s19, s12, s19
	v_lshlrev_b32_e32 v1, 2, v0
	s_addc_u32 s23, s13, s23
	v_mov_b32_e32 v2, s23
	v_add_co_u32_e32 v1, vcc, s19, v1
	v_addc_co_u32_e32 v3, vcc, 0, v2, vcc
	v_add_co_u32_e32 v2, vcc, 56, v1
	v_addc_co_u32_e32 v3, vcc, 0, v3, vcc
	s_mov_b32 s19, 1
	s_mov_b32 s24, 0
	;; [unrolled: 1-line block ×3, first 2 shown]
.LBB21_4:                               ; =>This Inner Loop Header: Depth=1
	global_load_dwordx4 v[4:7], v[2:3], off offset:-56
	global_load_dwordx4 v[8:11], v[2:3], off offset:-40
	;; [unrolled: 1-line block ×4, first 2 shown]
	s_mul_i32 s28, s19, 20
	s_mul_i32 s29, s23, 20
	s_add_i32 s24, s24, 16
	s_add_i32 s19, s19, 16
	s_add_i32 s23, s23, 16
	s_add_i32 s27, s27, -8
	v_add_co_u32_e32 v2, vcc, 64, v2
	v_add_lshl_u32 v1, s29, v0, 2
	v_add_lshl_u32 v20, s28, v0, 2
	s_add_i32 s30, s28, 40
	s_add_i32 s31, s29, 40
	;; [unrolled: 1-line block ×12, first 2 shown]
	s_addk_i32 s28, 0x118
	s_addk_i32 s29, 0x118
	v_addc_co_u32_e32 v3, vcc, 0, v3, vcc
	s_cmp_lg_u32 s27, 0
	v_add_lshl_u32 v21, s31, v0, 2
	v_add_lshl_u32 v22, s30, v0, 2
	;; [unrolled: 1-line block ×14, first 2 shown]
	s_waitcnt vmcnt(3)
	ds_write_b32 v1, v4
	ds_write_b32 v20, v5
	ds_write_b32 v21, v6
	ds_write_b32 v22, v7
	s_waitcnt vmcnt(2)
	ds_write_b32 v23, v8
	ds_write_b32 v24, v9
	ds_write_b32 v25, v10
	ds_write_b32 v26, v11
	;; [unrolled: 5-line block ×4, first 2 shown]
	s_cbranch_scc1 .LBB21_4
.LBB21_5:
	s_and_b32 s27, s25, 7
	s_cmp_eq_u32 s27, 0
	s_mov_b32 s25, 0
	s_cbranch_scc1 .LBB21_8
; %bb.6:
	s_mul_i32 s28, s1, s7
	s_mul_hi_u32 s29, s0, s7
	s_add_i32 s29, s29, s28
	s_mul_i32 s28, s0, s7
	s_lshl_b64 s[28:29], s[28:29], 2
	s_lshl_b64 s[30:31], s[14:15], 2
	s_add_u32 s28, s28, s30
	s_addc_u32 s29, s29, s31
	s_lshl_b64 s[24:25], s[24:25], 2
	s_add_u32 s24, s12, s24
	s_addc_u32 s25, s13, s25
	s_add_u32 s24, s24, s28
	v_lshlrev_b32_e32 v1, 2, v0
	s_addc_u32 s25, s25, s29
	v_mov_b32_e32 v3, s25
	v_add_co_u32_e32 v2, vcc, s24, v1
	v_addc_co_u32_e32 v3, vcc, 0, v3, vcc
	s_lshl_b32 s24, s27, 3
.LBB21_7:                               ; =>This Inner Loop Header: Depth=1
	global_load_dwordx2 v[4:5], v[2:3], off
	s_mul_i32 s25, s19, 20
	s_mul_i32 s27, s23, 20
	s_add_i32 s19, s19, 2
	s_add_i32 s23, s23, 2
	v_add_co_u32_e32 v2, vcc, 8, v2
	s_add_i32 s24, s24, -8
	v_addc_co_u32_e32 v3, vcc, 0, v3, vcc
	v_add_lshl_u32 v1, s27, v0, 2
	s_cmp_lg_u32 s24, 0
	v_add_lshl_u32 v6, s25, v0, 2
	s_waitcnt vmcnt(0)
	ds_write_b32 v1, v4
	ds_write_b32 v6, v5
	s_cbranch_scc1 .LBB21_7
.LBB21_8:
	s_and_b32 s27, s26, -2
	s_cmp_lg_u32 s26, s27
	s_cselect_b64 s[24:25], -1, 0
.LBB21_9:
	s_and_b64 vcc, exec, s[24:25]
	s_cbranch_vccz .LBB21_12
; %bb.10:
	s_ashr_i32 s23, s22, 31
	s_mul_i32 s1, s1, s7
	s_mul_hi_u32 s19, s0, s7
	s_add_i32 s1, s19, s1
	s_mul_hi_u32 s19, s22, s27
	s_mul_i32 s24, s23, s27
	s_mul_i32 s0, s0, s7
	s_add_i32 s25, s19, s24
	s_mul_i32 s24, s22, s27
	s_lshl_b64 s[0:1], s[0:1], 2
	s_lshl_b64 s[24:25], s[24:25], 2
	s_add_u32 s19, s0, s24
	s_addc_u32 s24, s1, s25
	s_lshl_b64 s[0:1], s[14:15], 2
	s_add_u32 s0, s19, s0
	s_addc_u32 s1, s24, s1
	s_add_u32 s0, s12, s0
	v_lshlrev_b32_e32 v1, 2, v0
	s_addc_u32 s1, s13, s1
	v_mov_b32_e32 v3, s1
	v_add_co_u32_e32 v2, vcc, s0, v1
	s_lshl_b64 s[0:1], s[22:23], 2
	s_mul_i32 s13, s27, 0x50
	v_addc_co_u32_e32 v3, vcc, 0, v3, vcc
	s_sub_i32 s12, s26, s27
	v_lshl_add_u32 v1, v0, 2, s13
	v_mov_b32_e32 v4, s1
.LBB21_11:                              ; =>This Inner Loop Header: Depth=1
	global_load_dword v5, v[2:3], off
	v_add_co_u32_e32 v2, vcc, s0, v2
	s_add_i32 s12, s12, -1
	v_addc_co_u32_e32 v3, vcc, v3, v4, vcc
	s_cmp_eq_u32 s12, 0
	s_waitcnt vmcnt(0)
	ds_write_b32 v1, v5
	v_add_u32_e32 v1, 0x50, v1
	s_cbranch_scc0 .LBB21_11
.LBB21_12:
	v_mul_u32_u24_e32 v1, 21, v0
	s_cmpk_lg_i32 s9, 0x84
	v_lshlrev_b32_e32 v1, 2, v1
	v_mov_b32_e32 v2, 1.0
	s_cbranch_scc0 .LBB21_14
; %bb.13:
	ds_read_b32 v2, v1
	s_waitcnt lgkmcnt(0)
	v_div_scale_f32 v3, s[0:1], v2, v2, 1.0
	v_rcp_f32_e32 v4, v3
	v_div_scale_f32 v5, vcc, 1.0, v2, 1.0
	v_fma_f32 v6, -v3, v4, 1.0
	v_fmac_f32_e32 v4, v6, v4
	v_mul_f32_e32 v6, v5, v4
	v_fma_f32 v7, -v3, v6, v5
	v_fmac_f32_e32 v6, v7, v4
	v_fma_f32 v3, -v3, v6, v5
	v_div_fmas_f32 v3, v3, v4, v6
	v_div_fixup_f32 v2, v3, v2, 1.0
.LBB21_14:
	ds_write_b32 v1, v2
.LBB21_15:
	s_or_b64 exec, exec, s[20:21]
	s_load_dword s9, s[4:5], 0x60
	s_load_dword s22, s[4:5], 0x48
	s_load_dwordx2 s[0:1], s[4:5], 0x50
	s_mul_i32 s4, s6, 0xffffffec
	s_add_i32 s4, s4, s11
	s_waitcnt lgkmcnt(0)
	s_add_i32 s9, s9, -1
	s_ashr_i32 s11, s22, 31
	s_cmp_ge_u32 s6, s9
	s_cselect_b32 s9, s4, 20
	s_mul_i32 s4, s6, 20
	s_ashr_i32 s5, s4, 31
	s_cmp_gt_i32 s10, 0
	v_cmp_gt_i32_e32 vcc, s9, v0
	s_cselect_b64 s[12:13], -1, 0
	s_mov_b32 s9, 0
	s_and_b64 s[12:13], vcc, s[12:13]
	s_and_saveexec_b64 s[14:15], s[12:13]
	s_cbranch_execz .LBB21_27
; %bb.16:
	s_cmp_lt_i32 s10, 2
	s_mov_b64 s[20:21], -1
	s_cbranch_scc1 .LBB21_24
; %bb.17:
	s_add_i32 s20, s26, -2
	s_lshr_b32 s21, s20, 1
	s_add_i32 s21, s21, 1
	s_mov_b32 s19, s18
	s_mov_b32 s6, 1
	s_cmp_lt_u32 s20, 14
	s_mov_b32 s20, s9
	s_cbranch_scc1 .LBB21_20
; %bb.18:
	s_mul_i32 s9, s1, s7
	s_mul_hi_u32 s20, s0, s7
	s_add_i32 s25, s20, s9
	s_mul_i32 s24, s0, s7
	s_lshl_b64 s[28:29], s[4:5], 2
	v_lshlrev_b32_e32 v1, 2, v0
	s_and_b32 s23, s21, -8
	s_lshl_b64 s[24:25], s[24:25], 2
	v_mov_b32_e32 v2, s29
	v_add_co_u32_e32 v1, vcc, s28, v1
	s_lshl_b64 s[28:29], s[16:17], 2
	s_add_u32 s9, s2, s28
	s_addc_u32 s20, s3, s29
	s_add_u32 s24, s9, s24
	s_addc_u32 s25, s20, s25
	v_addc_co_u32_e32 v4, vcc, 0, v2, vcc
	v_pk_mov_b32 v[2:3], s[24:25], s[24:25] op_sel:[0,1]
	v_mad_u64_u32 v[2:3], s[24:25], v1, s22, v[2:3]
	v_mul_lo_u32 v1, v1, s11
	v_mul_lo_u32 v4, v4, s22
	v_add3_u32 v1, v4, v3, v1
	v_add_co_u32_e32 v2, vcc, 56, v2
	v_addc_co_u32_e32 v3, vcc, 0, v1, vcc
	s_mov_b32 s20, 0
	s_mov_b32 s9, 0
.LBB21_19:                              ; =>This Inner Loop Header: Depth=1
	global_load_dwordx4 v[4:7], v[2:3], off offset:-56
	global_load_dwordx4 v[8:11], v[2:3], off offset:-40
	;; [unrolled: 1-line block ×4, first 2 shown]
	s_mul_i32 s24, s6, 20
	s_mul_i32 s25, s9, 20
	s_add_i32 s20, s20, 16
	s_add_i32 s6, s6, 16
	;; [unrolled: 1-line block ×3, first 2 shown]
	s_add_i32 s23, s23, -8
	v_add_co_u32_e32 v2, vcc, 64, v2
	v_add_lshl_u32 v1, s25, v0, 2
	v_add_lshl_u32 v20, s24, v0, 2
	s_add_i32 s27, s24, 40
	s_add_i32 s28, s25, 40
	;; [unrolled: 1-line block ×12, first 2 shown]
	s_addk_i32 s24, 0x118
	s_addk_i32 s25, 0x118
	v_addc_co_u32_e32 v3, vcc, 0, v3, vcc
	s_cmp_lg_u32 s23, 0
	v_add_lshl_u32 v21, s28, v0, 2
	v_add_lshl_u32 v22, s27, v0, 2
	;; [unrolled: 1-line block ×14, first 2 shown]
	s_waitcnt vmcnt(3)
	v_pk_mul_f32 v[4:5], v[4:5], s[18:19]
	v_pk_mul_f32 v[6:7], v[6:7], s[18:19]
	s_waitcnt vmcnt(2)
	v_pk_mul_f32 v[8:9], v[8:9], s[18:19]
	v_pk_mul_f32 v[10:11], v[10:11], s[18:19]
	;; [unrolled: 3-line block ×4, first 2 shown]
	ds_write_b32 v1, v4 offset:1600
	ds_write_b32 v20, v5 offset:1600
	;; [unrolled: 1-line block ×16, first 2 shown]
	s_cbranch_scc1 .LBB21_19
.LBB21_20:
	s_and_b32 s23, s21, 7
	s_cmp_eq_u32 s23, 0
	s_mov_b32 s21, 0
	s_cbranch_scc1 .LBB21_23
; %bb.21:
	s_mul_i32 s24, s1, s7
	s_mul_hi_u32 s25, s0, s7
	s_add_i32 s25, s25, s24
	s_mul_i32 s24, s0, s7
	s_lshl_b64 s[28:29], s[4:5], 2
	v_lshlrev_b32_e32 v1, 2, v0
	s_lshl_b64 s[24:25], s[24:25], 2
	v_mov_b32_e32 v2, s29
	v_add_co_u32_e32 v1, vcc, s28, v1
	s_lshl_b64 s[28:29], s[16:17], 2
	s_lshl_b64 s[20:21], s[20:21], 2
	s_add_u32 s20, s2, s20
	s_addc_u32 s21, s3, s21
	s_add_u32 s20, s20, s28
	s_addc_u32 s21, s21, s29
	;; [unrolled: 2-line block ×3, first 2 shown]
	v_addc_co_u32_e32 v4, vcc, 0, v2, vcc
	v_pk_mov_b32 v[2:3], s[20:21], s[20:21] op_sel:[0,1]
	v_mad_u64_u32 v[2:3], s[20:21], v1, s22, v[2:3]
	v_mul_lo_u32 v1, v1, s11
	v_mul_lo_u32 v4, v4, s22
	v_add3_u32 v3, v4, v3, v1
	s_lshl_b32 s20, s23, 3
.LBB21_22:                              ; =>This Inner Loop Header: Depth=1
	global_load_dwordx2 v[4:5], v[2:3], off
	s_mul_i32 s21, s6, 20
	s_mul_i32 s23, s9, 20
	s_add_i32 s6, s6, 2
	s_add_i32 s9, s9, 2
	v_add_co_u32_e32 v2, vcc, 8, v2
	s_add_i32 s20, s20, -8
	v_addc_co_u32_e32 v3, vcc, 0, v3, vcc
	v_add_lshl_u32 v1, s23, v0, 2
	s_cmp_lg_u32 s20, 0
	v_add_lshl_u32 v6, s21, v0, 2
	s_waitcnt vmcnt(0)
	v_pk_mul_f32 v[4:5], v[4:5], s[18:19]
	ds_write_b32 v1, v4 offset:1600
	ds_write_b32 v6, v5 offset:1600
	s_cbranch_scc1 .LBB21_22
.LBB21_23:
	s_and_b32 s9, s26, 30
	s_cmp_lg_u32 s26, s9
	s_cselect_b64 s[20:21], -1, 0
.LBB21_24:
	s_and_b64 vcc, exec, s[20:21]
	s_cbranch_vccz .LBB21_27
; %bb.25:
	s_mul_i32 s19, s9, 0x50
	v_lshl_add_u32 v1, v0, 2, s19
	s_mul_i32 s19, s1, s7
	s_mul_hi_u32 s20, s0, s7
	s_add_i32 s21, s20, s19
	s_mul_i32 s20, s0, s7
	s_lshl_b64 s[24:25], s[4:5], 2
	v_lshlrev_b32_e32 v2, 2, v0
	s_sub_i32 s6, s26, s9
	s_lshl_b64 s[20:21], s[20:21], 2
	v_mov_b32_e32 v3, s25
	v_add_co_u32_e32 v4, vcc, s24, v2
	s_lshl_b64 s[24:25], s[16:17], 2
	s_lshl_b32 s9, s9, 2
	s_add_u32 s9, s2, s9
	s_addc_u32 s19, s3, 0
	s_add_u32 s9, s9, s24
	s_addc_u32 s19, s19, s25
	;; [unrolled: 2-line block ×3, first 2 shown]
	v_addc_co_u32_e32 v5, vcc, 0, v3, vcc
	v_pk_mov_b32 v[2:3], s[20:21], s[20:21] op_sel:[0,1]
	v_mad_u64_u32 v[2:3], s[20:21], v4, s22, v[2:3]
	v_mul_lo_u32 v4, v4, s11
	v_mul_lo_u32 v5, v5, s22
	v_add_u32_e32 v1, 0x640, v1
	v_add3_u32 v3, v5, v3, v4
.LBB21_26:                              ; =>This Inner Loop Header: Depth=1
	global_load_dword v4, v[2:3], off
	s_add_i32 s6, s6, -1
	v_add_co_u32_e32 v2, vcc, 4, v2
	v_addc_co_u32_e32 v3, vcc, 0, v3, vcc
	s_cmp_lg_u32 s6, 0
	s_waitcnt vmcnt(0)
	v_mul_f32_e32 v4, s18, v4
	ds_write_b32 v1, v4
	v_add_u32_e32 v1, 0x50, v1
	s_cbranch_scc1 .LBB21_26
.LBB21_27:
	s_or_b64 exec, exec, s[14:15]
	s_cmpk_eq_i32 s8, 0x6f
	s_mov_b64 s[8:9], -1
	s_waitcnt lgkmcnt(0)
	; wave barrier
	s_waitcnt lgkmcnt(0)
	s_cbranch_scc1 .LBB21_52
; %bb.28:
	s_cmp_gt_i32 s10, 19
	s_cselect_b64 s[8:9], -1, 0
	s_mov_b32 s6, 0
	s_and_b64 vcc, exec, s[8:9]
	s_cbranch_vccz .LBB21_30
; %bb.29:
	v_lshlrev_b32_e32 v1, 2, v0
	v_add_u32_e32 v28, 0x400, v1
	v_add_u32_e32 v29, 0x800, v1
	v_mov_b32_e32 v30, 0
	ds_read2_b32 v[8:9], v28 offset0:144 offset1:164
	ds_read2_b32 v[16:17], v28 offset0:184 offset1:204
	;; [unrolled: 1-line block ×9, first 2 shown]
	ds_read_b32 v15, v30
	ds_read_b64 v[10:11], v30 offset:80
	v_add_u32_e32 v1, 0xa00, v1
	ds_read2_b32 v[2:3], v1 offset0:120 offset1:140
	ds_read_b96 v[12:14], v30 offset:160
	s_mov_b32 s6, 20
	s_waitcnt lgkmcnt(3)
	v_mul_f32_e32 v31, v15, v8
	s_waitcnt lgkmcnt(2)
	v_fma_f32 v8, -v31, v10, v9
	v_mul_f32_e32 v32, v11, v8
	ds_read_b128 v[8:11], v30 offset:240
	s_waitcnt lgkmcnt(1)
	v_fma_f32 v12, -v31, v12, v16
	v_fma_f32 v12, -v32, v13, v12
	v_mul_f32_e32 v33, v14, v12
	ds_read_b128 v[12:15], v30 offset:320
	s_waitcnt lgkmcnt(1)
	v_fma_f32 v8, -v31, v8, v17
	v_fma_f32 v8, -v32, v9, v8
	;; [unrolled: 1-line block ×3, first 2 shown]
	v_mul_f32_e32 v34, v11, v8
	ds_write2_b32 v28, v31, v32 offset0:144 offset1:164
	ds_write2_b32 v28, v33, v34 offset0:184 offset1:204
	s_waitcnt lgkmcnt(2)
	v_fma_f32 v12, -v31, v12, v18
	ds_read_b32 v16, v30 offset:336
	ds_read_b128 v[8:11], v30 offset:400
	v_fma_f32 v12, -v32, v13, v12
	v_fma_f32 v12, -v33, v14, v12
	;; [unrolled: 1-line block ×3, first 2 shown]
	s_waitcnt lgkmcnt(1)
	v_mul_f32_e32 v35, v16, v12
	ds_read_b64 v[16:17], v30 offset:416
	ds_read_b128 v[12:15], v30 offset:480
	s_waitcnt lgkmcnt(2)
	v_fma_f32 v8, -v31, v8, v19
	v_fma_f32 v8, -v32, v9, v8
	;; [unrolled: 1-line block ×4, first 2 shown]
	s_waitcnt lgkmcnt(1)
	v_fma_f32 v8, -v35, v16, v8
	v_mul_f32_e32 v36, v17, v8
	ds_read_b96 v[16:18], v30 offset:496
	s_waitcnt lgkmcnt(1)
	v_fma_f32 v8, -v31, v12, v20
	v_fma_f32 v8, -v32, v13, v8
	;; [unrolled: 1-line block ×3, first 2 shown]
	ds_read_b128 v[8:11], v30 offset:560
	v_fma_f32 v12, -v34, v15, v12
	s_waitcnt lgkmcnt(1)
	v_fma_f32 v12, -v35, v16, v12
	v_fma_f32 v12, -v36, v17, v12
	v_mul_f32_e32 v20, v18, v12
	ds_read_b128 v[12:15], v30 offset:576
	s_waitcnt lgkmcnt(1)
	v_fma_f32 v8, -v31, v8, v21
	v_fma_f32 v8, -v32, v9, v8
	;; [unrolled: 1-line block ×4, first 2 shown]
	ds_read_b128 v[8:11], v30 offset:640
	s_waitcnt lgkmcnt(1)
	v_fma_f32 v12, -v35, v12, v16
	v_fma_f32 v12, -v36, v13, v12
	;; [unrolled: 1-line block ×3, first 2 shown]
	v_mul_f32_e32 v21, v15, v12
	ds_write2_b32 v28, v35, v36 offset0:224 offset1:244
	ds_write2_b32 v29, v20, v21 offset0:8 offset1:28
	ds_read_b128 v[12:15], v30 offset:656
	ds_read_b32 v16, v30 offset:672
	s_waitcnt lgkmcnt(4)
	v_fma_f32 v8, -v31, v8, v22
	v_fma_f32 v8, -v32, v9, v8
	;; [unrolled: 1-line block ×4, first 2 shown]
	s_waitcnt lgkmcnt(1)
	v_fma_f32 v8, -v35, v12, v8
	v_fma_f32 v12, -v36, v13, v8
	ds_read_b128 v[8:11], v30 offset:720
	v_fma_f32 v12, -v20, v14, v12
	v_fma_f32 v12, -v21, v15, v12
	s_waitcnt lgkmcnt(1)
	v_mul_f32_e32 v22, v16, v12
	ds_read_b128 v[12:15], v30 offset:736
	s_waitcnt lgkmcnt(1)
	v_fma_f32 v8, -v31, v8, v23
	v_fma_f32 v8, -v32, v9, v8
	;; [unrolled: 1-line block ×4, first 2 shown]
	s_waitcnt lgkmcnt(0)
	v_fma_f32 v8, -v35, v12, v8
	ds_read_b64 v[16:17], v30 offset:752
	v_fma_f32 v8, -v36, v13, v8
	v_fma_f32 v12, -v20, v14, v8
	ds_read_b128 v[8:11], v30 offset:800
	v_fma_f32 v12, -v21, v15, v12
	s_waitcnt lgkmcnt(1)
	v_fma_f32 v12, -v22, v16, v12
	v_mul_f32_e32 v23, v17, v12
	ds_read_b128 v[12:15], v30 offset:816
	ds_read_b96 v[16:18], v30 offset:832
	s_waitcnt lgkmcnt(2)
	v_fma_f32 v8, -v31, v8, v24
	v_fma_f32 v8, -v32, v9, v8
	;; [unrolled: 1-line block ×4, first 2 shown]
	s_waitcnt lgkmcnt(1)
	v_fma_f32 v8, -v35, v12, v8
	v_fma_f32 v8, -v36, v13, v8
	;; [unrolled: 1-line block ×4, first 2 shown]
	ds_read_b128 v[8:11], v30 offset:880
	s_waitcnt lgkmcnt(1)
	v_fma_f32 v12, -v22, v16, v12
	v_fma_f32 v12, -v23, v17, v12
	v_mul_f32_e32 v24, v18, v12
	ds_read_b128 v[12:15], v30 offset:896
	s_waitcnt lgkmcnt(1)
	v_fma_f32 v8, -v31, v8, v25
	v_fma_f32 v8, -v32, v9, v8
	;; [unrolled: 1-line block ×4, first 2 shown]
	s_waitcnt lgkmcnt(0)
	v_fma_f32 v12, -v35, v12, v8
	ds_read_b128 v[8:11], v30 offset:912
	v_fma_f32 v12, -v36, v13, v12
	v_fma_f32 v12, -v20, v14, v12
	;; [unrolled: 1-line block ×3, first 2 shown]
	ds_read_b128 v[12:15], v30 offset:960
	s_waitcnt lgkmcnt(1)
	v_fma_f32 v8, -v22, v8, v16
	v_fma_f32 v8, -v23, v9, v8
	;; [unrolled: 1-line block ×3, first 2 shown]
	v_mul_f32_e32 v25, v11, v8
	ds_write2_b32 v29, v22, v23 offset0:48 offset1:68
	ds_write2_b32 v29, v24, v25 offset0:88 offset1:108
	ds_read_b128 v[8:11], v30 offset:976
	ds_read_b128 v[16:19], v30 offset:992
	s_waitcnt lgkmcnt(4)
	v_fma_f32 v12, -v31, v12, v26
	v_fma_f32 v12, -v32, v13, v12
	;; [unrolled: 1-line block ×4, first 2 shown]
	s_waitcnt lgkmcnt(1)
	v_fma_f32 v8, -v35, v8, v12
	v_fma_f32 v8, -v36, v9, v8
	v_fma_f32 v8, -v20, v10, v8
	v_fma_f32 v8, -v21, v11, v8
	s_waitcnt lgkmcnt(0)
	v_fma_f32 v12, -v22, v16, v8
	ds_read_b32 v13, v30 offset:1008
	ds_read_b128 v[8:11], v30 offset:1040
	v_fma_f32 v12, -v23, v17, v12
	v_fma_f32 v12, -v24, v18, v12
	;; [unrolled: 1-line block ×3, first 2 shown]
	s_waitcnt lgkmcnt(1)
	v_mul_f32_e32 v26, v13, v12
	ds_read_b128 v[12:15], v30 offset:1056
	s_waitcnt lgkmcnt(1)
	v_fma_f32 v8, -v31, v8, v27
	v_fma_f32 v8, -v32, v9, v8
	v_fma_f32 v8, -v33, v10, v8
	v_fma_f32 v16, -v34, v11, v8
	ds_read_b128 v[8:11], v30 offset:1072
	s_waitcnt lgkmcnt(1)
	v_fma_f32 v12, -v35, v12, v16
	v_fma_f32 v12, -v36, v13, v12
	;; [unrolled: 1-line block ×4, first 2 shown]
	ds_read_b64 v[16:17], v30 offset:1088
	s_waitcnt lgkmcnt(1)
	v_fma_f32 v8, -v22, v8, v12
	ds_read_b128 v[12:15], v30 offset:1120
	v_fma_f32 v8, -v23, v9, v8
	v_fma_f32 v8, -v24, v10, v8
	;; [unrolled: 1-line block ×3, first 2 shown]
	s_waitcnt lgkmcnt(1)
	v_fma_f32 v8, -v26, v16, v8
	v_mul_f32_e32 v27, v17, v8
	ds_read_b128 v[8:11], v30 offset:1136
	s_waitcnt lgkmcnt(1)
	v_fma_f32 v6, -v31, v12, v6
	v_fma_f32 v6, -v32, v13, v6
	;; [unrolled: 1-line block ×4, first 2 shown]
	ds_read_b128 v[12:15], v30 offset:1152
	s_waitcnt lgkmcnt(1)
	v_fma_f32 v6, -v35, v8, v6
	v_fma_f32 v6, -v36, v9, v6
	;; [unrolled: 1-line block ×4, first 2 shown]
	ds_read_b96 v[16:18], v30 offset:1168
	ds_read_b128 v[8:11], v30 offset:1200
	s_waitcnt lgkmcnt(2)
	v_fma_f32 v6, -v22, v12, v6
	v_fma_f32 v6, -v23, v13, v6
	;; [unrolled: 1-line block ×4, first 2 shown]
	s_waitcnt lgkmcnt(1)
	v_fma_f32 v6, -v26, v16, v6
	v_fma_f32 v6, -v27, v17, v6
	ds_read_b128 v[12:15], v30 offset:1216
	v_mul_f32_e32 v28, v18, v6
	s_waitcnt lgkmcnt(1)
	v_fma_f32 v6, -v31, v8, v7
	v_fma_f32 v6, -v32, v9, v6
	;; [unrolled: 1-line block ×4, first 2 shown]
	ds_read_b128 v[6:9], v30 offset:1232
	s_waitcnt lgkmcnt(1)
	v_fma_f32 v10, -v35, v12, v10
	v_fma_f32 v10, -v36, v13, v10
	;; [unrolled: 1-line block ×4, first 2 shown]
	s_waitcnt lgkmcnt(0)
	v_fma_f32 v6, -v22, v6, v10
	ds_read_b128 v[10:13], v30 offset:1248
	v_fma_f32 v6, -v23, v7, v6
	v_fma_f32 v6, -v24, v8, v6
	;; [unrolled: 1-line block ×3, first 2 shown]
	ds_read_b128 v[6:9], v30 offset:1280
	s_waitcnt lgkmcnt(1)
	v_fma_f32 v10, -v26, v10, v14
	v_fma_f32 v10, -v27, v11, v10
	v_fma_f32 v10, -v28, v12, v10
	v_mul_f32_e32 v37, v13, v10
	ds_write2_b32 v29, v26, v27 offset0:128 offset1:148
	ds_write2_b32 v29, v28, v37 offset0:168 offset1:188
	ds_read_b128 v[10:13], v30 offset:1296
	ds_read_b128 v[14:17], v30 offset:1312
	s_waitcnt lgkmcnt(4)
	v_fma_f32 v4, -v31, v6, v4
	v_fma_f32 v4, -v32, v7, v4
	;; [unrolled: 1-line block ×4, first 2 shown]
	s_waitcnt lgkmcnt(1)
	v_fma_f32 v4, -v35, v10, v4
	v_fma_f32 v4, -v36, v11, v4
	v_fma_f32 v4, -v20, v12, v4
	v_fma_f32 v4, -v21, v13, v4
	ds_read_b128 v[6:9], v30 offset:1328
	s_waitcnt lgkmcnt(1)
	v_fma_f32 v4, -v22, v14, v4
	ds_read_b32 v14, v30 offset:1344
	v_fma_f32 v4, -v23, v15, v4
	v_fma_f32 v4, -v24, v16, v4
	;; [unrolled: 1-line block ×3, first 2 shown]
	ds_read_b128 v[10:13], v30 offset:1360
	s_waitcnt lgkmcnt(2)
	v_fma_f32 v4, -v26, v6, v4
	v_fma_f32 v4, -v27, v7, v4
	;; [unrolled: 1-line block ×4, first 2 shown]
	ds_read_b128 v[6:9], v30 offset:1376
	s_waitcnt lgkmcnt(2)
	v_mul_f32_e32 v38, v14, v4
	s_waitcnt lgkmcnt(1)
	v_fma_f32 v4, -v31, v10, v5
	v_fma_f32 v4, -v32, v11, v4
	v_fma_f32 v4, -v33, v12, v4
	v_fma_f32 v4, -v34, v13, v4
	ds_read_b128 v[10:13], v30 offset:1392
	s_waitcnt lgkmcnt(1)
	v_fma_f32 v4, -v35, v6, v4
	v_fma_f32 v4, -v36, v7, v4
	;; [unrolled: 1-line block ×4, first 2 shown]
	ds_read_b128 v[4:7], v30 offset:1408
	s_waitcnt lgkmcnt(1)
	v_fma_f32 v8, -v22, v10, v8
	v_fma_f32 v8, -v23, v11, v8
	;; [unrolled: 1-line block ×4, first 2 shown]
	ds_read_b64 v[12:13], v30 offset:1424
	s_waitcnt lgkmcnt(1)
	v_fma_f32 v4, -v26, v4, v8
	ds_read_b128 v[8:11], v30 offset:1440
	v_fma_f32 v4, -v27, v5, v4
	v_fma_f32 v4, -v28, v6, v4
	;; [unrolled: 1-line block ×3, first 2 shown]
	s_waitcnt lgkmcnt(1)
	v_fma_f32 v4, -v38, v12, v4
	v_mul_f32_e32 v39, v13, v4
	ds_read_b128 v[4:7], v30 offset:1456
	s_waitcnt lgkmcnt(1)
	v_fma_f32 v2, -v31, v8, v2
	v_fma_f32 v2, -v32, v9, v2
	;; [unrolled: 1-line block ×4, first 2 shown]
	ds_read_b128 v[8:11], v30 offset:1472
	s_waitcnt lgkmcnt(1)
	v_fma_f32 v2, -v35, v4, v2
	v_fma_f32 v2, -v36, v5, v2
	v_fma_f32 v2, -v20, v6, v2
	v_fma_f32 v2, -v21, v7, v2
	ds_read_b128 v[4:7], v30 offset:1488
	s_waitcnt lgkmcnt(1)
	v_fma_f32 v2, -v22, v8, v2
	v_fma_f32 v2, -v23, v9, v2
	;; [unrolled: 1-line block ×3, first 2 shown]
	ds_read_b96 v[8:10], v30 offset:1504
	v_fma_f32 v2, -v25, v11, v2
	s_waitcnt lgkmcnt(1)
	v_fma_f32 v2, -v26, v4, v2
	v_fma_f32 v2, -v27, v5, v2
	;; [unrolled: 1-line block ×4, first 2 shown]
	ds_read_b128 v[4:7], v30 offset:1520
	s_waitcnt lgkmcnt(1)
	v_fma_f32 v2, -v38, v8, v2
	v_fma_f32 v2, -v39, v9, v2
	ds_write2_b32 v29, v38, v39 offset0:208 offset1:228
	v_mul_f32_e32 v29, v10, v2
	s_waitcnt lgkmcnt(1)
	v_fma_f32 v2, -v31, v4, v3
	ds_read_b128 v[8:11], v30 offset:1536
	ds_read_b128 v[12:15], v30 offset:1552
	;; [unrolled: 1-line block ×3, first 2 shown]
	v_fma_f32 v2, -v32, v5, v2
	v_fma_f32 v2, -v33, v6, v2
	;; [unrolled: 1-line block ×3, first 2 shown]
	s_waitcnt lgkmcnt(2)
	v_fma_f32 v2, -v35, v8, v2
	v_fma_f32 v2, -v36, v9, v2
	;; [unrolled: 1-line block ×4, first 2 shown]
	s_waitcnt lgkmcnt(1)
	v_fma_f32 v2, -v22, v12, v2
	v_fma_f32 v2, -v23, v13, v2
	;; [unrolled: 1-line block ×4, first 2 shown]
	ds_read_b128 v[2:5], v30 offset:1584
	s_waitcnt lgkmcnt(1)
	v_fma_f32 v6, -v26, v16, v6
	v_fma_f32 v6, -v27, v17, v6
	v_fma_f32 v6, -v28, v18, v6
	v_fma_f32 v6, -v37, v19, v6
	s_waitcnt lgkmcnt(0)
	v_fma_f32 v2, -v38, v2, v6
	v_fma_f32 v2, -v39, v3, v2
	;; [unrolled: 1-line block ×3, first 2 shown]
	v_mul_f32_e32 v2, v5, v2
	ds_write2_b32 v1, v29, v2 offset0:120 offset1:140
.LBB21_30:
	s_cmp_lt_i32 s6, s26
	s_cbranch_scc0 .LBB21_51
; %bb.31:
	s_add_i32 s14, s6, 15
	s_cmp_ge_u32 s14, s26
	s_cbranch_scc1 .LBB21_40
; %bb.32:
	s_mul_i32 s15, s6, 20
	v_add_lshl_u32 v17, s15, v0, 2
	v_add_u32_e32 v1, 0x400, v17
	ds_read2_b32 v[14:15], v1 offset0:144 offset1:164
	ds_read2_b32 v[12:13], v1 offset0:184 offset1:204
	;; [unrolled: 1-line block ×3, first 2 shown]
	v_add_u32_e32 v1, 0x800, v17
	ds_read2_b32 v[8:9], v1 offset0:8 offset1:28
	ds_read2_b32 v[6:7], v1 offset0:48 offset1:68
	;; [unrolled: 1-line block ×4, first 2 shown]
	s_add_i32 s18, s15, 0x12c
	v_add_lshl_u32 v1, s18, v0, 2
	ds_read_b32 v16, v17 offset:2720
	ds_read_b32 v1, v1 offset:1600
	s_andn2_b64 vcc, exec, s[8:9]
	s_cbranch_vccnz .LBB21_39
; %bb.33:
	s_max_u32 s9, s6, 1
	s_cmp_eq_u32 s9, 1
	s_cbranch_scc1 .LBB21_36
; %bb.34:
	v_mov_b32_e32 v18, 0x640
	s_and_b32 s8, s9, 20
	s_mul_i32 s19, s6, 0x50
	v_lshl_add_u32 v18, v0, 2, v18
	s_mov_b32 s20, 0
.LBB21_35:                              ; =>This Inner Loop Header: Depth=1
	v_mov_b32_e32 v19, s19
	ds_read2_b32 v[52:53], v18 offset1:20
	ds_read2_b64 v[20:23], v19 offset1:10
	ds_read2_b64 v[24:27], v19 offset0:20 offset1:30
	ds_read2_b64 v[28:31], v19 offset0:40 offset1:50
	;; [unrolled: 1-line block ×7, first 2 shown]
	s_add_i32 s20, s20, 2
	s_add_i32 s19, s19, 8
	v_add_u32_e32 v18, 0xa0, v18
	s_waitcnt lgkmcnt(7)
	v_fma_f32 v14, -v52, v20, v14
	v_fma_f32 v15, -v52, v22, v15
	s_waitcnt lgkmcnt(6)
	v_fma_f32 v12, -v52, v24, v12
	v_fma_f32 v13, -v52, v26, v13
	s_waitcnt lgkmcnt(5)
	v_fma_f32 v10, -v52, v28, v10
	v_fma_f32 v11, -v52, v30, v11
	s_waitcnt lgkmcnt(4)
	v_fma_f32 v8, -v52, v32, v8
	v_fma_f32 v9, -v52, v34, v9
	s_waitcnt lgkmcnt(3)
	v_fma_f32 v6, -v52, v36, v6
	v_fma_f32 v7, -v52, v38, v7
	s_waitcnt lgkmcnt(2)
	v_fma_f32 v4, -v52, v40, v4
	v_fma_f32 v5, -v52, v42, v5
	s_waitcnt lgkmcnt(1)
	v_fma_f32 v2, -v52, v44, v2
	v_fma_f32 v3, -v52, v46, v3
	s_waitcnt lgkmcnt(0)
	v_fma_f32 v16, -v52, v48, v16
	v_fma_f32 v1, -v52, v50, v1
	s_cmp_lg_u32 s8, s20
	v_fma_f32 v14, -v53, v21, v14
	v_fma_f32 v15, -v53, v23, v15
	;; [unrolled: 1-line block ×16, first 2 shown]
	s_cbranch_scc1 .LBB21_35
	s_branch .LBB21_37
.LBB21_36:
	s_mov_b32 s8, 0
.LBB21_37:
	s_bitcmp0_b32 s9, 0
	s_cbranch_scc1 .LBB21_39
; %bb.38:
	s_mul_i32 s9, s8, 20
	v_add_lshl_u32 v22, s9, v0, 2
	s_add_i32 s9, s15, s8
	s_lshl_b32 s9, s9, 2
	v_mov_b32_e32 v24, s9
	ds_read2_b32 v[18:19], v24 offset1:20
	ds_read2_b32 v[20:21], v24 offset0:40 offset1:60
	ds_read_b32 v25, v22 offset:1600
	s_add_i32 s18, s18, s8
	s_lshl_b32 s8, s18, 2
	v_mov_b32_e32 v22, s8
	ds_read_b32 v26, v24 offset:1120
	ds_read_b32 v27, v22
	ds_read2_b32 v[22:23], v24 offset0:80 offset1:100
	s_waitcnt lgkmcnt(3)
	v_fma_f32 v14, -v25, v18, v14
	v_fma_f32 v15, -v25, v19, v15
	ds_read2_b32 v[18:19], v24 offset0:120 offset1:140
	v_fma_f32 v12, -v25, v20, v12
	s_waitcnt lgkmcnt(1)
	v_fma_f32 v10, -v25, v22, v10
	v_add_u32_e32 v22, 0x200, v24
	v_fma_f32 v13, -v25, v21, v13
	v_fma_f32 v11, -v25, v23, v11
	s_waitcnt lgkmcnt(0)
	v_fma_f32 v8, -v25, v18, v8
	ds_read2_b32 v[20:21], v24 offset0:160 offset1:180
	v_fma_f32 v9, -v25, v19, v9
	ds_read2_b32 v[18:19], v24 offset0:200 offset1:220
	ds_read2_b32 v[22:23], v22 offset0:112 offset1:132
	v_fma_f32 v16, -v25, v26, v16
	s_waitcnt lgkmcnt(2)
	v_fma_f32 v6, -v25, v20, v6
	v_fma_f32 v7, -v25, v21, v7
	s_waitcnt lgkmcnt(1)
	v_fma_f32 v4, -v25, v18, v4
	;; [unrolled: 3-line block ×3, first 2 shown]
	v_fma_f32 v3, -v25, v23, v3
	v_fma_f32 v1, -v25, v27, v1
.LBB21_39:
	s_mul_i32 s8, s6, 0x54
	v_mov_b32_e32 v28, s8
	ds_read2_b32 v[26:27], v28 offset1:84
	s_add_i32 s9, s15, 20
	s_add_i32 s18, s9, s6
	s_lshl_b32 s18, s18, 2
	v_add_u32_e32 v17, 0x640, v17
	s_waitcnt lgkmcnt(0)
	v_mul_f32_e32 v26, v26, v14
	v_mov_b32_e32 v14, s18
	s_add_i32 s18, s15, 40
	s_add_i32 s19, s18, s6
	s_lshl_b32 s19, s19, 2
	ds_read_b64 v[22:23], v14
	v_mov_b32_e32 v14, s19
	ds_read_b96 v[18:20], v14
	ds_write_b32 v17, v26
	s_add_i32 s8, s6, 16
	s_waitcnt lgkmcnt(2)
	v_fma_f32 v14, -v26, v22, v15
	v_mul_f32_e32 v29, v23, v14
	s_waitcnt lgkmcnt(1)
	v_fma_f32 v12, -v26, v18, v12
	v_add_lshl_u32 v14, s9, v0, 2
	v_fma_f32 v12, -v29, v19, v12
	s_add_i32 s9, s15, 60
	v_mul_f32_e32 v30, v20, v12
	v_add_lshl_u32 v12, s18, v0, 2
	s_add_i32 s18, s9, s6
	s_lshl_b32 s18, s18, 2
	ds_write_b32 v12, v30 offset:1600
	v_mov_b32_e32 v12, s18
	ds_read_b128 v[18:21], v12
	s_add_i32 s18, s15, 0x50
	s_add_i32 s19, s18, s6
	s_lshl_b32 s19, s19, 2
	v_mov_b32_e32 v12, s19
	ds_read_b128 v[22:25], v12
	s_waitcnt lgkmcnt(1)
	v_fma_f32 v12, -v26, v18, v13
	v_fma_f32 v12, -v29, v19, v12
	;; [unrolled: 1-line block ×3, first 2 shown]
	v_mul_f32_e32 v21, v21, v12
	v_add_lshl_u32 v12, s9, v0, 2
	s_add_i32 s9, s15, 0x64
	s_add_i32 s19, s9, s6
	s_lshl_b32 s19, s19, 2
	v_mov_b32_e32 v17, s19
	ds_write_b32 v14, v29 offset:1600
	ds_write_b32 v12, v21 offset:1600
	s_waitcnt lgkmcnt(2)
	v_fma_f32 v10, -v26, v22, v10
	ds_read_b128 v[12:15], v17
	ds_read_b64 v[18:19], v17 offset:16
	v_fma_f32 v10, -v29, v23, v10
	v_fma_f32 v10, -v30, v24, v10
	;; [unrolled: 1-line block ×3, first 2 shown]
	v_mul_f32_e32 v22, v27, v10
	v_add_lshl_u32 v10, s18, v0, 2
	ds_write_b32 v10, v22 offset:1600
	s_waitcnt lgkmcnt(2)
	v_fma_f32 v10, -v26, v12, v11
	v_fma_f32 v10, -v29, v13, v10
	s_add_i32 s18, s15, 0x78
	v_fma_f32 v10, -v30, v14, v10
	s_add_i32 s19, s18, s6
	v_fma_f32 v10, -v21, v15, v10
	s_lshl_b32 s19, s19, 2
	s_waitcnt lgkmcnt(1)
	v_fma_f32 v14, -v22, v18, v10
	v_mov_b32_e32 v15, s19
	ds_read_b128 v[10:13], v15
	v_mul_f32_e32 v23, v19, v14
	v_add_lshl_u32 v14, s9, v0, 2
	s_add_i32 s9, s15, 0x8c
	s_add_i32 s19, s9, s6
	s_lshl_b32 s19, s19, 2
	v_mov_b32_e32 v17, s19
	ds_read_b96 v[18:20], v17 offset:16
	ds_write_b32 v14, v23 offset:1600
	ds_read_b64 v[14:15], v15 offset:16
	s_waitcnt lgkmcnt(3)
	v_fma_f32 v8, -v26, v10, v8
	v_fma_f32 v8, -v29, v11, v8
	;; [unrolled: 1-line block ×4, first 2 shown]
	ds_read_b128 v[10:13], v17
	s_waitcnt lgkmcnt(1)
	v_fma_f32 v8, -v22, v14, v8
	v_fma_f32 v8, -v23, v15, v8
	ds_read2_b32 v[14:15], v28 offset0:126 offset1:147
	s_waitcnt lgkmcnt(0)
	v_mul_f32_e32 v24, v14, v8
	v_add_lshl_u32 v8, s18, v0, 2
	ds_write_b32 v8, v24 offset:1600
	v_fma_f32 v8, -v26, v10, v9
	v_fma_f32 v8, -v29, v11, v8
	;; [unrolled: 1-line block ×3, first 2 shown]
	s_add_i32 s18, s15, 0xa0
	v_fma_f32 v8, -v21, v13, v8
	s_add_i32 s19, s18, s6
	v_fma_f32 v8, -v22, v18, v8
	s_lshl_b32 s19, s19, 2
	v_fma_f32 v8, -v23, v19, v8
	v_mov_b32_e32 v13, s19
	v_fma_f32 v12, -v24, v20, v8
	ds_read_b128 v[8:11], v13
	v_mul_f32_e32 v25, v15, v12
	v_add_lshl_u32 v12, s9, v0, 2
	ds_write_b32 v12, v25 offset:1600
	ds_read_b128 v[12:15], v13 offset:16
	s_waitcnt lgkmcnt(2)
	v_fma_f32 v6, -v26, v8, v6
	s_add_i32 s9, s15, 0xb4
	v_fma_f32 v6, -v29, v9, v6
	s_add_i32 s19, s9, s6
	v_fma_f32 v6, -v30, v10, v6
	s_lshl_b32 s19, s19, 2
	v_fma_f32 v6, -v21, v11, v6
	ds_read2_b32 v[18:19], v28 offset0:168 offset1:189
	v_mov_b32_e32 v17, s19
	ds_read_b128 v[8:11], v17
	s_waitcnt lgkmcnt(2)
	v_fma_f32 v6, -v22, v12, v6
	v_fma_f32 v6, -v23, v13, v6
	;; [unrolled: 1-line block ×4, first 2 shown]
	s_waitcnt lgkmcnt(1)
	v_mul_f32_e32 v27, v18, v6
	v_add_lshl_u32 v6, s18, v0, 2
	ds_read_b128 v[12:15], v17 offset:16
	ds_write_b32 v6, v27 offset:1600
	s_waitcnt lgkmcnt(2)
	v_fma_f32 v6, -v26, v8, v7
	v_fma_f32 v6, -v29, v9, v6
	;; [unrolled: 1-line block ×4, first 2 shown]
	s_add_i32 s18, s15, 0xc8
	s_waitcnt lgkmcnt(1)
	v_fma_f32 v6, -v22, v12, v6
	ds_read_b32 v11, v17 offset:32
	s_add_i32 s19, s18, s6
	v_fma_f32 v6, -v23, v13, v6
	s_lshl_b32 s19, s19, 2
	v_fma_f32 v6, -v24, v14, v6
	v_mov_b32_e32 v14, s19
	v_fma_f32 v10, -v25, v15, v6
	ds_read_b128 v[6:9], v14
	s_waitcnt lgkmcnt(1)
	v_fma_f32 v10, -v27, v11, v10
	v_mul_f32_e32 v31, v19, v10
	v_add_lshl_u32 v10, s9, v0, 2
	ds_write_b32 v10, v31 offset:1600
	ds_read_b128 v[10:13], v14 offset:16
	ds_read_b64 v[14:15], v14 offset:32
	s_waitcnt lgkmcnt(3)
	v_fma_f32 v4, -v26, v6, v4
	v_fma_f32 v4, -v29, v7, v4
	;; [unrolled: 1-line block ×4, first 2 shown]
	s_waitcnt lgkmcnt(1)
	v_fma_f32 v4, -v22, v10, v4
	v_fma_f32 v4, -v23, v11, v4
	;; [unrolled: 1-line block ×3, first 2 shown]
	s_add_i32 s9, s15, 0xdc
	v_fma_f32 v4, -v25, v13, v4
	s_add_i32 s19, s9, s6
	s_waitcnt lgkmcnt(0)
	v_fma_f32 v4, -v27, v14, v4
	s_lshl_b32 s19, s19, 2
	v_fma_f32 v4, -v31, v15, v4
	ds_read2_b32 v[14:15], v28 offset0:210 offset1:231
	v_mov_b32_e32 v17, s19
	ds_read_b128 v[6:9], v17
	ds_read_b128 v[10:13], v17 offset:16
	s_waitcnt lgkmcnt(2)
	v_mul_f32_e32 v32, v14, v4
	v_add_lshl_u32 v4, s18, v0, 2
	ds_write_b32 v4, v32 offset:1600
	s_waitcnt lgkmcnt(2)
	v_fma_f32 v4, -v26, v6, v5
	v_fma_f32 v4, -v29, v7, v4
	;; [unrolled: 1-line block ×4, first 2 shown]
	s_waitcnt lgkmcnt(1)
	v_fma_f32 v4, -v22, v10, v4
	ds_read_b96 v[8:10], v17 offset:32
	s_add_i32 s18, s15, 0xf0
	v_fma_f32 v4, -v23, v11, v4
	s_add_i32 s19, s18, s6
	v_fma_f32 v4, -v24, v12, v4
	s_lshl_b32 s19, s19, 2
	v_fma_f32 v11, -v25, v13, v4
	v_mov_b32_e32 v12, s19
	ds_read_b128 v[4:7], v12
	s_waitcnt lgkmcnt(1)
	v_fma_f32 v8, -v27, v8, v11
	v_fma_f32 v8, -v31, v9, v8
	;; [unrolled: 1-line block ×3, first 2 shown]
	v_mul_f32_e32 v33, v15, v8
	v_add_lshl_u32 v8, s9, v0, 2
	ds_write_b32 v8, v33 offset:1600
	ds_read_b128 v[8:11], v12 offset:16
	ds_read_b128 v[12:15], v12 offset:32
	s_waitcnt lgkmcnt(3)
	v_fma_f32 v2, -v26, v4, v2
	v_fma_f32 v2, -v29, v5, v2
	;; [unrolled: 1-line block ×4, first 2 shown]
	s_waitcnt lgkmcnt(1)
	v_fma_f32 v2, -v22, v8, v2
	v_fma_f32 v2, -v23, v9, v2
	;; [unrolled: 1-line block ×4, first 2 shown]
	ds_read_b32 v4, v28 offset:1008
	s_waitcnt lgkmcnt(1)
	v_fma_f32 v2, -v27, v12, v2
	v_fma_f32 v2, -v31, v13, v2
	;; [unrolled: 1-line block ×4, first 2 shown]
	s_add_i32 s9, s15, 0x104
	s_waitcnt lgkmcnt(0)
	v_mul_f32_e32 v28, v4, v2
	v_add_lshl_u32 v2, s18, v0, 2
	s_add_i32 s18, s9, s6
	s_lshl_b32 s18, s18, 2
	v_mov_b32_e32 v17, s18
	ds_read_b128 v[4:7], v17
	ds_write_b32 v2, v28 offset:1600
	ds_read_b128 v[8:11], v17 offset:16
	ds_read_b128 v[12:15], v17 offset:32
	ds_read_b64 v[18:19], v17 offset:48
	s_waitcnt lgkmcnt(4)
	v_fma_f32 v2, -v26, v4, v3
	v_fma_f32 v2, -v29, v5, v2
	;; [unrolled: 1-line block ×4, first 2 shown]
	s_waitcnt lgkmcnt(2)
	v_fma_f32 v2, -v22, v8, v2
	v_fma_f32 v2, -v23, v9, v2
	;; [unrolled: 1-line block ×4, first 2 shown]
	s_waitcnt lgkmcnt(1)
	v_fma_f32 v2, -v27, v12, v2
	v_fma_f32 v2, -v31, v13, v2
	v_add_lshl_u32 v6, s9, v0, 2
	s_add_i32 s9, s15, 0x118
	v_fma_f32 v2, -v32, v14, v2
	s_add_i32 s15, s9, s6
	v_fma_f32 v2, -v33, v15, v2
	s_lshl_b32 s15, s15, 2
	s_waitcnt lgkmcnt(0)
	v_fma_f32 v2, -v28, v18, v2
	v_mov_b32_e32 v14, s15
	v_mul_f32_e32 v34, v19, v2
	ds_read_b128 v[2:5], v14
	ds_write_b32 v6, v34 offset:1600
	ds_read_b128 v[6:9], v14 offset:16
	ds_read_b128 v[10:13], v14 offset:32
	ds_read_b96 v[18:20], v14 offset:48
	s_waitcnt lgkmcnt(4)
	v_fma_f32 v2, -v26, v2, v16
	v_fma_f32 v2, -v29, v3, v2
	;; [unrolled: 1-line block ×4, first 2 shown]
	s_waitcnt lgkmcnt(2)
	v_fma_f32 v2, -v22, v6, v2
	v_fma_f32 v2, -v23, v7, v2
	;; [unrolled: 1-line block ×4, first 2 shown]
	s_waitcnt lgkmcnt(1)
	v_fma_f32 v2, -v27, v10, v2
	v_fma_f32 v2, -v31, v11, v2
	;; [unrolled: 1-line block ×3, first 2 shown]
	v_add_lshl_u32 v6, s9, v0, 2
	s_mul_i32 s9, s14, 20
	v_fma_f32 v2, -v33, v13, v2
	s_add_i32 s6, s9, s6
	s_waitcnt lgkmcnt(0)
	v_fma_f32 v2, -v28, v18, v2
	s_lshl_b32 s6, s6, 2
	v_fma_f32 v2, -v34, v19, v2
	v_mov_b32_e32 v14, s6
	v_mul_f32_e32 v18, v20, v2
	ds_read_b128 v[2:5], v14
	ds_write_b32 v6, v18 offset:1600
	ds_read_b128 v[6:9], v14 offset:16
	ds_read_b128 v[10:13], v14 offset:32
	ds_read_b128 v[14:17], v14 offset:48
	s_mov_b32 s6, s8
	s_waitcnt lgkmcnt(4)
	v_fma_f32 v1, -v26, v2, v1
	v_fma_f32 v1, -v29, v3, v1
	v_fma_f32 v1, -v30, v4, v1
	v_fma_f32 v1, -v21, v5, v1
	s_waitcnt lgkmcnt(2)
	v_fma_f32 v1, -v22, v6, v1
	v_fma_f32 v1, -v23, v7, v1
	v_fma_f32 v1, -v24, v8, v1
	v_fma_f32 v1, -v25, v9, v1
	;; [unrolled: 5-line block ×3, first 2 shown]
	s_waitcnt lgkmcnt(0)
	v_fma_f32 v1, -v28, v14, v1
	v_fma_f32 v1, -v34, v15, v1
	;; [unrolled: 1-line block ×3, first 2 shown]
	v_mul_f32_e32 v1, v17, v1
	v_add_lshl_u32 v2, s9, v0, 2
	ds_write_b32 v2, v1 offset:1600
.LBB21_40:
	s_cmp_ge_i32 s6, s26
	s_cbranch_scc1 .LBB21_51
; %bb.41:
	v_mov_b32_e32 v1, 0x640
	s_add_i32 s8, s6, -1
	s_mul_i32 s9, s6, 0x50
	v_lshl_add_u32 v1, v0, 2, v1
	s_mov_b32 s14, 0
	s_mov_b32 s15, s6
	s_branch .LBB21_43
.LBB21_42:                              ;   in Loop: Header=BB21_43 Depth=1
	s_mul_i32 s18, s6, 0x54
	v_mov_b32_e32 v4, s18
	ds_read_b32 v4, v4
	s_add_i32 s6, s6, 1
	s_add_i32 s14, s14, 1
	s_addk_i32 s9, 0x50
	v_add_u16_e64 v5, s15, 1
	v_add_u32_e32 v3, 0x640, v3
	s_waitcnt lgkmcnt(0)
	v_mul_f32_e32 v2, v4, v2
	s_cmp_ge_i32 s6, s26
	v_readfirstlane_b32 s15, v5
	ds_write_b32 v3, v2
	s_cbranch_scc1 .LBB21_51
.LBB21_43:                              ; =>This Loop Header: Depth=1
                                        ;     Child Loop BB21_46 Depth 2
                                        ;     Child Loop BB21_50 Depth 2
	s_mul_i32 s18, s6, 20
	v_add_lshl_u32 v3, s18, v0, 2
	ds_read_b32 v2, v3 offset:1600
	s_cmp_eq_u32 s6, 0
	s_cbranch_scc1 .LBB21_42
; %bb.44:                               ;   in Loop: Header=BB21_43 Depth=1
	s_add_i32 s18, s8, s14
	s_cmp_lt_u32 s18, 7
	s_cbranch_scc1 .LBB21_48
; %bb.45:                               ;   in Loop: Header=BB21_43 Depth=1
	s_and_b32 s18, s6, -8
	s_mov_b32 s19, 0
	v_mov_b32_e32 v4, v1
	s_mov_b32 s20, s9
.LBB21_46:                              ;   Parent Loop BB21_43 Depth=1
                                        ; =>  This Inner Loop Header: Depth=2
	v_mov_b32_e32 v5, s20
	ds_read2_b32 v[14:15], v4 offset1:20
	ds_read2_b32 v[16:17], v4 offset0:40 offset1:60
	ds_read2_b32 v[18:19], v4 offset0:80 offset1:100
	;; [unrolled: 1-line block ×3, first 2 shown]
	ds_read_b128 v[6:9], v5
	ds_read_b128 v[10:13], v5 offset:16
	s_add_i32 s19, s19, 8
	s_add_i32 s20, s20, 32
	v_add_u32_e32 v4, 0x280, v4
	s_waitcnt lgkmcnt(1)
	v_fma_f32 v2, -v14, v6, v2
	v_fma_f32 v2, -v15, v7, v2
	;; [unrolled: 1-line block ×4, first 2 shown]
	s_waitcnt lgkmcnt(0)
	v_fma_f32 v2, -v18, v10, v2
	v_fma_f32 v2, -v19, v11, v2
	;; [unrolled: 1-line block ×3, first 2 shown]
	s_cmp_lg_u32 s18, s19
	v_fma_f32 v2, -v21, v13, v2
	s_cbranch_scc1 .LBB21_46
; %bb.47:                               ;   in Loop: Header=BB21_43 Depth=1
	s_and_b32 s19, s6, 7
	s_cmp_eq_u32 s19, 0
	s_cbranch_scc0 .LBB21_49
	s_branch .LBB21_42
.LBB21_48:                              ;   in Loop: Header=BB21_43 Depth=1
	s_mov_b32 s18, 0
	s_and_b32 s19, s6, 7
	s_cmp_eq_u32 s19, 0
	s_cbranch_scc1 .LBB21_42
.LBB21_49:                              ;   in Loop: Header=BB21_43 Depth=1
	s_lshl_b32 s20, s18, 2
	s_mulk_i32 s18, 0x50
	s_and_b32 s19, s15, 7
	v_add_u32_e32 v4, s18, v1
.LBB21_50:                              ;   Parent Loop BB21_43 Depth=1
                                        ; =>  This Inner Loop Header: Depth=2
	s_add_i32 s18, s9, s20
	v_mov_b32_e32 v6, s18
	ds_read_b32 v5, v4
	ds_read_b32 v6, v6
	s_add_i32 s20, s20, 4
	s_add_i32 s19, s19, -1
	v_add_u32_e32 v4, 0x50, v4
	s_cmp_lg_u32 s19, 0
	s_waitcnt lgkmcnt(0)
	v_fma_f32 v2, -v5, v6, v2
	s_cbranch_scc1 .LBB21_50
	s_branch .LBB21_42
.LBB21_51:
	s_mov_b64 s[8:9], 0
.LBB21_52:
	s_and_b64 vcc, exec, s[8:9]
	s_cbranch_vccz .LBB21_74
; %bb.53:
	s_add_i32 s6, s26, -1
	s_cmp_gt_i32 s10, 19
	s_mov_b32 s8, s6
	s_cbranch_scc0 .LBB21_55
; %bb.54:
	s_mul_i32 s8, s6, 20
	s_mul_i32 s35, s26, 20
	v_add_lshl_u32 v1, s8, v0, 2
	s_sub_i32 s34, s35, 40
	s_sub_i32 s33, s35, 60
	s_add_i32 s31, s35, 0xffffffb0
	s_add_i32 s30, s35, 0xffffff9c
	;; [unrolled: 1-line block ×17, first 2 shown]
	s_sub_i32 s35, s35, 20
	v_add_lshl_u32 v8, s34, v0, 2
	v_add_lshl_u32 v12, s33, v0, 2
	;; [unrolled: 1-line block ×7, first 2 shown]
	ds_read_b32 v4, v1 offset:1600
	ds_read_b32 v5, v8 offset:1600
	;; [unrolled: 1-line block ×8, first 2 shown]
	v_add_lshl_u32 v1, s36, v0, 2
	s_add_i32 s36, s26, s35
	s_lshl_b32 s36, s36, 2
	s_add_i32 s36, s36, -8
	v_add_lshl_u32 v44, s25, v0, 2
	v_add_lshl_u32 v13, s14, v0, 2
	v_mov_b32_e32 v6, s36
	s_mul_i32 s36, s6, 0x54
	v_add_lshl_u32 v45, s24, v0, 2
	v_add_lshl_u32 v50, s23, v0, 2
	;; [unrolled: 1-line block ×7, first 2 shown]
	ds_read_b32 v46, v44 offset:1600
	ds_read_b32 v47, v45 offset:1600
	;; [unrolled: 1-line block ×8, first 2 shown]
	v_add_lshl_u32 v11, s9, v0, 2
	v_add_lshl_u32 v2, s8, v0, 2
	ds_read_b32 v21, v13 offset:1600
	ds_read_b32 v15, v11 offset:1600
	;; [unrolled: 1-line block ×4, first 2 shown]
	ds_read2_b32 v[6:7], v6 offset1:1
	s_add_i32 s37, s36, 0xffffffac
	v_mov_b32_e32 v9, s37
	ds_read_b32 v9, v9
	s_add_i32 s37, s26, -4
	s_add_i32 s38, s37, s35
	s_waitcnt lgkmcnt(1)
	v_mul_f32_e32 v4, v7, v4
	s_lshl_b32 s38, s38, 2
	v_fma_f32 v5, -v4, v6, v5
	v_mov_b32_e32 v6, s38
	s_add_i32 s38, s37, s34
	s_add_i32 s37, s37, s33
	v_add_lshl_u32 v7, s35, v0, 2
	s_waitcnt lgkmcnt(0)
	v_mul_f32_e32 v5, v9, v5
	s_lshl_b32 s37, s37, 2
	ds_write_b32 v7, v4 offset:1600
	ds_write_b32 v8, v5 offset:1600
	s_lshl_b32 s38, s38, 2
	v_mov_b32_e32 v22, s37
	v_mov_b32_e32 v7, s38
	s_add_i32 s37, s36, 0xffffff04
	ds_read2_b32 v[8:9], v6 offset1:1
	ds_read2_b32 v[16:17], v7 offset1:1
	ds_read2_b32 v[22:23], v22 offset1:1
	v_mov_b32_e32 v6, s37
	ds_read_b32 v7, v6
	s_waitcnt lgkmcnt(3)
	v_fma_f32 v6, -v4, v9, v28
	s_waitcnt lgkmcnt(2)
	v_fma_f32 v6, -v5, v17, v6
	v_fma_f32 v8, -v4, v8, v29
	s_add_i32 s37, s26, -6
	s_waitcnt lgkmcnt(1)
	v_mul_f32_e32 v6, v23, v6
	v_fma_f32 v8, -v5, v16, v8
	s_add_i32 s38, s37, s35
	v_fma_f32 v8, -v6, v22, v8
	s_lshl_b32 s38, s38, 2
	s_waitcnt lgkmcnt(0)
	v_mul_f32_e32 v7, v7, v8
	v_mov_b32_e32 v8, s38
	s_add_i32 s38, s37, s34
	s_lshl_b32 s38, s38, 2
	v_mov_b32_e32 v9, s38
	s_add_i32 s38, s37, s33
	s_lshl_b32 s38, s38, 2
	ds_write_b32 v12, v6 offset:1600
	v_mov_b32_e32 v12, s38
	s_add_i32 s38, s37, s31
	s_lshl_b32 s38, s38, 2
	s_add_i32 s37, s37, s30
	v_mov_b32_e32 v30, s38
	s_lshl_b32 s37, s37, 2
	ds_read2_b32 v[16:17], v8 offset1:1
	ds_read2_b32 v[22:23], v9 offset1:1
	;; [unrolled: 1-line block ×4, first 2 shown]
	v_mov_b32_e32 v9, s37
	s_add_i32 s37, s36, 0xfffffe5c
	v_mov_b32_e32 v12, s37
	s_add_i32 s37, s26, -8
	s_add_i32 s38, s37, s35
	s_lshl_b32 s38, s38, 2
	ds_write_b32 v14, v7 offset:1600
	v_mov_b32_e32 v14, s38
	s_add_i32 s38, s37, s34
	s_lshl_b32 s38, s38, 2
	s_waitcnt lgkmcnt(4)
	v_fma_f32 v8, -v4, v17, v32
	ds_read2_b32 v[32:33], v9 offset1:1
	v_mov_b32_e32 v9, s38
	s_add_i32 s38, s37, s33
	s_lshl_b32 s38, s38, 2
	s_waitcnt lgkmcnt(4)
	v_fma_f32 v8, -v5, v23, v8
	ds_read_b32 v12, v12
	ds_read2_b32 v[34:35], v14 offset1:1
	ds_read2_b32 v[36:37], v9 offset1:1
	v_fma_f32 v9, -v4, v16, v41
	v_mov_b32_e32 v14, s38
	s_add_i32 s38, s37, s31
	s_waitcnt lgkmcnt(6)
	v_fma_f32 v8, -v6, v29, v8
	v_fma_f32 v9, -v5, v22, v9
	s_lshl_b32 s38, s38, 2
	s_waitcnt lgkmcnt(5)
	v_fma_f32 v8, -v7, v31, v8
	v_fma_f32 v9, -v6, v28, v9
	v_mov_b32_e32 v22, s38
	s_add_i32 s38, s37, s30
	s_waitcnt lgkmcnt(3)
	v_mul_f32_e32 v8, v33, v8
	v_fma_f32 v9, -v7, v30, v9
	s_lshl_b32 s38, s38, 2
	ds_write_b32 v27, v8 offset:1600
	v_fma_f32 v9, -v8, v32, v9
	v_mov_b32_e32 v27, s38
	s_add_i32 s38, s37, s29
	s_waitcnt lgkmcnt(3)
	v_mul_f32_e32 v9, v12, v9
	s_lshl_b32 s38, s38, 2
	ds_write_b32 v38, v9 offset:1600
	v_mov_b32_e32 v30, s38
	s_add_i32 s38, s36, 0xfffffe08
	s_waitcnt lgkmcnt(3)
	v_fma_f32 v12, -v4, v35, v42
	ds_read2_b32 v[16:17], v14 offset1:1
	ds_read2_b32 v[22:23], v22 offset1:1
	;; [unrolled: 1-line block ×4, first 2 shown]
	v_mov_b32_e32 v14, s38
	s_waitcnt lgkmcnt(6)
	v_fma_f32 v12, -v5, v37, v12
	ds_read_b32 v14, v14
	s_waitcnt lgkmcnt(4)
	v_fma_f32 v12, -v6, v17, v12
	s_waitcnt lgkmcnt(3)
	v_fma_f32 v12, -v7, v23, v12
	;; [unrolled: 2-line block ×4, first 2 shown]
	s_waitcnt lgkmcnt(0)
	v_mul_f32_e32 v12, v14, v12
	v_fma_f32 v14, -v4, v34, v43
	s_add_i32 s37, s37, s28
	v_fma_f32 v14, -v5, v36, v14
	s_lshl_b32 s37, s37, 2
	v_fma_f32 v14, -v6, v16, v14
	v_mov_b32_e32 v16, s37
	ds_read_b32 v16, v16
	s_add_i32 s37, s36, 0xfffffdb4
	v_mov_b32_e32 v17, s37
	ds_read_b32 v17, v17
	v_fma_f32 v14, -v7, v22, v14
	s_add_i32 s37, s26, -10
	v_fma_f32 v14, -v8, v28, v14
	s_add_i32 s38, s37, s35
	v_fma_f32 v14, -v9, v30, v14
	s_lshl_b32 s38, s38, 2
	s_waitcnt lgkmcnt(1)
	v_fma_f32 v14, -v12, v16, v14
	v_mov_b32_e32 v16, s38
	s_add_i32 s38, s37, s34
	s_lshl_b32 s38, s38, 2
	s_waitcnt lgkmcnt(0)
	v_mul_f32_e32 v14, v17, v14
	v_mov_b32_e32 v17, s38
	s_add_i32 s38, s37, s33
	s_lshl_b32 s38, s38, 2
	v_mov_b32_e32 v27, s38
	s_add_i32 s38, s37, s31
	s_lshl_b32 s38, s38, 2
	v_mov_b32_e32 v32, s38
	s_add_i32 s38, s37, s30
	ds_write_b32 v39, v12 offset:1600
	s_lshl_b32 s38, s38, 2
	ds_read2_b32 v[22:23], v16 offset1:1
	ds_read2_b32 v[28:29], v17 offset1:1
	;; [unrolled: 1-line block ×4, first 2 shown]
	v_mov_b32_e32 v17, s38
	s_add_i32 s38, s37, s29
	s_lshl_b32 s38, s38, 2
	s_waitcnt lgkmcnt(3)
	v_fma_f32 v16, -v4, v23, v46
	v_mov_b32_e32 v23, s38
	s_add_i32 s38, s37, s28
	s_lshl_b32 s38, s38, 2
	v_mov_b32_e32 v27, s38
	s_add_i32 s38, s37, s27
	s_lshl_b32 s38, s38, 2
	ds_write_b32 v40, v14 offset:1600
	s_waitcnt lgkmcnt(3)
	v_fma_f32 v16, -v5, v29, v16
	v_mov_b32_e32 v29, s38
	s_add_i32 s38, s36, 0xfffffd60
	s_waitcnt lgkmcnt(2)
	v_fma_f32 v16, -v6, v31, v16
	ds_read2_b32 v[34:35], v17 offset1:1
	ds_read2_b32 v[36:37], v23 offset1:1
	;; [unrolled: 1-line block ×4, first 2 shown]
	v_mov_b32_e32 v17, s38
	s_waitcnt lgkmcnt(5)
	v_fma_f32 v16, -v7, v33, v16
	ds_read_b32 v17, v17
	s_waitcnt lgkmcnt(4)
	v_fma_f32 v16, -v8, v35, v16
	s_waitcnt lgkmcnt(3)
	v_fma_f32 v16, -v9, v37, v16
	;; [unrolled: 2-line block ×4, first 2 shown]
	s_waitcnt lgkmcnt(0)
	v_mul_f32_e32 v16, v17, v16
	v_fma_f32 v17, -v4, v22, v47
	s_add_i32 s37, s37, s25
	v_fma_f32 v17, -v5, v28, v17
	s_lshl_b32 s37, s37, 2
	v_fma_f32 v17, -v6, v30, v17
	v_mov_b32_e32 v22, s37
	v_fma_f32 v17, -v7, v32, v17
	ds_read_b32 v22, v22
	s_addk_i32 s36, 0xfd0c
	v_fma_f32 v17, -v8, v34, v17
	v_mov_b32_e32 v23, s36
	ds_read_b32 v23, v23
	v_fma_f32 v17, -v9, v36, v17
	s_add_i32 s36, s26, -12
	v_fma_f32 v17, -v12, v38, v17
	s_add_i32 s37, s36, s35
	v_fma_f32 v17, -v14, v40, v17
	s_lshl_b32 s37, s37, 2
	s_waitcnt lgkmcnt(1)
	v_fma_f32 v17, -v16, v22, v17
	v_mov_b32_e32 v22, s37
	s_add_i32 s37, s36, s34
	s_lshl_b32 s37, s37, 2
	s_waitcnt lgkmcnt(0)
	v_mul_f32_e32 v17, v23, v17
	v_mov_b32_e32 v23, s37
	s_add_i32 s37, s36, s33
	s_lshl_b32 s37, s37, 2
	v_mov_b32_e32 v27, s37
	s_add_i32 s37, s36, s31
	ds_write_b32 v44, v16 offset:1600
	ds_write_b32 v45, v17 offset:1600
	s_lshl_b32 s37, s37, 2
	ds_read2_b32 v[28:29], v22 offset1:1
	ds_read2_b32 v[30:31], v23 offset1:1
	;; [unrolled: 1-line block ×3, first 2 shown]
	v_mov_b32_e32 v22, s37
	s_add_i32 s37, s36, s30
	s_lshl_b32 s37, s37, 2
	v_mov_b32_e32 v23, s37
	s_add_i32 s37, s36, s29
	s_lshl_b32 s37, s37, 2
	v_mov_b32_e32 v27, s37
	s_add_i32 s37, s36, s28
	s_lshl_b32 s37, s37, 2
	ds_read2_b32 v[34:35], v22 offset1:1
	s_waitcnt lgkmcnt(3)
	v_fma_f32 v22, -v4, v29, v48
	v_mov_b32_e32 v29, s37
	s_add_i32 s37, s36, s27
	s_lshl_b32 s37, s37, 2
	s_waitcnt lgkmcnt(2)
	v_fma_f32 v22, -v5, v31, v22
	v_mov_b32_e32 v31, s37
	s_add_i32 s37, s36, s25
	s_lshl_b32 s37, s37, 2
	ds_read2_b32 v[36:37], v23 offset1:1
	ds_read2_b32 v[38:39], v27 offset1:1
	;; [unrolled: 1-line block ×4, first 2 shown]
	v_mov_b32_e32 v23, s37
	s_add_i32 s37, s36, s24
	s_lshl_b32 s37, s37, 2
	s_add_i32 s36, s36, s23
	v_mov_b32_e32 v27, s37
	s_lshl_b32 s36, s36, 2
	v_mov_b32_e32 v29, s36
	ds_read2_b32 v[44:45], v23 offset1:1
	ds_read2_b32 v[46:47], v27 offset1:1
	;; [unrolled: 1-line block ×3, first 2 shown]
	v_fma_f32 v27, -v4, v28, v52
	s_waitcnt lgkmcnt(8)
	v_fma_f32 v22, -v6, v33, v22
	v_fma_f32 v27, -v5, v30, v27
	s_waitcnt lgkmcnt(7)
	v_fma_f32 v22, -v7, v35, v22
	;; [unrolled: 3-line block ×3, first 2 shown]
	s_mul_i32 s36, s26, 0x54
	v_fma_f32 v27, -v7, v34, v27
	s_waitcnt lgkmcnt(5)
	v_fma_f32 v22, -v9, v39, v22
	s_add_i32 s37, s36, 0xfffffc10
	v_fma_f32 v27, -v8, v36, v27
	s_waitcnt lgkmcnt(4)
	v_fma_f32 v22, -v12, v41, v22
	v_mov_b32_e32 v23, s37
	v_fma_f32 v27, -v9, v38, v27
	s_waitcnt lgkmcnt(3)
	v_fma_f32 v22, -v14, v43, v22
	ds_read_b32 v23, v23
	v_fma_f32 v27, -v12, v40, v27
	s_waitcnt lgkmcnt(3)
	v_fma_f32 v22, -v16, v45, v22
	v_fma_f32 v27, -v14, v42, v27
	s_waitcnt lgkmcnt(2)
	v_fma_f32 v22, -v17, v47, v22
	v_fma_f32 v27, -v16, v44, v27
	s_add_i32 s37, s26, -14
	s_waitcnt lgkmcnt(1)
	v_mul_f32_e32 v22, v49, v22
	v_fma_f32 v27, -v17, v46, v27
	s_add_i32 s38, s37, s35
	v_fma_f32 v27, -v22, v48, v27
	s_lshl_b32 s38, s38, 2
	s_waitcnt lgkmcnt(0)
	v_mul_f32_e32 v23, v23, v27
	v_mov_b32_e32 v27, s38
	s_add_i32 s38, s37, s34
	s_lshl_b32 s38, s38, 2
	v_mov_b32_e32 v30, s38
	s_add_i32 s38, s37, s33
	s_lshl_b32 s38, s38, 2
	;; [unrolled: 3-line block ×3, first 2 shown]
	ds_write_b32 v50, v22 offset:1600
	v_mov_b32_e32 v34, s38
	ds_read2_b32 v[28:29], v27 offset1:1
	ds_read2_b32 v[30:31], v30 offset1:1
	;; [unrolled: 1-line block ×4, first 2 shown]
	s_add_i32 s38, s37, s30
	s_lshl_b32 s38, s38, 2
	s_waitcnt lgkmcnt(3)
	v_fma_f32 v27, -v4, v29, v53
	v_mov_b32_e32 v29, s38
	s_add_i32 s38, s37, s29
	s_lshl_b32 s38, s38, 2
	s_waitcnt lgkmcnt(2)
	v_fma_f32 v27, -v5, v31, v27
	v_mov_b32_e32 v31, s38
	;; [unrolled: 5-line block ×3, first 2 shown]
	s_add_i32 s38, s37, s27
	ds_write_b32 v51, v23 offset:1600
	s_lshl_b32 s38, s38, 2
	ds_read2_b32 v[36:37], v29 offset1:1
	ds_read2_b32 v[38:39], v31 offset1:1
	;; [unrolled: 1-line block ×3, first 2 shown]
	v_mov_b32_e32 v29, s38
	s_add_i32 s38, s37, s25
	s_lshl_b32 s38, s38, 2
	ds_read2_b32 v[42:43], v29 offset1:1
	v_mov_b32_e32 v29, s38
	s_add_i32 s38, s37, s24
	s_lshl_b32 s38, s38, 2
	v_mov_b32_e32 v31, s38
	s_add_i32 s38, s37, s23
	s_waitcnt lgkmcnt(5)
	v_fma_f32 v27, -v7, v35, v27
	s_lshl_b32 s38, s38, 2
	s_waitcnt lgkmcnt(3)
	v_fma_f32 v27, -v8, v37, v27
	v_mov_b32_e32 v33, s38
	s_add_i32 s38, s37, s21
	s_add_i32 s37, s37, s20
	s_waitcnt lgkmcnt(2)
	v_fma_f32 v27, -v9, v39, v27
	s_lshl_b32 s38, s38, 2
	s_lshl_b32 s37, s37, 2
	s_waitcnt lgkmcnt(1)
	v_fma_f32 v27, -v12, v41, v27
	v_mov_b32_e32 v35, s38
	ds_read2_b32 v[44:45], v29 offset1:1
	ds_read2_b32 v[46:47], v31 offset1:1
	;; [unrolled: 1-line block ×4, first 2 shown]
	v_mov_b32_e32 v29, s37
	s_waitcnt lgkmcnt(4)
	v_fma_f32 v27, -v14, v43, v27
	s_add_i32 s37, s36, 0xfffffb68
	ds_read2_b32 v[52:53], v29 offset1:1
	s_waitcnt lgkmcnt(4)
	v_fma_f32 v27, -v16, v45, v27
	v_mov_b32_e32 v31, s37
	s_add_i32 s37, s26, -16
	s_waitcnt lgkmcnt(3)
	v_fma_f32 v27, -v17, v47, v27
	s_add_i32 s38, s37, s35
	s_waitcnt lgkmcnt(2)
	v_fma_f32 v27, -v22, v49, v27
	s_lshl_b32 s38, s38, 2
	s_waitcnt lgkmcnt(1)
	v_fma_f32 v27, -v23, v51, v27
	v_mov_b32_e32 v33, s38
	s_add_i32 s38, s37, s34
	s_lshl_b32 s38, s38, 2
	s_waitcnt lgkmcnt(0)
	v_mul_f32_e32 v59, v53, v27
	v_mov_b32_e32 v29, s38
	ds_read_b32 v31, v31
	ds_read2_b32 v[54:55], v33 offset1:1
	ds_read2_b32 v[56:57], v29 offset1:1
	ds_write_b32 v25, v59 offset:1600
	v_fma_f32 v25, -v4, v28, v58
	v_fma_f32 v25, -v5, v30, v25
	;; [unrolled: 1-line block ×13, first 2 shown]
	s_add_i32 s38, s37, s33
	s_waitcnt lgkmcnt(3)
	v_mul_f32_e32 v58, v31, v25
	s_lshl_b32 s38, s38, 2
	ds_write_b32 v24, v58 offset:1600
	v_mov_b32_e32 v24, s38
	s_add_i32 s38, s37, s31
	s_lshl_b32 s38, s38, 2
	s_waitcnt lgkmcnt(3)
	v_fma_f32 v32, -v4, v55, v26
	v_mov_b32_e32 v26, s38
	s_add_i32 s38, s37, s30
	s_lshl_b32 s38, s38, 2
	v_mov_b32_e32 v28, s38
	s_add_i32 s38, s37, s29
	s_lshl_b32 s38, s38, 2
	v_mov_b32_e32 v30, s38
	ds_read2_b32 v[24:25], v24 offset1:1
	ds_read2_b32 v[26:27], v26 offset1:1
	;; [unrolled: 1-line block ×4, first 2 shown]
	s_waitcnt lgkmcnt(6)
	v_fma_f32 v32, -v5, v57, v32
	s_add_i32 s38, s37, s28
	s_waitcnt lgkmcnt(3)
	v_fma_f32 v25, -v6, v25, v32
	s_lshl_b32 s38, s38, 2
	s_waitcnt lgkmcnt(2)
	v_fma_f32 v25, -v7, v27, v25
	v_mov_b32_e32 v27, s38
	s_add_i32 s38, s37, s27
	s_lshl_b32 s38, s38, 2
	s_waitcnt lgkmcnt(1)
	v_fma_f32 v25, -v8, v29, v25
	v_mov_b32_e32 v29, s38
	s_add_i32 s38, s37, s25
	;; [unrolled: 5-line block ×3, first 2 shown]
	s_lshl_b32 s38, s38, 2
	ds_read2_b32 v[32:33], v27 offset1:1
	ds_read2_b32 v[34:35], v29 offset1:1
	;; [unrolled: 1-line block ×3, first 2 shown]
	v_mov_b32_e32 v27, s38
	s_add_i32 s38, s37, s23
	s_lshl_b32 s38, s38, 2
	ds_read2_b32 v[38:39], v27 offset1:1
	v_mov_b32_e32 v27, s38
	s_add_i32 s38, s37, s21
	s_lshl_b32 s38, s38, 2
	v_mov_b32_e32 v29, s38
	s_add_i32 s38, s37, s20
	s_lshl_b32 s38, s38, 2
	s_waitcnt lgkmcnt(3)
	v_fma_f32 v25, -v12, v33, v25
	v_mov_b32_e32 v31, s38
	s_add_i32 s38, s37, s19
	s_add_i32 s37, s37, s18
	s_waitcnt lgkmcnt(2)
	v_fma_f32 v25, -v14, v35, v25
	s_lshl_b32 s38, s38, 2
	s_lshl_b32 s37, s37, 2
	s_waitcnt lgkmcnt(1)
	v_fma_f32 v25, -v16, v37, v25
	v_mov_b32_e32 v33, s38
	ds_read2_b32 v[40:41], v27 offset1:1
	ds_read2_b32 v[42:43], v29 offset1:1
	;; [unrolled: 1-line block ×4, first 2 shown]
	v_mov_b32_e32 v27, s37
	s_waitcnt lgkmcnt(4)
	v_fma_f32 v25, -v17, v39, v25
	s_add_i32 s37, s36, 0xfffffac0
	ds_read2_b32 v[48:49], v27 offset1:1
	s_waitcnt lgkmcnt(4)
	v_fma_f32 v25, -v22, v41, v25
	v_mov_b32_e32 v29, s37
	s_sub_i32 s37, s26, 18
	s_waitcnt lgkmcnt(3)
	v_fma_f32 v25, -v23, v43, v25
	s_add_i32 s38, s37, s35
	s_waitcnt lgkmcnt(2)
	v_fma_f32 v25, -v59, v45, v25
	s_lshl_b32 s38, s38, 2
	s_waitcnt lgkmcnt(1)
	v_fma_f32 v25, -v58, v47, v25
	v_mov_b32_e32 v31, s38
	s_add_i32 s38, s37, s34
	s_lshl_b32 s38, s38, 2
	s_waitcnt lgkmcnt(0)
	v_mul_f32_e32 v57, v49, v25
	v_mov_b32_e32 v27, s38
	ds_read_b32 v29, v29
	ds_read2_b32 v[50:51], v31 offset1:1
	ds_read2_b32 v[52:53], v27 offset1:1
	ds_write_b32 v19, v57 offset:1600
	v_fma_f32 v19, -v4, v54, v20
	v_fma_f32 v19, -v5, v56, v19
	;; [unrolled: 1-line block ×15, first 2 shown]
	s_add_i32 s38, s37, s33
	s_waitcnt lgkmcnt(3)
	v_mul_f32_e32 v56, v29, v19
	s_lshl_b32 s38, s38, 2
	ds_write_b32 v18, v56 offset:1600
	v_mov_b32_e32 v18, s38
	s_add_i32 s38, s37, s31
	s_lshl_b32 s38, s38, 2
	v_mov_b32_e32 v20, s38
	s_add_i32 s38, s37, s30
	s_lshl_b32 s38, s38, 2
	;; [unrolled: 3-line block ×3, first 2 shown]
	v_mov_b32_e32 v26, s38
	s_waitcnt lgkmcnt(3)
	v_fma_f32 v28, -v4, v51, v21
	ds_read2_b32 v[18:19], v18 offset1:1
	ds_read2_b32 v[20:21], v20 offset1:1
	;; [unrolled: 1-line block ×4, first 2 shown]
	s_waitcnt lgkmcnt(6)
	v_fma_f32 v28, -v5, v53, v28
	s_add_i32 s38, s37, s28
	s_waitcnt lgkmcnt(3)
	v_fma_f32 v19, -v6, v19, v28
	s_lshl_b32 s38, s38, 2
	s_waitcnt lgkmcnt(2)
	v_fma_f32 v19, -v7, v21, v19
	v_mov_b32_e32 v21, s38
	s_add_i32 s38, s37, s27
	s_lshl_b32 s38, s38, 2
	s_waitcnt lgkmcnt(1)
	v_fma_f32 v19, -v8, v25, v19
	v_mov_b32_e32 v25, s38
	s_add_i32 s38, s37, s25
	;; [unrolled: 5-line block ×3, first 2 shown]
	s_lshl_b32 s38, s38, 2
	ds_read2_b32 v[28:29], v21 offset1:1
	ds_read2_b32 v[30:31], v25 offset1:1
	ds_read2_b32 v[32:33], v27 offset1:1
	v_mov_b32_e32 v21, s38
	s_add_i32 s38, s37, s23
	s_lshl_b32 s38, s38, 2
	ds_read2_b32 v[34:35], v21 offset1:1
	v_mov_b32_e32 v21, s38
	s_add_i32 s38, s37, s21
	s_lshl_b32 s38, s38, 2
	v_mov_b32_e32 v25, s38
	s_add_i32 s38, s37, s20
	s_lshl_b32 s38, s38, 2
	v_mov_b32_e32 v27, s38
	s_add_i32 s38, s37, s19
	s_waitcnt lgkmcnt(3)
	v_fma_f32 v19, -v12, v29, v19
	s_lshl_b32 s38, s38, 2
	s_waitcnt lgkmcnt(2)
	v_fma_f32 v19, -v14, v31, v19
	v_mov_b32_e32 v29, s38
	s_add_i32 s38, s37, s18
	s_waitcnt lgkmcnt(1)
	v_fma_f32 v19, -v16, v33, v19
	ds_read2_b32 v[36:37], v21 offset1:1
	ds_read2_b32 v[38:39], v25 offset1:1
	;; [unrolled: 1-line block ×4, first 2 shown]
	s_lshl_b32 s38, s38, 2
	s_waitcnt lgkmcnt(4)
	v_fma_f32 v19, -v17, v35, v19
	v_mov_b32_e32 v21, s38
	s_add_i32 s38, s37, s15
	s_add_i32 s37, s37, s14
	s_waitcnt lgkmcnt(3)
	v_fma_f32 v19, -v22, v37, v19
	s_lshl_b32 s38, s38, 2
	s_lshl_b32 s37, s37, 2
	s_waitcnt lgkmcnt(2)
	v_fma_f32 v19, -v23, v39, v19
	v_mov_b32_e32 v25, s38
	v_mov_b32_e32 v27, s37
	ds_read2_b32 v[44:45], v21 offset1:1
	ds_read2_b32 v[46:47], v25 offset1:1
	;; [unrolled: 1-line block ×3, first 2 shown]
	s_waitcnt lgkmcnt(4)
	v_fma_f32 v19, -v59, v41, v19
	s_waitcnt lgkmcnt(3)
	v_fma_f32 v19, -v58, v43, v19
	;; [unrolled: 2-line block ×4, first 2 shown]
	s_waitcnt lgkmcnt(0)
	v_mul_f32_e32 v60, v49, v19
	ds_write_b32 v13, v60 offset:1600
	v_fma_f32 v13, -v4, v50, v15
	v_fma_f32 v13, -v5, v52, v13
	;; [unrolled: 1-line block ×10, first 2 shown]
	s_add_i32 s37, s36, 0xfffffa18
	v_fma_f32 v13, -v22, v36, v13
	v_mov_b32_e32 v21, s37
	v_fma_f32 v13, -v23, v38, v13
	ds_read_b32 v21, v21
	v_fma_f32 v13, -v59, v40, v13
	v_fma_f32 v13, -v58, v42, v13
	;; [unrolled: 1-line block ×4, first 2 shown]
	s_sub_i32 s37, s26, 20
	v_fma_f32 v13, -v60, v48, v13
	s_add_i32 s35, s37, s35
	s_add_i32 s33, s37, s33
	s_waitcnt lgkmcnt(0)
	v_mul_f32_e32 v13, v21, v13
	s_lshl_b32 s35, s35, 2
	s_add_i32 s34, s37, s34
	s_lshl_b32 s33, s33, 2
	ds_write_b32 v11, v13 offset:1600
	v_mov_b32_e32 v11, s35
	s_lshl_b32 s34, s34, 2
	v_mov_b32_e32 v24, s33
	s_add_i32 s31, s37, s31
	v_mov_b32_e32 v15, s34
	s_lshl_b32 s31, s31, 2
	ds_read2_b32 v[18:19], v11 offset1:1
	ds_read2_b32 v[20:21], v15 offset1:1
	;; [unrolled: 1-line block ×3, first 2 shown]
	v_mov_b32_e32 v11, s31
	ds_read2_b32 v[26:27], v11 offset1:1
	s_waitcnt lgkmcnt(3)
	v_fma_f32 v10, -v4, v19, v10
	s_add_i32 s30, s37, s30
	s_waitcnt lgkmcnt(2)
	v_fma_f32 v10, -v5, v21, v10
	s_lshl_b32 s30, s30, 2
	s_add_i32 s29, s37, s29
	s_add_i32 s28, s37, s28
	;; [unrolled: 1-line block ×3, first 2 shown]
	s_waitcnt lgkmcnt(1)
	v_fma_f32 v15, -v6, v25, v10
	v_mov_b32_e32 v10, s30
	s_lshl_b32 s29, s29, 2
	s_lshl_b32 s28, s28, 2
	;; [unrolled: 1-line block ×3, first 2 shown]
	v_mov_b32_e32 v19, s29
	v_mov_b32_e32 v21, s28
	;; [unrolled: 1-line block ×3, first 2 shown]
	ds_read2_b32 v[10:11], v10 offset1:1
	ds_read2_b32 v[28:29], v19 offset1:1
	;; [unrolled: 1-line block ×4, first 2 shown]
	s_add_i32 s25, s37, s25
	s_waitcnt lgkmcnt(4)
	v_fma_f32 v15, -v7, v27, v15
	s_lshl_b32 s25, s25, 2
	s_add_i32 s24, s37, s24
	s_add_i32 s23, s37, s23
	;; [unrolled: 1-line block ×3, first 2 shown]
	s_waitcnt lgkmcnt(3)
	v_fma_f32 v11, -v8, v11, v15
	v_mov_b32_e32 v15, s25
	s_lshl_b32 s24, s24, 2
	s_lshl_b32 s23, s23, 2
	;; [unrolled: 1-line block ×3, first 2 shown]
	s_waitcnt lgkmcnt(2)
	v_fma_f32 v11, -v9, v29, v11
	v_mov_b32_e32 v19, s24
	v_mov_b32_e32 v21, s23
	ds_read2_b32 v[34:35], v15 offset1:1
	ds_read2_b32 v[36:37], v19 offset1:1
	;; [unrolled: 1-line block ×3, first 2 shown]
	v_mov_b32_e32 v15, s21
	s_waitcnt lgkmcnt(4)
	v_fma_f32 v11, -v12, v31, v11
	ds_read2_b32 v[40:41], v15 offset1:1
	s_waitcnt lgkmcnt(4)
	v_fma_f32 v11, -v14, v33, v11
	s_add_i32 s20, s37, s20
	s_waitcnt lgkmcnt(3)
	v_fma_f32 v11, -v16, v35, v11
	s_lshl_b32 s20, s20, 2
	s_add_i32 s19, s37, s19
	s_add_i32 s18, s37, s18
	;; [unrolled: 1-line block ×3, first 2 shown]
	s_waitcnt lgkmcnt(2)
	v_fma_f32 v11, -v17, v37, v11
	v_mov_b32_e32 v15, s20
	s_lshl_b32 s19, s19, 2
	s_lshl_b32 s18, s18, 2
	;; [unrolled: 1-line block ×3, first 2 shown]
	s_waitcnt lgkmcnt(1)
	v_fma_f32 v11, -v22, v39, v11
	v_mov_b32_e32 v19, s19
	v_mov_b32_e32 v21, s18
	;; [unrolled: 1-line block ×3, first 2 shown]
	ds_read2_b32 v[42:43], v15 offset1:1
	ds_read2_b32 v[44:45], v19 offset1:1
	;; [unrolled: 1-line block ×4, first 2 shown]
	s_add_i32 s14, s37, s14
	s_waitcnt lgkmcnt(4)
	v_fma_f32 v11, -v23, v41, v11
	s_lshl_b32 s14, s14, 2
	s_add_i32 s9, s37, s9
	s_add_i32 s37, s37, s8
	s_waitcnt lgkmcnt(3)
	v_fma_f32 v11, -v59, v43, v11
	v_mov_b32_e32 v15, s14
	s_lshl_b32 s9, s9, 2
	s_lshl_b32 s8, s37, 2
	s_waitcnt lgkmcnt(2)
	v_fma_f32 v11, -v58, v45, v11
	v_mov_b32_e32 v19, s9
	v_mov_b32_e32 v21, s8
	ds_read2_b32 v[50:51], v15 offset1:1
	ds_read2_b32 v[52:53], v19 offset1:1
	;; [unrolled: 1-line block ×3, first 2 shown]
	s_waitcnt lgkmcnt(4)
	v_fma_f32 v11, -v57, v47, v11
	s_waitcnt lgkmcnt(3)
	v_fma_f32 v11, -v56, v49, v11
	;; [unrolled: 2-line block ×4, first 2 shown]
	s_waitcnt lgkmcnt(0)
	v_mul_f32_e32 v11, v55, v11
	ds_write_b32 v2, v11 offset:1600
	v_fma_f32 v2, -v4, v18, v3
	v_fma_f32 v2, -v5, v20, v2
	;; [unrolled: 1-line block ×12, first 2 shown]
	s_add_i32 s8, s36, 0xfffff970
	v_fma_f32 v2, -v59, v42, v2
	v_mov_b32_e32 v15, s8
	v_fma_f32 v2, -v58, v44, v2
	ds_read_b32 v15, v15
	v_fma_f32 v2, -v57, v46, v2
	v_fma_f32 v2, -v56, v48, v2
	;; [unrolled: 1-line block ×5, first 2 shown]
	s_waitcnt lgkmcnt(0)
	v_mul_f32_e32 v2, v15, v2
	s_sub_i32 s8, s26, 21
	ds_write_b32 v1, v2 offset:1600
.LBB21_55:
	s_cmp_gt_i32 s8, -1
	s_cbranch_scc0 .LBB21_74
; %bb.56:
	s_cmp_lt_u32 s8, 15
	s_cbranch_scc1 .LBB21_61
; %bb.57:
	s_mul_i32 s9, s8, 20
	v_add_lshl_u32 v1, s9, v0, 2
	s_sub_i32 s14, s9, 20
	v_add_u32_e32 v2, 0x400, v1
	v_add_lshl_u32 v18, s14, v0, 2
	ds_read_b32 v17, v1 offset:1600
	ds_read_b32 v16, v18 offset:1600
	ds_read2_b32 v[14:15], v2 offset0:84 offset1:104
	ds_read2_b32 v[12:13], v2 offset0:44 offset1:64
	;; [unrolled: 1-line block ×7, first 2 shown]
	s_cmp_le_i32 s6, s8
	s_cbranch_scc1 .LBB21_60
; %bb.58:
	s_mul_i32 s18, s26, 0x50
	s_lshl_b32 s15, s8, 2
	s_add_i32 s15, s18, s15
	v_lshl_add_u32 v19, v0, 2, s18
	s_addk_i32 s15, 0xff74
	v_add_u32_e32 v19, 0x5f0, v19
	s_mov_b32 s18, s6
.LBB21_59:                              ; =>This Inner Loop Header: Depth=1
	v_mov_b32_e32 v21, s15
	ds_read_b32 v20, v19
	ds_read2_b32 v[22:23], v21 offset0:14 offset1:15
	ds_read2_b32 v[24:25], v21 offset0:12 offset1:13
	;; [unrolled: 1-line block ×7, first 2 shown]
	ds_read2_b32 v[36:37], v21 offset1:1
	s_add_i32 s18, s18, -1
	s_addk_i32 s15, 0xffb0
	v_add_u32_e32 v19, 0xffffffb0, v19
	s_cmp_gt_i32 s18, s8
	s_waitcnt lgkmcnt(7)
	v_pk_fma_f32 v[16:17], v[20:21], v[22:23], v[16:17] op_sel_hi:[0,1,1] neg_lo:[1,0,0] neg_hi:[1,0,0]
	s_waitcnt lgkmcnt(6)
	v_pk_fma_f32 v[14:15], v[20:21], v[24:25], v[14:15] op_sel_hi:[0,1,1] neg_lo:[1,0,0] neg_hi:[1,0,0]
	;; [unrolled: 2-line block ×8, first 2 shown]
	s_cbranch_scc1 .LBB21_59
.LBB21_60:
	s_mul_i32 s15, s8, 0x54
	s_add_i32 s18, s15, -4
	v_add_u32_e32 v19, 0x640, v1
	v_mov_b32_e32 v1, s18
	s_add_i32 s18, s15, 0xffffffac
	s_add_i32 s19, s8, -3
	v_mov_b32_e32 v22, s18
	s_add_i32 s18, s19, s9
	ds_read2_b32 v[20:21], v1 offset1:1
	s_lshl_b32 s18, s18, 2
	v_mov_b32_e32 v23, s18
	s_add_i32 s18, s19, s14
	s_lshl_b32 s18, s18, 2
	v_mov_b32_e32 v1, s18
	ds_read_b32 v26, v22
	ds_read2_b32 v[22:23], v23 offset1:1
	ds_read2_b32 v[24:25], v1 offset1:1
	s_sub_i32 s18, s14, 20
	s_waitcnt lgkmcnt(3)
	v_mul_f32_e32 v1, v21, v17
	s_add_i32 s19, s19, s18
	v_fma_f32 v16, -v1, v20, v16
	s_lshl_b32 s19, s19, 2
	v_add_u32_e32 v18, 0x640, v18
	s_waitcnt lgkmcnt(2)
	v_mul_f32_e32 v16, v26, v16
	v_mov_b32_e32 v17, s19
	s_add_i32 s19, s15, 0xffffff04
	s_add_i32 s21, s8, -5
	ds_write_b32 v19, v1
	ds_write_b32 v18, v16
	v_mov_b32_e32 v20, s19
	s_add_i32 s19, s21, s9
	ds_read2_b32 v[18:19], v17 offset1:1
	s_lshl_b32 s19, s19, 2
	v_mov_b32_e32 v21, s19
	s_add_i32 s19, s21, s14
	s_waitcnt lgkmcnt(4)
	v_fma_f32 v15, -v1, v23, v15
	s_lshl_b32 s19, s19, 2
	s_waitcnt lgkmcnt(3)
	v_fma_f32 v15, -v16, v25, v15
	v_mov_b32_e32 v17, s19
	ds_read_b32 v23, v20
	ds_read2_b32 v[20:21], v21 offset1:1
	ds_read2_b32 v[26:27], v17 offset1:1
	v_fma_f32 v14, -v1, v22, v14
	s_waitcnt lgkmcnt(3)
	v_mul_f32_e32 v15, v19, v15
	v_fma_f32 v14, -v16, v24, v14
	v_add_lshl_u32 v17, s18, v0, 2
	v_fma_f32 v14, -v15, v18, v14
	s_sub_i32 s19, s14, 40
	s_add_i32 s20, s21, s18
	ds_write_b32 v17, v15 offset:1600
	s_waitcnt lgkmcnt(3)
	v_mul_f32_e32 v14, v23, v14
	v_add_lshl_u32 v17, s19, v0, 2
	s_lshl_b32 s20, s20, 2
	ds_write_b32 v17, v14 offset:1600
	v_mov_b32_e32 v17, s20
	s_add_i32 s20, s21, s19
	s_lshl_b32 s20, s20, 2
	s_waitcnt lgkmcnt(3)
	v_fma_f32 v13, -v1, v21, v13
	v_mov_b32_e32 v21, s20
	s_sub_i32 s20, s14, 60
	s_add_i32 s21, s21, s20
	s_lshl_b32 s21, s21, 2
	v_mov_b32_e32 v24, s21
	s_add_i32 s21, s15, 0xfffffe5c
	ds_read2_b32 v[18:19], v17 offset1:1
	ds_read2_b32 v[22:23], v21 offset1:1
	;; [unrolled: 1-line block ×3, first 2 shown]
	v_mov_b32_e32 v17, s21
	s_waitcnt lgkmcnt(5)
	v_fma_f32 v13, -v16, v27, v13
	ds_read_b32 v17, v17
	v_fma_f32 v12, -v1, v20, v12
	s_waitcnt lgkmcnt(3)
	v_fma_f32 v13, -v15, v19, v13
	v_fma_f32 v12, -v16, v26, v12
	s_waitcnt lgkmcnt(2)
	v_fma_f32 v13, -v14, v23, v13
	v_fma_f32 v12, -v15, v18, v12
	s_waitcnt lgkmcnt(1)
	v_mul_f32_e32 v13, v25, v13
	v_fma_f32 v12, -v14, v22, v12
	s_add_i32 s24, s8, -7
	v_fma_f32 v12, -v13, v24, v12
	s_add_i32 s21, s14, 0xffffffb0
	s_add_i32 s23, s24, s9
	s_waitcnt lgkmcnt(0)
	v_mul_f32_e32 v12, v17, v12
	v_add_lshl_u32 v17, s21, v0, 2
	s_lshl_b32 s23, s23, 2
	ds_write_b32 v17, v12 offset:1600
	v_mov_b32_e32 v17, s23
	s_add_i32 s23, s24, s14
	s_lshl_b32 s23, s23, 2
	v_mov_b32_e32 v20, s23
	s_add_i32 s23, s24, s18
	s_lshl_b32 s23, s23, 2
	v_add_lshl_u32 v19, s20, v0, 2
	v_mov_b32_e32 v22, s23
	s_add_i32 s23, s24, s19
	ds_write_b32 v19, v13 offset:1600
	s_lshl_b32 s23, s23, 2
	ds_read2_b32 v[18:19], v17 offset1:1
	ds_read2_b32 v[20:21], v20 offset1:1
	;; [unrolled: 1-line block ×3, first 2 shown]
	v_mov_b32_e32 v17, s23
	s_add_i32 s23, s24, s20
	s_lshl_b32 s23, s23, 2
	ds_read2_b32 v[24:25], v17 offset1:1
	v_mov_b32_e32 v17, s23
	s_add_i32 s23, s24, s21
	s_lshl_b32 s23, s23, 2
	s_waitcnt lgkmcnt(3)
	v_fma_f32 v11, -v1, v19, v11
	v_mov_b32_e32 v19, s23
	s_add_i32 s23, s15, 0xfffffe08
	ds_read2_b32 v[26:27], v17 offset1:1
	ds_read2_b32 v[28:29], v19 offset1:1
	v_mov_b32_e32 v17, s23
	s_waitcnt lgkmcnt(4)
	v_fma_f32 v11, -v16, v21, v11
	ds_read_b32 v17, v17
	s_waitcnt lgkmcnt(4)
	v_fma_f32 v11, -v15, v23, v11
	s_waitcnt lgkmcnt(3)
	v_fma_f32 v11, -v14, v25, v11
	;; [unrolled: 2-line block ×3, first 2 shown]
	s_add_i32 s23, s14, 0xffffff9c
	s_waitcnt lgkmcnt(1)
	v_fma_f32 v11, -v12, v29, v11
	s_add_i32 s24, s24, s23
	s_waitcnt lgkmcnt(0)
	v_mul_f32_e32 v17, v17, v11
	v_add_lshl_u32 v11, s23, v0, 2
	s_lshl_b32 s24, s24, 2
	ds_write_b32 v11, v17 offset:1600
	v_fma_f32 v10, -v1, v18, v10
	v_mov_b32_e32 v11, s24
	s_add_i32 s24, s15, 0xfffffdb4
	v_fma_f32 v10, -v16, v20, v10
	ds_read_b32 v11, v11
	v_mov_b32_e32 v18, s24
	v_fma_f32 v10, -v15, v22, v10
	ds_read_b32 v18, v18
	v_fma_f32 v10, -v14, v24, v10
	v_fma_f32 v10, -v13, v26, v10
	s_add_i32 s27, s8, -9
	v_fma_f32 v10, -v12, v28, v10
	s_add_i32 s25, s27, s9
	s_waitcnt lgkmcnt(1)
	v_fma_f32 v10, -v17, v11, v10
	s_lshl_b32 s25, s25, 2
	s_waitcnt lgkmcnt(0)
	v_mul_f32_e32 v42, v18, v10
	v_mov_b32_e32 v10, s25
	s_add_i32 s25, s27, s14
	s_lshl_b32 s25, s25, 2
	v_mov_b32_e32 v18, s25
	s_add_i32 s25, s27, s18
	s_lshl_b32 s25, s25, 2
	;; [unrolled: 3-line block ×3, first 2 shown]
	v_mov_b32_e32 v22, s25
	ds_read2_b32 v[10:11], v10 offset1:1
	ds_read2_b32 v[18:19], v18 offset1:1
	;; [unrolled: 1-line block ×4, first 2 shown]
	s_add_i32 s25, s27, s20
	s_lshl_b32 s25, s25, 2
	s_waitcnt lgkmcnt(3)
	v_fma_f32 v9, -v1, v11, v9
	v_mov_b32_e32 v11, s25
	s_add_i32 s25, s27, s21
	s_lshl_b32 s25, s25, 2
	s_add_i32 s24, s14, 0xffffff88
	s_waitcnt lgkmcnt(2)
	v_fma_f32 v9, -v16, v19, v9
	v_mov_b32_e32 v19, s25
	s_add_i32 s25, s27, s23
	v_add_lshl_u32 v24, s24, v0, 2
	s_lshl_b32 s25, s25, 2
	ds_write_b32 v24, v42 offset:1600
	s_waitcnt lgkmcnt(2)
	v_fma_f32 v9, -v15, v21, v9
	v_mov_b32_e32 v21, s25
	s_add_i32 s25, s27, s24
	ds_read2_b32 v[24:25], v11 offset1:1
	s_lshl_b32 s25, s25, 2
	v_mov_b32_e32 v11, s25
	s_add_i32 s25, s15, 0xfffffd60
	ds_read2_b32 v[26:27], v19 offset1:1
	ds_read2_b32 v[28:29], v21 offset1:1
	;; [unrolled: 1-line block ×3, first 2 shown]
	v_mov_b32_e32 v11, s25
	s_waitcnt lgkmcnt(5)
	v_fma_f32 v9, -v14, v23, v9
	ds_read_b32 v11, v11
	s_waitcnt lgkmcnt(4)
	v_fma_f32 v9, -v13, v25, v9
	s_waitcnt lgkmcnt(3)
	v_fma_f32 v9, -v12, v27, v9
	s_waitcnt lgkmcnt(2)
	v_fma_f32 v9, -v17, v29, v9
	s_add_i32 s25, s14, 0xffffff74
	s_waitcnt lgkmcnt(1)
	v_fma_f32 v9, -v42, v31, v9
	v_fma_f32 v8, -v1, v10, v8
	s_add_i32 s27, s27, s25
	s_waitcnt lgkmcnt(0)
	v_mul_f32_e32 v43, v11, v9
	v_add_lshl_u32 v9, s25, v0, 2
	v_fma_f32 v8, -v16, v18, v8
	s_lshl_b32 s27, s27, 2
	ds_write_b32 v9, v43 offset:1600
	v_fma_f32 v8, -v15, v20, v8
	v_mov_b32_e32 v9, s27
	s_add_i32 s27, s15, 0xfffffd0c
	v_fma_f32 v8, -v14, v22, v8
	ds_read_b32 v9, v9
	v_mov_b32_e32 v10, s27
	v_fma_f32 v8, -v13, v24, v8
	ds_read_b32 v10, v10
	v_fma_f32 v8, -v12, v26, v8
	v_fma_f32 v8, -v17, v28, v8
	;; [unrolled: 1-line block ×3, first 2 shown]
	s_add_i32 s29, s8, -11
	s_waitcnt lgkmcnt(1)
	v_fma_f32 v8, -v43, v9, v8
	s_add_i32 s27, s14, 0xffffff60
	s_add_i32 s28, s29, s9
	s_waitcnt lgkmcnt(0)
	v_mul_f32_e32 v44, v10, v8
	v_add_lshl_u32 v8, s27, v0, 2
	s_lshl_b32 s28, s28, 2
	ds_write_b32 v8, v44 offset:1600
	v_mov_b32_e32 v8, s28
	s_add_i32 s28, s29, s14
	s_lshl_b32 s28, s28, 2
	v_mov_b32_e32 v10, s28
	s_add_i32 s28, s29, s18
	s_lshl_b32 s28, s28, 2
	;; [unrolled: 3-line block ×3, first 2 shown]
	ds_read2_b32 v[8:9], v8 offset1:1
	ds_read2_b32 v[10:11], v10 offset1:1
	ds_read2_b32 v[18:19], v18 offset1:1
	v_mov_b32_e32 v20, s28
	s_add_i32 s28, s29, s20
	s_lshl_b32 s28, s28, 2
	s_waitcnt lgkmcnt(2)
	v_fma_f32 v7, -v1, v9, v7
	v_mov_b32_e32 v9, s28
	s_add_i32 s28, s29, s21
	s_lshl_b32 s28, s28, 2
	s_waitcnt lgkmcnt(1)
	v_fma_f32 v7, -v16, v11, v7
	;; [unrolled: 5-line block ×3, first 2 shown]
	v_mov_b32_e32 v19, s28
	s_add_i32 s28, s29, s24
	s_lshl_b32 s28, s28, 2
	ds_read2_b32 v[20:21], v20 offset1:1
	v_mov_b32_e32 v28, s28
	s_add_i32 s28, s29, s25
	s_lshl_b32 s28, s28, 2
	ds_read2_b32 v[22:23], v9 offset1:1
	ds_read2_b32 v[24:25], v11 offset1:1
	;; [unrolled: 1-line block ×4, first 2 shown]
	v_mov_b32_e32 v9, s28
	s_add_i32 s28, s29, s27
	s_lshl_b32 s28, s28, 2
	v_fma_f32 v6, -v1, v8, v6
	v_mov_b32_e32 v11, s28
	s_add_i32 s28, s9, 0xffffff38
	v_fma_f32 v6, -v16, v10, v6
	s_waitcnt lgkmcnt(4)
	v_fma_f32 v7, -v14, v21, v7
	s_add_i32 s29, s29, s28
	v_fma_f32 v6, -v15, v18, v6
	s_waitcnt lgkmcnt(3)
	v_fma_f32 v7, -v13, v23, v7
	s_lshl_b32 s29, s29, 2
	v_fma_f32 v6, -v14, v20, v6
	s_waitcnt lgkmcnt(2)
	v_fma_f32 v7, -v12, v25, v7
	v_mov_b32_e32 v19, s29
	s_add_i32 s29, s15, 0xfffffc64
	ds_read2_b32 v[30:31], v9 offset1:1
	ds_read2_b32 v[32:33], v11 offset1:1
	;; [unrolled: 1-line block ×3, first 2 shown]
	v_fma_f32 v6, -v13, v22, v6
	s_waitcnt lgkmcnt(4)
	v_fma_f32 v7, -v17, v27, v7
	v_mov_b32_e32 v9, s29
	v_fma_f32 v6, -v12, v24, v6
	s_waitcnt lgkmcnt(3)
	v_fma_f32 v7, -v42, v29, v7
	ds_read_b32 v9, v9
	v_fma_f32 v6, -v17, v26, v6
	s_waitcnt lgkmcnt(3)
	v_fma_f32 v7, -v43, v31, v7
	v_fma_f32 v6, -v42, v28, v6
	s_waitcnt lgkmcnt(2)
	v_fma_f32 v7, -v44, v33, v7
	v_fma_f32 v6, -v43, v30, v6
	s_add_i32 s30, s8, -13
	s_waitcnt lgkmcnt(1)
	v_mul_f32_e32 v45, v35, v7
	v_fma_f32 v6, -v44, v32, v6
	s_add_i32 s31, s30, s9
	v_fma_f32 v6, -v45, v34, v6
	s_lshl_b32 s31, s31, 2
	s_waitcnt lgkmcnt(0)
	v_mul_f32_e32 v46, v9, v6
	v_mov_b32_e32 v6, s31
	s_add_i32 s31, s30, s14
	s_lshl_b32 s31, s31, 2
	v_mov_b32_e32 v8, s31
	s_add_i32 s31, s30, s18
	s_lshl_b32 s31, s31, 2
	v_mov_b32_e32 v10, s31
	s_add_i32 s31, s30, s19
	v_add_lshl_u32 v7, s28, v0, 2
	s_lshl_b32 s31, s31, 2
	ds_write_b32 v7, v45 offset:1600
	v_mov_b32_e32 v18, s31
	ds_read2_b32 v[6:7], v6 offset1:1
	ds_read2_b32 v[8:9], v8 offset1:1
	;; [unrolled: 1-line block ×4, first 2 shown]
	s_add_i32 s31, s30, s20
	s_lshl_b32 s31, s31, 2
	s_waitcnt lgkmcnt(3)
	v_fma_f32 v5, -v1, v7, v5
	v_mov_b32_e32 v7, s31
	s_add_i32 s31, s30, s21
	s_lshl_b32 s31, s31, 2
	s_waitcnt lgkmcnt(2)
	v_fma_f32 v5, -v16, v9, v5
	v_mov_b32_e32 v9, s31
	s_add_i32 s31, s30, s23
	s_add_i32 s29, s9, 0xffffff24
	s_lshl_b32 s31, s31, 2
	v_add_lshl_u32 v20, s29, v0, 2
	s_waitcnt lgkmcnt(1)
	v_fma_f32 v5, -v15, v11, v5
	v_mov_b32_e32 v11, s31
	s_add_i32 s31, s30, s24
	ds_write_b32 v20, v46 offset:1600
	s_lshl_b32 s31, s31, 2
	ds_read2_b32 v[20:21], v7 offset1:1
	ds_read2_b32 v[22:23], v9 offset1:1
	;; [unrolled: 1-line block ×3, first 2 shown]
	v_mov_b32_e32 v7, s31
	s_add_i32 s31, s30, s25
	s_lshl_b32 s31, s31, 2
	ds_read2_b32 v[26:27], v7 offset1:1
	v_mov_b32_e32 v7, s31
	s_add_i32 s31, s30, s27
	s_lshl_b32 s31, s31, 2
	v_mov_b32_e32 v9, s31
	s_add_i32 s31, s30, s28
	s_lshl_b32 s31, s31, 2
	v_mov_b32_e32 v11, s31
	s_add_i32 s31, s30, s29
	v_fma_f32 v4, -v1, v6, v4
	s_lshl_b32 s31, s31, 2
	v_fma_f32 v4, -v16, v8, v4
	s_waitcnt lgkmcnt(5)
	v_fma_f32 v5, -v14, v19, v5
	v_mov_b32_e32 v19, s31
	s_add_i32 s31, s9, 0xffffff10
	v_fma_f32 v4, -v15, v10, v4
	s_waitcnt lgkmcnt(3)
	v_fma_f32 v5, -v13, v21, v5
	s_add_i32 s30, s30, s31
	v_fma_f32 v4, -v14, v18, v4
	s_waitcnt lgkmcnt(2)
	v_fma_f32 v5, -v12, v23, v5
	s_lshl_b32 s30, s30, 2
	v_fma_f32 v4, -v13, v20, v4
	s_waitcnt lgkmcnt(1)
	v_fma_f32 v5, -v17, v25, v5
	ds_read2_b32 v[28:29], v7 offset1:1
	ds_read2_b32 v[30:31], v9 offset1:1
	;; [unrolled: 1-line block ×4, first 2 shown]
	v_mov_b32_e32 v7, s30
	v_fma_f32 v4, -v12, v22, v4
	s_waitcnt lgkmcnt(4)
	v_fma_f32 v5, -v42, v27, v5
	s_add_i32 s30, s15, 0xfffffbbc
	ds_read2_b32 v[36:37], v7 offset1:1
	v_fma_f32 v4, -v17, v24, v4
	s_waitcnt lgkmcnt(4)
	v_fma_f32 v5, -v43, v29, v5
	v_mov_b32_e32 v9, s30
	s_add_i32 s30, s8, -15
	v_fma_f32 v4, -v42, v26, v4
	s_waitcnt lgkmcnt(3)
	v_fma_f32 v5, -v44, v31, v5
	s_add_i32 s33, s30, s9
	s_add_i32 s14, s30, s14
	v_fma_f32 v4, -v43, v28, v4
	s_waitcnt lgkmcnt(2)
	v_fma_f32 v5, -v45, v33, v5
	s_lshl_b32 s33, s33, 2
	s_lshl_b32 s14, s14, 2
	v_fma_f32 v4, -v44, v30, v4
	s_waitcnt lgkmcnt(1)
	v_fma_f32 v5, -v46, v35, v5
	v_mov_b32_e32 v11, s33
	v_mov_b32_e32 v7, s14
	ds_read_b32 v9, v9
	ds_read2_b32 v[38:39], v11 offset1:1
	ds_read2_b32 v[40:41], v7 offset1:1
	v_fma_f32 v4, -v45, v32, v4
	s_waitcnt lgkmcnt(3)
	v_mul_f32_e32 v37, v37, v5
	v_fma_f32 v4, -v46, v34, v4
	v_fma_f32 v4, -v37, v36, v4
	s_add_i32 s14, s9, 0xfffffefc
	s_add_i32 s18, s30, s18
	s_waitcnt lgkmcnt(2)
	v_mul_f32_e32 v36, v9, v4
	v_add_lshl_u32 v4, s14, v0, 2
	s_lshl_b32 s18, s18, 2
	ds_write_b32 v4, v36 offset:1600
	v_mov_b32_e32 v4, s18
	s_add_i32 s18, s30, s19
	s_lshl_b32 s18, s18, 2
	v_mov_b32_e32 v6, s18
	s_add_i32 s18, s30, s20
	v_add_lshl_u32 v5, s31, v0, 2
	s_lshl_b32 s18, s18, 2
	ds_write_b32 v5, v37 offset:1600
	v_mov_b32_e32 v8, s18
	s_add_i32 s18, s30, s21
	s_lshl_b32 s18, s18, 2
	ds_read2_b32 v[4:5], v4 offset1:1
	ds_read2_b32 v[6:7], v6 offset1:1
	ds_read2_b32 v[8:9], v8 offset1:1
	s_waitcnt lgkmcnt(6)
	v_fma_f32 v3, -v1, v39, v3
	v_mov_b32_e32 v10, s18
	s_add_i32 s18, s30, s23
	s_waitcnt lgkmcnt(5)
	v_fma_f32 v3, -v16, v41, v3
	s_lshl_b32 s18, s18, 2
	s_waitcnt lgkmcnt(2)
	v_fma_f32 v3, -v15, v5, v3
	v_mov_b32_e32 v5, s18
	s_add_i32 s18, s30, s24
	s_lshl_b32 s18, s18, 2
	s_waitcnt lgkmcnt(1)
	v_fma_f32 v3, -v14, v7, v3
	v_mov_b32_e32 v7, s18
	s_add_i32 s18, s30, s25
	;; [unrolled: 5-line block ×3, first 2 shown]
	s_lshl_b32 s18, s18, 2
	v_mov_b32_e32 v24, s18
	s_add_i32 s18, s30, s28
	ds_read2_b32 v[10:11], v10 offset1:1
	s_lshl_b32 s18, s18, 2
	ds_read2_b32 v[18:19], v5 offset1:1
	ds_read2_b32 v[20:21], v7 offset1:1
	;; [unrolled: 1-line block ×4, first 2 shown]
	v_mov_b32_e32 v5, s18
	s_add_i32 s18, s30, s29
	v_fma_f32 v1, -v1, v38, v2
	s_lshl_b32 s18, s18, 2
	v_fma_f32 v1, -v16, v40, v1
	v_mov_b32_e32 v7, s18
	s_add_i32 s18, s30, s31
	s_add_i32 s14, s30, s14
	v_fma_f32 v1, -v15, v4, v1
	s_lshl_b32 s18, s18, 2
	s_lshl_b32 s14, s14, 2
	v_fma_f32 v1, -v14, v6, v1
	s_waitcnt lgkmcnt(4)
	v_fma_f32 v3, -v12, v11, v3
	v_mov_b32_e32 v9, s18
	ds_read2_b32 v[26:27], v5 offset1:1
	ds_read2_b32 v[28:29], v7 offset1:1
	;; [unrolled: 1-line block ×3, first 2 shown]
	v_mov_b32_e32 v5, s14
	s_add_i32 s14, s9, 0xfffffee8
	v_fma_f32 v1, -v13, v8, v1
	s_waitcnt lgkmcnt(6)
	v_fma_f32 v3, -v17, v19, v3
	s_add_i32 s30, s30, s14
	v_fma_f32 v1, -v12, v10, v1
	s_waitcnt lgkmcnt(5)
	v_fma_f32 v3, -v42, v21, v3
	s_lshl_b32 s18, s30, 2
	v_fma_f32 v1, -v17, v18, v1
	s_waitcnt lgkmcnt(4)
	v_fma_f32 v3, -v43, v23, v3
	ds_read2_b32 v[32:33], v5 offset1:1
	v_mov_b32_e32 v5, s18
	v_fma_f32 v1, -v42, v20, v1
	s_waitcnt lgkmcnt(4)
	v_fma_f32 v3, -v44, v25, v3
	ds_read2_b32 v[34:35], v5 offset1:1
	s_addk_i32 s15, 0xfb14
	v_fma_f32 v1, -v43, v22, v1
	s_waitcnt lgkmcnt(4)
	v_fma_f32 v3, -v45, v27, v3
	v_mov_b32_e32 v5, s15
	v_fma_f32 v1, -v44, v24, v1
	s_waitcnt lgkmcnt(3)
	v_fma_f32 v3, -v46, v29, v3
	ds_read_b32 v5, v5
	v_fma_f32 v1, -v45, v26, v1
	s_waitcnt lgkmcnt(3)
	v_fma_f32 v3, -v37, v31, v3
	v_fma_f32 v1, -v46, v28, v1
	s_waitcnt lgkmcnt(2)
	v_fma_f32 v3, -v36, v33, v3
	v_fma_f32 v1, -v37, v30, v1
	s_waitcnt lgkmcnt(1)
	v_mul_f32_e32 v3, v35, v3
	v_fma_f32 v1, -v36, v32, v1
	v_fma_f32 v1, -v3, v34, v1
	s_addk_i32 s9, 0xfed4
	v_add_lshl_u32 v7, s14, v0, 2
	s_waitcnt lgkmcnt(0)
	v_mul_f32_e32 v1, v5, v1
	v_add_lshl_u32 v2, s9, v0, 2
	s_add_i32 s8, s8, -16
	ds_write_b32 v7, v3 offset:1600
	ds_write_b32 v2, v1 offset:1600
.LBB21_61:
	s_cmp_lt_i32 s8, 0
	s_cbranch_scc1 .LBB21_74
; %bb.62:
	s_bitcmp1_b32 s8, 0
	s_cselect_b64 s[14:15], -1, 0
	s_and_b64 vcc, exec, s[14:15]
	s_mov_b32 s9, s8
	s_cbranch_vccnz .LBB21_67
; %bb.63:
	s_mul_i32 s9, s8, 20
	v_add_lshl_u32 v2, s9, v0, 2
	ds_read_b32 v1, v2 offset:1600
	s_cmp_le_i32 s6, s8
	s_cbranch_scc1 .LBB21_66
; %bb.64:
	s_mul_i32 s14, s26, 0x50
	s_lshl_b32 s9, s8, 2
	s_add_i32 s9, s14, s9
	v_lshl_add_u32 v3, v0, 2, s14
	s_addk_i32 s9, 0xffb0
	v_add_u32_e32 v3, 0x5f0, v3
	s_mov_b32 s14, s6
.LBB21_65:                              ; =>This Inner Loop Header: Depth=1
	v_mov_b32_e32 v5, s9
	ds_read_b32 v4, v3
	ds_read_b32 v5, v5
	s_add_i32 s14, s14, -1
	s_addk_i32 s9, 0xffb0
	v_add_u32_e32 v3, 0xffffffb0, v3
	s_cmp_gt_i32 s14, s8
	s_waitcnt lgkmcnt(0)
	v_fma_f32 v1, -v4, v5, v1
	s_cbranch_scc1 .LBB21_65
.LBB21_66:
	s_mul_i32 s9, s8, 0x54
	v_mov_b32_e32 v3, s9
	ds_read_b32 v3, v3
	v_add_u32_e32 v2, 0x640, v2
	s_add_i32 s9, s8, -1
	s_waitcnt lgkmcnt(0)
	v_mul_f32_e32 v1, v3, v1
	ds_write_b32 v2, v1
.LBB21_67:
	s_cmp_eq_u32 s8, 0
	s_cbranch_scc1 .LBB21_74
; %bb.68:
	s_mul_i32 s14, s26, 0x50
	s_lshl_b32 s8, s9, 2
	s_add_i32 s15, s14, s8
	v_lshl_add_u32 v1, v0, 2, s14
	s_add_i32 s8, s15, 0xffffffb0
	v_add_u32_e32 v1, 0x5f0, v1
	s_add_i32 s14, s15, 0xffffffac
	s_branch .LBB21_70
.LBB21_69:                              ;   in Loop: Header=BB21_70 Depth=1
	s_addk_i32 s15, 0xffac
	v_mov_b32_e32 v3, s15
	ds_read_b32 v3, v3
	s_add_i32 s15, s9, -2
	s_add_i32 s8, s8, -8
	;; [unrolled: 1-line block ×3, first 2 shown]
	s_cmp_lt_i32 s9, 2
	s_waitcnt lgkmcnt(0)
	v_mul_f32_e32 v3, v3, v4
	s_mov_b32 s9, s15
	ds_write_b32 v2, v3
	s_cbranch_scc1 .LBB21_74
.LBB21_70:                              ; =>This Loop Header: Depth=1
                                        ;     Child Loop BB21_71 Depth 2
                                        ;     Child Loop BB21_73 Depth 2
	s_mul_i32 s15, s9, 20
	v_add_lshl_u32 v2, s15, v0, 2
	ds_read_b32 v3, v2 offset:1600
	s_cmp_le_i32 s6, s9
	v_mov_b32_e32 v4, v1
	s_mov_b32 s15, s8
	s_mov_b32 s18, s6
	s_cbranch_scc1 .LBB21_72
.LBB21_71:                              ;   Parent Loop BB21_70 Depth=1
                                        ; =>  This Inner Loop Header: Depth=2
	v_mov_b32_e32 v6, s15
	ds_read_b32 v5, v4
	ds_read_b32 v6, v6
	s_add_i32 s18, s18, -1
	s_addk_i32 s15, 0xffb0
	v_add_u32_e32 v4, 0xffffffb0, v4
	s_cmp_gt_i32 s18, s9
	s_waitcnt lgkmcnt(0)
	v_fma_f32 v3, -v5, v6, v3
	s_cbranch_scc1 .LBB21_71
.LBB21_72:                              ;   in Loop: Header=BB21_70 Depth=1
	s_mul_i32 s15, s9, 0x54
	v_add_u32_e32 v6, 0x640, v2
	v_mov_b32_e32 v2, s15
	ds_read_b32 v7, v2
	v_add_u32_e32 v2, 0xffffffb0, v6
	ds_read_b32 v4, v2
	s_cmp_le_i32 s26, s9
	v_mov_b32_e32 v5, v1
	s_waitcnt lgkmcnt(1)
	v_mul_f32_e32 v3, v7, v3
	s_mov_b32 s18, s14
	s_mov_b32 s19, s26
	ds_write_b32 v6, v3
	s_cbranch_scc1 .LBB21_69
.LBB21_73:                              ;   Parent Loop BB21_70 Depth=1
                                        ; =>  This Inner Loop Header: Depth=2
	v_mov_b32_e32 v6, s18
	ds_read_b32 v3, v5
	ds_read_b32 v6, v6
	s_add_i32 s19, s19, -1
	s_addk_i32 s18, 0xffb0
	v_add_u32_e32 v5, 0xffffffb0, v5
	s_cmp_gt_i32 s19, s9
	s_waitcnt lgkmcnt(0)
	v_fma_f32 v4, -v3, v6, v4
	s_cbranch_scc1 .LBB21_73
	s_branch .LBB21_69
.LBB21_74:
	s_waitcnt lgkmcnt(0)
	; wave barrier
	s_waitcnt lgkmcnt(0)
	s_and_saveexec_b64 s[8:9], s[12:13]
	s_cbranch_execz .LBB21_86
; %bb.75:
	s_cmp_lt_i32 s10, 2
	s_cbranch_scc1 .LBB21_83
; %bb.76:
	s_add_i32 s8, s26, -2
	s_lshr_b32 s9, s8, 1
	s_add_i32 s9, s9, 1
	s_mov_b32 s10, 0
	s_mov_b32 s6, 1
	s_cmp_lt_u32 s8, 14
	s_mov_b32 s8, s10
	s_cbranch_scc1 .LBB21_79
; %bb.77:
	s_mul_i32 s8, s1, s7
	s_mul_hi_u32 s10, s0, s7
	s_add_i32 s15, s10, s8
	s_mul_i32 s14, s0, s7
	s_lshl_b64 s[18:19], s[4:5], 2
	v_lshlrev_b32_e32 v1, 2, v0
	s_and_b32 s12, s9, -8
	s_lshl_b64 s[14:15], s[14:15], 2
	v_mov_b32_e32 v2, s19
	v_add_co_u32_e32 v1, vcc, s18, v1
	s_lshl_b64 s[18:19], s[16:17], 2
	s_add_u32 s8, s2, s18
	s_addc_u32 s10, s3, s19
	s_add_u32 s14, s8, s14
	s_addc_u32 s15, s10, s15
	v_addc_co_u32_e32 v4, vcc, 0, v2, vcc
	v_pk_mov_b32 v[2:3], s[14:15], s[14:15] op_sel:[0,1]
	v_mad_u64_u32 v[2:3], s[14:15], v1, s22, v[2:3]
	v_mul_lo_u32 v1, v1, s11
	v_mul_lo_u32 v4, v4, s22
	v_add3_u32 v1, v4, v3, v1
	v_add_co_u32_e32 v2, vcc, 56, v2
	v_addc_co_u32_e32 v3, vcc, 0, v1, vcc
	s_mov_b32 s8, 0
	s_mov_b32 s10, 0
.LBB21_78:                              ; =>This Inner Loop Header: Depth=1
	s_mul_i32 s13, s6, 20
	s_mul_i32 s14, s10, 20
	v_add_lshl_u32 v1, s14, v0, 2
	v_add_lshl_u32 v5, s13, v0, 2
	s_add_i32 s15, s13, 40
	s_add_i32 s18, s14, 40
	;; [unrolled: 1-line block ×12, first 2 shown]
	s_addk_i32 s13, 0x118
	s_addk_i32 s14, 0x118
	v_add_lshl_u32 v6, s18, v0, 2
	v_add_lshl_u32 v7, s15, v0, 2
	v_add_lshl_u32 v8, s20, v0, 2
	v_add_lshl_u32 v9, s19, v0, 2
	v_add_lshl_u32 v10, s23, v0, 2
	v_add_lshl_u32 v11, s21, v0, 2
	v_add_lshl_u32 v12, s25, v0, 2
	v_add_lshl_u32 v13, s24, v0, 2
	v_add_lshl_u32 v14, s28, v0, 2
	v_add_lshl_u32 v15, s27, v0, 2
	v_add_lshl_u32 v16, s30, v0, 2
	v_add_lshl_u32 v17, s29, v0, 2
	v_add_lshl_u32 v18, s14, v0, 2
	v_add_lshl_u32 v19, s13, v0, 2
	ds_read_b32 v4, v1 offset:1600
	ds_read_b32 v5, v5 offset:1600
	;; [unrolled: 1-line block ×16, first 2 shown]
	s_add_i32 s8, s8, 16
	s_add_i32 s6, s6, 16
	;; [unrolled: 1-line block ×3, first 2 shown]
	s_add_i32 s12, s12, -8
	s_waitcnt lgkmcnt(12)
	global_store_dwordx4 v[2:3], v[4:7], off offset:-56
	s_waitcnt lgkmcnt(8)
	global_store_dwordx4 v[2:3], v[8:11], off offset:-40
	;; [unrolled: 2-line block ×4, first 2 shown]
	v_add_co_u32_e32 v2, vcc, 64, v2
	s_cmp_lg_u32 s12, 0
	v_addc_co_u32_e32 v3, vcc, 0, v3, vcc
	s_cbranch_scc1 .LBB21_78
.LBB21_79:
	s_and_b32 s12, s9, 7
	s_cmp_eq_u32 s12, 0
	s_mov_b32 s9, 0
	s_cbranch_scc1 .LBB21_82
; %bb.80:
	s_mul_i32 s13, s1, s7
	s_mul_hi_u32 s14, s0, s7
	s_add_i32 s15, s14, s13
	s_mul_i32 s14, s0, s7
	s_lshl_b64 s[18:19], s[4:5], 2
	v_lshlrev_b32_e32 v1, 2, v0
	s_lshl_b64 s[14:15], s[14:15], 2
	v_mov_b32_e32 v2, s19
	v_add_co_u32_e32 v1, vcc, s18, v1
	s_lshl_b64 s[18:19], s[16:17], 2
	s_lshl_b64 s[8:9], s[8:9], 2
	s_add_u32 s8, s2, s8
	s_addc_u32 s9, s3, s9
	s_add_u32 s8, s8, s18
	s_addc_u32 s9, s9, s19
	;; [unrolled: 2-line block ×3, first 2 shown]
	v_addc_co_u32_e32 v4, vcc, 0, v2, vcc
	v_pk_mov_b32 v[2:3], s[8:9], s[8:9] op_sel:[0,1]
	v_mad_u64_u32 v[2:3], s[8:9], v1, s22, v[2:3]
	v_mul_lo_u32 v1, v1, s11
	v_mul_lo_u32 v4, v4, s22
	v_add3_u32 v3, v4, v3, v1
	s_lshl_b32 s8, s12, 3
.LBB21_81:                              ; =>This Inner Loop Header: Depth=1
	s_mul_i32 s9, s6, 20
	s_mul_i32 s12, s10, 20
	v_add_lshl_u32 v1, s12, v0, 2
	v_add_lshl_u32 v5, s9, v0, 2
	ds_read_b32 v4, v1 offset:1600
	ds_read_b32 v5, v5 offset:1600
	s_add_i32 s6, s6, 2
	s_add_i32 s10, s10, 2
	s_add_i32 s8, s8, -8
	s_cmp_lg_u32 s8, 0
	s_waitcnt lgkmcnt(0)
	global_store_dwordx2 v[2:3], v[4:5], off
	v_add_co_u32_e32 v2, vcc, 8, v2
	v_addc_co_u32_e32 v3, vcc, 0, v3, vcc
	s_cbranch_scc1 .LBB21_81
.LBB21_82:
	s_and_b32 s10, s26, 30
	s_cmp_lg_u32 s26, s10
	s_cselect_b64 s[8:9], -1, 0
	s_and_b64 vcc, exec, s[8:9]
	s_cbranch_vccnz .LBB21_84
	s_branch .LBB21_86
.LBB21_83:
	s_mov_b32 s10, 0
	s_cbranch_execz .LBB21_86
.LBB21_84:
	s_mul_i32 s8, s10, 0x50
	v_lshl_add_u32 v1, v0, 2, s8
	s_mul_i32 s1, s1, s7
	s_mul_hi_u32 s8, s0, s7
	s_add_i32 s1, s8, s1
	s_mul_i32 s0, s0, s7
	s_lshl_b64 s[4:5], s[4:5], 2
	v_lshlrev_b32_e32 v0, 2, v0
	s_sub_i32 s6, s26, s10
	v_add_u32_e32 v2, 0x640, v1
	s_lshl_b64 s[0:1], s[0:1], 2
	v_mov_b32_e32 v1, s5
	v_add_co_u32_e32 v3, vcc, s4, v0
	s_lshl_b64 s[4:5], s[16:17], 2
	s_lshl_b32 s7, s10, 2
	s_add_u32 s2, s2, s7
	s_addc_u32 s3, s3, 0
	s_add_u32 s2, s2, s4
	s_addc_u32 s3, s3, s5
	;; [unrolled: 2-line block ×3, first 2 shown]
	v_addc_co_u32_e32 v4, vcc, 0, v1, vcc
	v_pk_mov_b32 v[0:1], s[0:1], s[0:1] op_sel:[0,1]
	v_mad_u64_u32 v[0:1], s[0:1], v3, s22, v[0:1]
	v_mul_lo_u32 v3, v3, s11
	v_mul_lo_u32 v4, v4, s22
	v_add3_u32 v1, v4, v1, v3
.LBB21_85:                              ; =>This Inner Loop Header: Depth=1
	ds_read_b32 v3, v2
	s_add_i32 s6, s6, -1
	v_add_u32_e32 v2, 0x50, v2
	s_cmp_lg_u32 s6, 0
	s_waitcnt lgkmcnt(0)
	global_store_dword v[0:1], v3, off
	v_add_co_u32_e32 v0, vcc, 4, v0
	v_addc_co_u32_e32 v1, vcc, 0, v1, vcc
	s_cbranch_scc1 .LBB21_85
.LBB21_86:
	s_endpgm
	.section	.rodata,"a",@progbits
	.p2align	6, 0x0
	.amdhsa_kernel _ZL38rocblas_trsm_small_left_device_sharedBILi20ELi20ELb0EffPKfPfEv13rocblas_fill_18rocblas_operation_17rocblas_diagonal_iiT3_T4_lilT5_lili
		.amdhsa_group_segment_fixed_size 3200
		.amdhsa_private_segment_fixed_size 0
		.amdhsa_kernarg_size 352
		.amdhsa_user_sgpr_count 6
		.amdhsa_user_sgpr_private_segment_buffer 1
		.amdhsa_user_sgpr_dispatch_ptr 0
		.amdhsa_user_sgpr_queue_ptr 0
		.amdhsa_user_sgpr_kernarg_segment_ptr 1
		.amdhsa_user_sgpr_dispatch_id 0
		.amdhsa_user_sgpr_flat_scratch_init 0
		.amdhsa_user_sgpr_kernarg_preload_length 0
		.amdhsa_user_sgpr_kernarg_preload_offset 0
		.amdhsa_user_sgpr_private_segment_size 0
		.amdhsa_uses_dynamic_stack 0
		.amdhsa_system_sgpr_private_segment_wavefront_offset 0
		.amdhsa_system_sgpr_workgroup_id_x 1
		.amdhsa_system_sgpr_workgroup_id_y 0
		.amdhsa_system_sgpr_workgroup_id_z 1
		.amdhsa_system_sgpr_workgroup_info 0
		.amdhsa_system_vgpr_workitem_id 0
		.amdhsa_next_free_vgpr 61
		.amdhsa_next_free_sgpr 43
		.amdhsa_accum_offset 64
		.amdhsa_reserve_vcc 1
		.amdhsa_reserve_flat_scratch 0
		.amdhsa_float_round_mode_32 0
		.amdhsa_float_round_mode_16_64 0
		.amdhsa_float_denorm_mode_32 3
		.amdhsa_float_denorm_mode_16_64 3
		.amdhsa_dx10_clamp 1
		.amdhsa_ieee_mode 1
		.amdhsa_fp16_overflow 0
		.amdhsa_tg_split 0
		.amdhsa_exception_fp_ieee_invalid_op 0
		.amdhsa_exception_fp_denorm_src 0
		.amdhsa_exception_fp_ieee_div_zero 0
		.amdhsa_exception_fp_ieee_overflow 0
		.amdhsa_exception_fp_ieee_underflow 0
		.amdhsa_exception_fp_ieee_inexact 0
		.amdhsa_exception_int_div_zero 0
	.end_amdhsa_kernel
	.section	.text._ZL38rocblas_trsm_small_left_device_sharedBILi20ELi20ELb0EffPKfPfEv13rocblas_fill_18rocblas_operation_17rocblas_diagonal_iiT3_T4_lilT5_lili,"axG",@progbits,_ZL38rocblas_trsm_small_left_device_sharedBILi20ELi20ELb0EffPKfPfEv13rocblas_fill_18rocblas_operation_17rocblas_diagonal_iiT3_T4_lilT5_lili,comdat
.Lfunc_end21:
	.size	_ZL38rocblas_trsm_small_left_device_sharedBILi20ELi20ELb0EffPKfPfEv13rocblas_fill_18rocblas_operation_17rocblas_diagonal_iiT3_T4_lilT5_lili, .Lfunc_end21-_ZL38rocblas_trsm_small_left_device_sharedBILi20ELi20ELb0EffPKfPfEv13rocblas_fill_18rocblas_operation_17rocblas_diagonal_iiT3_T4_lilT5_lili
                                        ; -- End function
	.section	.AMDGPU.csdata,"",@progbits
; Kernel info:
; codeLenInByte = 18424
; NumSgprs: 47
; NumVgprs: 61
; NumAgprs: 0
; TotalNumVgprs: 61
; ScratchSize: 0
; MemoryBound: 0
; FloatMode: 240
; IeeeMode: 1
; LDSByteSize: 3200 bytes/workgroup (compile time only)
; SGPRBlocks: 5
; VGPRBlocks: 7
; NumSGPRsForWavesPerEU: 47
; NumVGPRsForWavesPerEU: 61
; AccumOffset: 64
; Occupancy: 5
; WaveLimiterHint : 0
; COMPUTE_PGM_RSRC2:SCRATCH_EN: 0
; COMPUTE_PGM_RSRC2:USER_SGPR: 6
; COMPUTE_PGM_RSRC2:TRAP_HANDLER: 0
; COMPUTE_PGM_RSRC2:TGID_X_EN: 1
; COMPUTE_PGM_RSRC2:TGID_Y_EN: 0
; COMPUTE_PGM_RSRC2:TGID_Z_EN: 1
; COMPUTE_PGM_RSRC2:TIDIG_COMP_CNT: 0
; COMPUTE_PGM_RSRC3_GFX90A:ACCUM_OFFSET: 15
; COMPUTE_PGM_RSRC3_GFX90A:TG_SPLIT: 0
	.section	.text._ZL30rocblas_trsm_small_left_deviceILi20ELi20ELb0EffPKfPfEv13rocblas_fill_18rocblas_operation_17rocblas_diagonal_iiT3_T4_lilT5_lili,"axG",@progbits,_ZL30rocblas_trsm_small_left_deviceILi20ELi20ELb0EffPKfPfEv13rocblas_fill_18rocblas_operation_17rocblas_diagonal_iiT3_T4_lilT5_lili,comdat
	.globl	_ZL30rocblas_trsm_small_left_deviceILi20ELi20ELb0EffPKfPfEv13rocblas_fill_18rocblas_operation_17rocblas_diagonal_iiT3_T4_lilT5_lili ; -- Begin function _ZL30rocblas_trsm_small_left_deviceILi20ELi20ELb0EffPKfPfEv13rocblas_fill_18rocblas_operation_17rocblas_diagonal_iiT3_T4_lilT5_lili
	.p2align	8
	.type	_ZL30rocblas_trsm_small_left_deviceILi20ELi20ELb0EffPKfPfEv13rocblas_fill_18rocblas_operation_17rocblas_diagonal_iiT3_T4_lilT5_lili,@function
_ZL30rocblas_trsm_small_left_deviceILi20ELi20ELb0EffPKfPfEv13rocblas_fill_18rocblas_operation_17rocblas_diagonal_iiT3_T4_lilT5_lili: ; @_ZL30rocblas_trsm_small_left_deviceILi20ELi20ELb0EffPKfPfEv13rocblas_fill_18rocblas_operation_17rocblas_diagonal_iiT3_T4_lilT5_lili
; %bb.0:
	s_load_dwordx4 s[8:11], s[4:5], 0x4
	s_load_dword s16, s[4:5], 0x14
	s_load_dwordx4 s[0:3], s[4:5], 0x30
	s_load_dwordx2 s[20:21], s[4:5], 0x40
	s_mov_b32 s19, 0
	s_waitcnt lgkmcnt(0)
	s_min_i32 s18, s10, 20
	v_cmp_gt_i32_e32 vcc, s18, v0
	s_and_saveexec_b64 s[22:23], vcc
	s_cbranch_execz .LBB22_15
; %bb.1:
	s_load_dword s24, s[4:5], 0x28
	s_load_dwordx4 s[12:15], s[4:5], 0x18
	s_cmp_gt_u32 s18, 1
	s_cselect_b64 s[26:27], -1, 0
	s_mov_b32 s17, 1
	s_waitcnt lgkmcnt(0)
	s_cmp_eq_u32 s24, 1
	s_cselect_b64 s[28:29], -1, 0
	s_and_b64 s[28:29], s[26:27], s[28:29]
	s_mov_b64 s[26:27], -1
	s_and_b64 vcc, exec, s[28:29]
	s_cbranch_vccz .LBB22_9
; %bb.2:
	s_add_i32 s26, s18, -2
	s_lshr_b32 s25, s26, 1
	s_add_i32 s25, s25, 1
	s_cmp_lt_u32 s26, 14
	s_mov_b32 s26, s19
	s_cbranch_scc1 .LBB22_5
; %bb.3:
	s_mul_i32 s17, s1, s7
	s_mul_hi_u32 s19, s0, s7
	s_add_i32 s29, s19, s17
	s_mul_i32 s28, s0, s7
	s_and_b32 s27, s25, -8
	s_lshl_b64 s[28:29], s[28:29], 2
	s_lshl_b64 s[30:31], s[14:15], 2
	s_add_u32 s17, s28, s30
	s_addc_u32 s19, s29, s31
	s_add_u32 s17, s12, s17
	v_lshlrev_b32_e32 v1, 2, v0
	s_addc_u32 s19, s13, s19
	v_mov_b32_e32 v2, s19
	v_add_co_u32_e32 v1, vcc, s17, v1
	v_addc_co_u32_e32 v3, vcc, 0, v2, vcc
	v_add_co_u32_e32 v2, vcc, 56, v1
	v_addc_co_u32_e32 v3, vcc, 0, v3, vcc
	s_mov_b32 s17, 1
	s_mov_b32 s26, 0
	;; [unrolled: 1-line block ×3, first 2 shown]
.LBB22_4:                               ; =>This Inner Loop Header: Depth=1
	global_load_dwordx4 v[4:7], v[2:3], off offset:-56
	global_load_dwordx4 v[8:11], v[2:3], off offset:-40
	;; [unrolled: 1-line block ×4, first 2 shown]
	s_mul_i32 s28, s17, 20
	s_mul_i32 s29, s19, 20
	s_add_i32 s26, s26, 16
	s_add_i32 s17, s17, 16
	;; [unrolled: 1-line block ×3, first 2 shown]
	s_add_i32 s27, s27, -8
	v_add_co_u32_e32 v2, vcc, 64, v2
	v_add_lshl_u32 v1, s29, v0, 2
	v_add_lshl_u32 v20, s28, v0, 2
	s_add_i32 s30, s28, 40
	s_add_i32 s31, s29, 40
	;; [unrolled: 1-line block ×12, first 2 shown]
	s_addk_i32 s28, 0x118
	s_addk_i32 s29, 0x118
	v_addc_co_u32_e32 v3, vcc, 0, v3, vcc
	s_cmp_lg_u32 s27, 0
	v_add_lshl_u32 v21, s31, v0, 2
	v_add_lshl_u32 v22, s30, v0, 2
	;; [unrolled: 1-line block ×14, first 2 shown]
	s_waitcnt vmcnt(3)
	ds_write_b32 v1, v4
	ds_write_b32 v20, v5
	ds_write_b32 v21, v6
	ds_write_b32 v22, v7
	s_waitcnt vmcnt(2)
	ds_write_b32 v23, v8
	ds_write_b32 v24, v9
	ds_write_b32 v25, v10
	ds_write_b32 v26, v11
	;; [unrolled: 5-line block ×4, first 2 shown]
	s_cbranch_scc1 .LBB22_4
.LBB22_5:
	s_and_b32 s25, s25, 7
	s_cmp_eq_u32 s25, 0
	s_mov_b32 s27, 0
	s_cbranch_scc1 .LBB22_8
; %bb.6:
	s_mul_i32 s28, s1, s7
	s_mul_hi_u32 s29, s0, s7
	s_add_i32 s29, s29, s28
	s_mul_i32 s28, s0, s7
	s_lshl_b64 s[28:29], s[28:29], 2
	s_lshl_b64 s[30:31], s[14:15], 2
	s_add_u32 s28, s28, s30
	s_addc_u32 s29, s29, s31
	s_lshl_b64 s[26:27], s[26:27], 2
	s_add_u32 s26, s12, s26
	s_addc_u32 s27, s13, s27
	s_add_u32 s26, s26, s28
	v_lshlrev_b32_e32 v1, 2, v0
	s_addc_u32 s27, s27, s29
	v_mov_b32_e32 v3, s27
	v_add_co_u32_e32 v2, vcc, s26, v1
	v_addc_co_u32_e32 v3, vcc, 0, v3, vcc
	s_lshl_b32 s25, s25, 3
.LBB22_7:                               ; =>This Inner Loop Header: Depth=1
	global_load_dwordx2 v[4:5], v[2:3], off
	s_mul_i32 s26, s17, 20
	s_mul_i32 s27, s19, 20
	s_add_i32 s17, s17, 2
	s_add_i32 s19, s19, 2
	v_add_co_u32_e32 v2, vcc, 8, v2
	s_add_i32 s25, s25, -8
	v_addc_co_u32_e32 v3, vcc, 0, v3, vcc
	v_add_lshl_u32 v1, s27, v0, 2
	s_cmp_lg_u32 s25, 0
	v_add_lshl_u32 v6, s26, v0, 2
	s_waitcnt vmcnt(0)
	ds_write_b32 v1, v4
	ds_write_b32 v6, v5
	s_cbranch_scc1 .LBB22_7
.LBB22_8:
	s_and_b32 s19, s18, -2
	s_cmp_lg_u32 s18, s19
	s_cselect_b64 s[26:27], -1, 0
.LBB22_9:
	s_and_b64 vcc, exec, s[26:27]
	s_cbranch_vccz .LBB22_12
; %bb.10:
	s_ashr_i32 s25, s24, 31
	s_mul_i32 s1, s1, s7
	s_mul_hi_u32 s17, s0, s7
	s_add_i32 s1, s17, s1
	s_mul_hi_u32 s17, s24, s19
	s_mul_i32 s26, s25, s19
	s_mul_i32 s0, s0, s7
	s_add_i32 s27, s17, s26
	s_mul_i32 s26, s24, s19
	s_lshl_b64 s[0:1], s[0:1], 2
	s_lshl_b64 s[26:27], s[26:27], 2
	s_add_u32 s17, s0, s26
	s_addc_u32 s26, s1, s27
	s_lshl_b64 s[0:1], s[14:15], 2
	s_add_u32 s0, s17, s0
	s_addc_u32 s1, s26, s1
	s_add_u32 s0, s12, s0
	v_lshlrev_b32_e32 v1, 2, v0
	s_addc_u32 s1, s13, s1
	v_mov_b32_e32 v3, s1
	v_add_co_u32_e32 v2, vcc, s0, v1
	s_lshl_b64 s[0:1], s[24:25], 2
	s_mul_i32 s13, s19, 0x50
	v_addc_co_u32_e32 v3, vcc, 0, v3, vcc
	s_sub_i32 s12, s18, s19
	v_lshl_add_u32 v1, v0, 2, s13
	v_mov_b32_e32 v4, s1
.LBB22_11:                              ; =>This Inner Loop Header: Depth=1
	global_load_dword v5, v[2:3], off
	v_add_co_u32_e32 v2, vcc, s0, v2
	s_add_i32 s12, s12, -1
	v_addc_co_u32_e32 v3, vcc, v3, v4, vcc
	s_cmp_eq_u32 s12, 0
	s_waitcnt vmcnt(0)
	ds_write_b32 v1, v5
	v_add_u32_e32 v1, 0x50, v1
	s_cbranch_scc0 .LBB22_11
.LBB22_12:
	v_mul_u32_u24_e32 v1, 21, v0
	s_cmpk_lg_i32 s9, 0x84
	v_lshlrev_b32_e32 v1, 2, v1
	v_mov_b32_e32 v2, 1.0
	s_cbranch_scc0 .LBB22_14
; %bb.13:
	ds_read_b32 v2, v1
	s_waitcnt lgkmcnt(0)
	v_div_scale_f32 v3, s[0:1], v2, v2, 1.0
	v_rcp_f32_e32 v4, v3
	v_div_scale_f32 v5, vcc, 1.0, v2, 1.0
	v_fma_f32 v6, -v3, v4, 1.0
	v_fmac_f32_e32 v4, v6, v4
	v_mul_f32_e32 v6, v5, v4
	v_fma_f32 v7, -v3, v6, v5
	v_fmac_f32_e32 v6, v7, v4
	v_fma_f32 v3, -v3, v6, v5
	v_div_fmas_f32 v3, v3, v4, v6
	v_div_fixup_f32 v2, v3, v2, 1.0
.LBB22_14:
	ds_write_b32 v1, v2
.LBB22_15:
	s_or_b64 exec, exec, s[22:23]
	s_load_dword s0, s[4:5], 0x60
	s_mul_i32 s1, s6, 0xffffffec
	s_add_i32 s1, s1, s11
	s_waitcnt lgkmcnt(0)
	; wave barrier
	s_waitcnt lgkmcnt(0)
	s_add_i32 s0, s0, -1
	s_cmp_ge_u32 s6, s0
	s_cselect_b32 s0, s1, 20
	v_cmp_gt_i32_e32 vcc, s0, v0
	s_and_saveexec_b64 s[0:1], vcc
	s_cbranch_execz .LBB22_62
; %bb.16:
	s_load_dwordx2 s[0:1], s[4:5], 0x50
	s_load_dword s9, s[4:5], 0x48
	s_waitcnt lgkmcnt(0)
	s_mul_i32 s1, s7, s1
	s_mul_hi_u32 s4, s7, s0
	s_mul_i32 s0, s7, s0
	s_add_i32 s1, s4, s1
	s_lshl_b64 s[0:1], s[0:1], 2
	s_add_u32 s7, s2, s0
	s_addc_u32 s11, s3, s1
	s_lshl_b64 s[4:5], s[20:21], 2
	s_add_u32 s12, s7, s4
	v_mad_u64_u32 v[0:1], s[6:7], s6, 20, v[0:1]
	v_mad_i64_i32 v[0:1], s[6:7], s9, v0, 0
	s_addc_u32 s11, s11, s5
	v_lshlrev_b64 v[22:23], 2, v[0:1]
	v_mov_b32_e32 v0, s11
	v_add_co_u32_e32 v20, vcc, s12, v22
	v_addc_co_u32_e32 v21, vcc, v0, v23, vcc
	s_cmpk_eq_i32 s8, 0x6f
	s_mov_b64 s[6:7], -1
	s_cbranch_scc1 .LBB22_40
; %bb.17:
	s_cmp_gt_i32 s10, 19
	s_cselect_b64 s[8:9], -1, 0
	s_mov_b32 s6, 0
	s_and_b64 vcc, exec, s[8:9]
	s_cbranch_vccz .LBB22_19
; %bb.18:
	global_load_dwordx4 v[0:3], v[20:21], off
	global_load_dwordx4 v[4:7], v[20:21], off offset:16
	global_load_dwordx4 v[12:15], v[20:21], off offset:32
	global_load_dwordx4 v[16:19], v[20:21], off offset:48
	v_mov_b32_e32 v55, 0
	ds_read_b32 v43, v55
	ds_read_b64 v[44:45], v55 offset:80
	ds_read_b96 v[40:42], v55 offset:160
	ds_read_b128 v[8:11], v55 offset:240
	ds_read_b128 v[24:27], v55 offset:320
	ds_read_b32 v60, v55 offset:336
	ds_read_b128 v[28:31], v55 offset:400
	ds_read_b64 v[56:57], v55 offset:416
	ds_read_b128 v[32:35], v55 offset:480
	ds_read_b96 v[52:54], v55 offset:496
	ds_read_b128 v[36:39], v55 offset:560
	s_mov_b32 s6, 20
	s_waitcnt vmcnt(3)
	v_mul_f32_e32 v0, s16, v0
	s_waitcnt lgkmcnt(10)
	v_mul_f32_e32 v0, v43, v0
	s_waitcnt lgkmcnt(9)
	v_mul_f32_e32 v43, v0, v44
	s_waitcnt lgkmcnt(8)
	v_mul_f32_e32 v40, v0, v40
	v_fma_f32 v1, v1, s16, -v43
	s_waitcnt lgkmcnt(7)
	v_mul_f32_e32 v8, v0, v8
	v_fma_f32 v2, v2, s16, -v40
	v_mul_f32_e32 v1, v45, v1
	s_waitcnt lgkmcnt(6)
	v_mul_f32_e32 v24, v0, v24
	s_waitcnt lgkmcnt(4)
	v_mul_f32_e32 v28, v0, v28
	v_fma_f32 v3, v3, s16, -v8
	v_fma_f32 v2, -v1, v41, v2
	s_waitcnt lgkmcnt(0)
	v_mul_f32_e32 v8, v0, v36
	s_waitcnt vmcnt(2)
	v_fma_f32 v24, v4, s16, -v24
	v_fma_f32 v28, v5, s16, -v28
	v_mul_f32_e32 v2, v42, v2
	v_fma_f32 v3, -v1, v9, v3
	v_fma_f32 v36, v7, s16, -v8
	v_fma_f32 v3, -v2, v10, v3
	v_fma_f32 v8, -v1, v25, v24
	;; [unrolled: 1-line block ×3, first 2 shown]
	v_mul_f32_e32 v32, v0, v32
	v_mul_f32_e32 v3, v11, v3
	v_fma_f32 v8, -v2, v26, v8
	v_fma_f32 v9, -v2, v30, v9
	v_fma_f32 v32, v6, s16, -v32
	global_load_dwordx4 v[4:7], v[20:21], off offset:64
	ds_read_b128 v[40:43], v55 offset:576
	ds_read_b128 v[44:47], v55 offset:640
	;; [unrolled: 1-line block ×3, first 2 shown]
	ds_read_b32 v61, v55 offset:672
	v_fma_f32 v62, -v3, v27, v8
	v_fma_f32 v63, -v3, v31, v9
	ds_read_b128 v[8:11], v55 offset:720
	ds_read_b128 v[24:27], v55 offset:736
	v_fma_f32 v28, -v1, v33, v32
	v_fma_f32 v28, -v2, v34, v28
	;; [unrolled: 1-line block ×3, first 2 shown]
	ds_read_b64 v[58:59], v55 offset:752
	ds_read_b128 v[28:31], v55 offset:800
	s_waitcnt lgkmcnt(3)
	v_mul_f32_e32 v8, v0, v8
	s_waitcnt vmcnt(2)
	v_fma_f32 v8, v13, s16, -v8
	v_fma_f32 v8, -v1, v9, v8
	v_fma_f32 v32, -v1, v37, v36
	;; [unrolled: 1-line block ×5, first 2 shown]
	s_waitcnt lgkmcnt(0)
	v_mul_f32_e32 v8, v0, v28
	v_fma_f32 v39, -v3, v39, v32
	v_mul_f32_e32 v32, v0, v44
	v_fma_f32 v8, v14, s16, -v8
	v_fma_f32 v12, v12, s16, -v32
	v_fma_f32 v8, -v1, v29, v8
	v_fma_f32 v12, -v1, v45, v12
	;; [unrolled: 1-line block ×4, first 2 shown]
	ds_read_b128 v[32:35], v55 offset:816
	ds_read_b96 v[36:38], v55 offset:832
	v_fma_f32 v11, -v3, v31, v8
	v_mul_f32_e32 v8, v60, v62
	v_fma_f32 v9, -v3, v47, v9
	v_fma_f32 v12, -v8, v56, v63
	;; [unrolled: 1-line block ×4, first 2 shown]
	v_mul_f32_e32 v9, v57, v12
	v_fma_f32 v14, -v8, v40, v39
	v_fma_f32 v10, -v8, v24, v10
	;; [unrolled: 1-line block ×3, first 2 shown]
	s_waitcnt lgkmcnt(1)
	v_fma_f32 v11, -v8, v32, v11
	v_fma_f32 v13, -v9, v41, v14
	;; [unrolled: 1-line block ×3, first 2 shown]
	v_mul_f32_e32 v10, v54, v12
	v_fma_f32 v25, -v9, v33, v11
	v_fma_f32 v11, -v10, v42, v13
	;; [unrolled: 1-line block ×4, first 2 shown]
	v_mul_f32_e32 v11, v43, v11
	v_fma_f32 v12, -v10, v50, v14
	v_fma_f32 v13, -v11, v27, v13
	;; [unrolled: 1-line block ×3, first 2 shown]
	ds_read_b128 v[24:27], v55 offset:880
	ds_read_b128 v[28:31], v55 offset:896
	v_fma_f32 v12, -v11, v51, v12
	v_mul_f32_e32 v12, v61, v12
	v_fma_f32 v13, -v12, v58, v13
	s_waitcnt lgkmcnt(1)
	v_mul_f32_e32 v24, v0, v24
	v_fma_f32 v15, v15, s16, -v24
	v_fma_f32 v15, -v1, v25, v15
	v_fma_f32 v15, -v2, v26, v15
	;; [unrolled: 1-line block ×3, first 2 shown]
	s_waitcnt lgkmcnt(0)
	v_fma_f32 v15, -v8, v28, v15
	ds_read_b128 v[24:27], v55 offset:912
	v_fma_f32 v15, -v9, v29, v15
	v_fma_f32 v15, -v10, v30, v15
	v_fma_f32 v15, -v11, v31, v15
	ds_read_b128 v[28:31], v55 offset:960
	v_fma_f32 v14, -v11, v35, v14
	v_mul_f32_e32 v13, v59, v13
	v_fma_f32 v14, -v12, v36, v14
	v_fma_f32 v14, -v13, v37, v14
	s_waitcnt lgkmcnt(1)
	v_fma_f32 v15, -v12, v24, v15
	v_mul_f32_e32 v14, v38, v14
	v_fma_f32 v15, -v13, v25, v15
	v_fma_f32 v15, -v14, v26, v15
	s_waitcnt lgkmcnt(0)
	v_mul_f32_e32 v24, v0, v28
	v_mul_f32_e32 v15, v27, v15
	s_waitcnt vmcnt(1)
	v_fma_f32 v16, v16, s16, -v24
	ds_read_b128 v[24:27], v55 offset:976
	v_fma_f32 v16, -v1, v29, v16
	v_fma_f32 v16, -v2, v30, v16
	;; [unrolled: 1-line block ×3, first 2 shown]
	ds_read_b128 v[28:31], v55 offset:992
	s_waitcnt lgkmcnt(1)
	v_fma_f32 v16, -v8, v24, v16
	v_fma_f32 v16, -v9, v25, v16
	;; [unrolled: 1-line block ×3, first 2 shown]
	global_store_dwordx4 v[20:21], v[0:3], off
	global_store_dwordx4 v[20:21], v[8:11], off offset:16
	global_store_dwordx4 v[20:21], v[12:15], off offset:32
	v_fma_f32 v16, -v11, v27, v16
	s_waitcnt lgkmcnt(0)
	v_fma_f32 v16, -v12, v28, v16
	ds_read_b32 v28, v55 offset:1008
	ds_read_b128 v[24:27], v55 offset:1040
	v_fma_f32 v16, -v13, v29, v16
	v_fma_f32 v16, -v14, v30, v16
	v_fma_f32 v16, -v15, v31, v16
	s_waitcnt lgkmcnt(1)
	v_mul_f32_e32 v16, v28, v16
	s_waitcnt lgkmcnt(0)
	v_mul_f32_e32 v24, v0, v24
	ds_read_b128 v[28:31], v55 offset:1056
	v_fma_f32 v17, v17, s16, -v24
	v_fma_f32 v17, -v1, v25, v17
	v_fma_f32 v17, -v2, v26, v17
	;; [unrolled: 1-line block ×3, first 2 shown]
	ds_read_b128 v[24:27], v55 offset:1072
	s_waitcnt lgkmcnt(1)
	v_fma_f32 v17, -v8, v28, v17
	v_fma_f32 v17, -v9, v29, v17
	;; [unrolled: 1-line block ×4, first 2 shown]
	ds_read_b64 v[32:33], v55 offset:1088
	ds_read_b128 v[28:31], v55 offset:1120
	s_waitcnt lgkmcnt(2)
	v_fma_f32 v17, -v12, v24, v17
	v_fma_f32 v17, -v13, v25, v17
	v_fma_f32 v17, -v14, v26, v17
	v_fma_f32 v17, -v15, v27, v17
	s_waitcnt lgkmcnt(0)
	v_mul_f32_e32 v24, v0, v28
	v_fma_f32 v18, v18, s16, -v24
	ds_read_b128 v[24:27], v55 offset:1136
	v_fma_f32 v18, -v1, v29, v18
	v_fma_f32 v18, -v2, v30, v18
	;; [unrolled: 1-line block ×3, first 2 shown]
	ds_read_b128 v[28:31], v55 offset:1152
	s_waitcnt lgkmcnt(1)
	v_fma_f32 v18, -v8, v24, v18
	v_fma_f32 v18, -v9, v25, v18
	v_fma_f32 v17, -v16, v32, v17
	v_fma_f32 v18, -v10, v26, v18
	v_mul_f32_e32 v17, v33, v17
	v_fma_f32 v18, -v11, v27, v18
	ds_read_b96 v[32:34], v55 offset:1168
	ds_read_b128 v[24:27], v55 offset:1200
	s_waitcnt lgkmcnt(2)
	v_fma_f32 v18, -v12, v28, v18
	v_fma_f32 v18, -v13, v29, v18
	;; [unrolled: 1-line block ×4, first 2 shown]
	s_waitcnt lgkmcnt(0)
	v_mul_f32_e32 v24, v0, v24
	ds_read_b128 v[28:31], v55 offset:1216
	v_fma_f32 v19, v19, s16, -v24
	v_fma_f32 v19, -v1, v25, v19
	v_fma_f32 v19, -v2, v26, v19
	;; [unrolled: 1-line block ×3, first 2 shown]
	ds_read_b128 v[24:27], v55 offset:1232
	s_waitcnt lgkmcnt(1)
	v_fma_f32 v19, -v8, v28, v19
	v_fma_f32 v19, -v9, v29, v19
	;; [unrolled: 1-line block ×4, first 2 shown]
	ds_read_b128 v[28:31], v55 offset:1248
	s_waitcnt lgkmcnt(1)
	v_fma_f32 v19, -v12, v24, v19
	v_fma_f32 v19, -v13, v25, v19
	v_fma_f32 v19, -v14, v26, v19
	v_fma_f32 v18, -v16, v32, v18
	v_fma_f32 v19, -v15, v27, v19
	ds_read_b128 v[24:27], v55 offset:1280
	v_fma_f32 v18, -v17, v33, v18
	s_waitcnt lgkmcnt(1)
	v_fma_f32 v19, -v16, v28, v19
	v_mul_f32_e32 v18, v34, v18
	v_fma_f32 v19, -v17, v29, v19
	v_fma_f32 v19, -v18, v30, v19
	v_mul_f32_e32 v19, v31, v19
	global_store_dwordx4 v[20:21], v[16:19], off offset:48
	s_waitcnt lgkmcnt(0)
	v_mul_f32_e32 v24, v0, v24
	ds_read_b128 v[28:31], v55 offset:1296
	ds_read_b128 v[32:35], v55 offset:1312
	s_waitcnt vmcnt(4)
	v_fma_f32 v4, v4, s16, -v24
	v_fma_f32 v4, -v1, v25, v4
	v_fma_f32 v4, -v2, v26, v4
	;; [unrolled: 1-line block ×3, first 2 shown]
	s_waitcnt lgkmcnt(1)
	v_fma_f32 v4, -v8, v28, v4
	v_fma_f32 v4, -v9, v29, v4
	;; [unrolled: 1-line block ×4, first 2 shown]
	ds_read_b128 v[24:27], v55 offset:1328
	s_waitcnt lgkmcnt(1)
	v_fma_f32 v4, -v12, v32, v4
	ds_read_b32 v32, v55 offset:1344
	v_fma_f32 v4, -v13, v33, v4
	v_fma_f32 v4, -v14, v34, v4
	ds_read_b128 v[28:31], v55 offset:1360
	v_fma_f32 v4, -v15, v35, v4
	s_waitcnt lgkmcnt(2)
	v_fma_f32 v4, -v16, v24, v4
	v_fma_f32 v4, -v17, v25, v4
	;; [unrolled: 1-line block ×4, first 2 shown]
	ds_read_b128 v[24:27], v55 offset:1376
	s_waitcnt lgkmcnt(1)
	v_mul_f32_e32 v28, v0, v28
	v_fma_f32 v5, v5, s16, -v28
	v_fma_f32 v5, -v1, v29, v5
	v_fma_f32 v5, -v2, v30, v5
	;; [unrolled: 1-line block ×3, first 2 shown]
	ds_read_b128 v[28:31], v55 offset:1392
	s_waitcnt lgkmcnt(1)
	v_fma_f32 v5, -v8, v24, v5
	v_fma_f32 v5, -v9, v25, v5
	;; [unrolled: 1-line block ×4, first 2 shown]
	ds_read_b128 v[24:27], v55 offset:1408
	s_waitcnt lgkmcnt(1)
	v_fma_f32 v5, -v12, v28, v5
	v_fma_f32 v5, -v13, v29, v5
	;; [unrolled: 1-line block ×3, first 2 shown]
	v_mul_f32_e32 v4, v32, v4
	v_fma_f32 v5, -v15, v31, v5
	ds_read_b64 v[32:33], v55 offset:1424
	ds_read_b128 v[28:31], v55 offset:1440
	s_waitcnt lgkmcnt(2)
	v_fma_f32 v5, -v16, v24, v5
	v_fma_f32 v5, -v17, v25, v5
	;; [unrolled: 1-line block ×4, first 2 shown]
	s_waitcnt lgkmcnt(0)
	v_mul_f32_e32 v24, v0, v28
	v_fma_f32 v6, v6, s16, -v24
	ds_read_b128 v[24:27], v55 offset:1456
	v_fma_f32 v6, -v1, v29, v6
	v_fma_f32 v6, -v2, v30, v6
	;; [unrolled: 1-line block ×3, first 2 shown]
	ds_read_b128 v[28:31], v55 offset:1472
	s_waitcnt lgkmcnt(1)
	v_fma_f32 v6, -v8, v24, v6
	v_fma_f32 v6, -v9, v25, v6
	;; [unrolled: 1-line block ×4, first 2 shown]
	ds_read_b128 v[24:27], v55 offset:1488
	s_waitcnt lgkmcnt(1)
	v_fma_f32 v6, -v12, v28, v6
	v_fma_f32 v6, -v13, v29, v6
	;; [unrolled: 1-line block ×3, first 2 shown]
	ds_read_b96 v[28:30], v55 offset:1504
	v_fma_f32 v6, -v15, v31, v6
	s_waitcnt lgkmcnt(1)
	v_fma_f32 v6, -v16, v24, v6
	v_fma_f32 v6, -v17, v25, v6
	;; [unrolled: 1-line block ×4, first 2 shown]
	ds_read_b128 v[24:27], v55 offset:1520
	v_fma_f32 v5, -v4, v32, v5
	v_mul_f32_e32 v5, v33, v5
	s_waitcnt lgkmcnt(1)
	v_fma_f32 v6, -v4, v28, v6
	v_fma_f32 v6, -v5, v29, v6
	v_mul_f32_e32 v6, v30, v6
	ds_read_b128 v[28:31], v55 offset:1536
	s_waitcnt lgkmcnt(1)
	v_mul_f32_e32 v0, v0, v24
	v_fma_f32 v0, v7, s16, -v0
	v_fma_f32 v0, -v1, v25, v0
	v_fma_f32 v0, -v2, v26, v0
	v_fma_f32 v0, -v3, v27, v0
	s_waitcnt lgkmcnt(0)
	v_fma_f32 v7, -v8, v28, v0
	ds_read_b128 v[0:3], v55 offset:1552
	v_fma_f32 v7, -v9, v29, v7
	v_fma_f32 v7, -v10, v30, v7
	;; [unrolled: 1-line block ×3, first 2 shown]
	ds_read_b128 v[8:11], v55 offset:1568
	s_waitcnt lgkmcnt(1)
	v_fma_f32 v0, -v12, v0, v7
	v_fma_f32 v0, -v13, v1, v0
	v_fma_f32 v0, -v14, v2, v0
	v_fma_f32 v7, -v15, v3, v0
	ds_read_b128 v[0:3], v55 offset:1584
	s_waitcnt lgkmcnt(1)
	v_fma_f32 v7, -v16, v8, v7
	v_fma_f32 v7, -v17, v9, v7
	;; [unrolled: 1-line block ×4, first 2 shown]
	s_waitcnt lgkmcnt(0)
	v_fma_f32 v0, -v4, v0, v7
	v_fma_f32 v0, -v5, v1, v0
	;; [unrolled: 1-line block ×3, first 2 shown]
	v_mul_f32_e32 v7, v3, v0
	global_store_dwordx4 v[20:21], v[4:7], off offset:64
.LBB22_19:
	s_cmp_lt_i32 s6, s18
	s_cbranch_scc0 .LBB22_39
; %bb.20:
	s_add_i32 s7, s6, 15
	s_cmp_ge_u32 s7, s18
	s_cbranch_scc1 .LBB22_28
; %bb.21:
	s_lshl_b32 s11, s6, 2
	v_add_co_u32_e32 v8, vcc, s11, v20
	v_addc_co_u32_e32 v9, vcc, 0, v21, vcc
	global_load_dwordx4 v[0:3], v[8:9], off
	global_load_dwordx4 v[4:7], v[8:9], off offset:16
	global_load_dwordx4 v[10:13], v[8:9], off offset:32
	;; [unrolled: 1-line block ×3, first 2 shown]
	s_mov_b32 s11, 0
	s_andn2_b64 vcc, exec, s[8:9]
	s_waitcnt vmcnt(3)
	v_pk_mul_f32 v[0:1], v[0:1], s[16:17] op_sel_hi:[1,0]
	v_pk_mul_f32 v[2:3], v[2:3], s[16:17] op_sel_hi:[1,0]
	s_waitcnt vmcnt(2)
	v_pk_mul_f32 v[4:5], v[4:5], s[16:17] op_sel_hi:[1,0]
	v_pk_mul_f32 v[6:7], v[6:7], s[16:17] op_sel_hi:[1,0]
	;; [unrolled: 3-line block ×4, first 2 shown]
	s_cbranch_vccnz .LBB22_27
; %bb.22:
	s_max_u32 s8, s6, 1
	s_cmp_eq_u32 s8, 1
	s_cbranch_scc1 .LBB22_25
; %bb.23:
	s_and_b32 s11, s8, 20
	s_add_u32 s12, s2, s4
	s_addc_u32 s13, s3, s5
	s_add_u32 s12, s12, s0
	s_addc_u32 s13, s13, s1
	v_mov_b32_e32 v18, s13
	v_add_co_u32_e32 v19, vcc, s12, v22
	v_addc_co_u32_e32 v24, vcc, v18, v23, vcc
	v_add_co_u32_e32 v18, vcc, 4, v19
	s_mul_i32 s9, s6, 0x50
	v_addc_co_u32_e32 v19, vcc, 0, v24, vcc
	s_mov_b32 s12, 0
.LBB22_24:                              ; =>This Inner Loop Header: Depth=1
	global_load_dwordx2 v[56:57], v[18:19], off offset:-4
	v_mov_b32_e32 v52, s9
	ds_read2_b64 v[24:27], v52 offset1:10
	ds_read2_b64 v[28:31], v52 offset0:20 offset1:30
	ds_read2_b64 v[32:35], v52 offset0:40 offset1:50
	;; [unrolled: 1-line block ×7, first 2 shown]
	s_waitcnt lgkmcnt(7)
	v_mov_b32_e32 v58, v24
	v_mov_b32_e32 v59, v26
	s_waitcnt lgkmcnt(6)
	v_mov_b32_e32 v60, v28
	v_mov_b32_e32 v61, v30
	;; [unrolled: 3-line block ×4, first 2 shown]
	s_add_i32 s12, s12, 2
	s_add_i32 s9, s9, 8
	v_add_co_u32_e32 v18, vcc, 8, v18
	v_mov_b32_e32 v26, v25
	v_mov_b32_e32 v30, v29
	;; [unrolled: 1-line block ×4, first 2 shown]
	v_addc_co_u32_e32 v19, vcc, 0, v19, vcc
	s_cmp_lg_u32 s11, s12
	s_waitcnt vmcnt(0)
	v_pk_fma_f32 v[0:1], v[56:57], v[58:59], v[0:1] op_sel_hi:[0,1,1] neg_lo:[1,0,0] neg_hi:[1,0,0]
	s_waitcnt lgkmcnt(3)
	v_mov_b32_e32 v58, v40
	v_mov_b32_e32 v59, v42
	v_pk_fma_f32 v[2:3], v[56:57], v[60:61], v[2:3] op_sel_hi:[0,1,1] neg_lo:[1,0,0] neg_hi:[1,0,0]
	s_waitcnt lgkmcnt(2)
	v_mov_b32_e32 v60, v44
	v_mov_b32_e32 v61, v46
	;; [unrolled: 4-line block ×4, first 2 shown]
	v_mov_b32_e32 v42, v41
	v_mov_b32_e32 v46, v45
	;; [unrolled: 1-line block ×4, first 2 shown]
	v_pk_fma_f32 v[16:17], v[56:57], v[58:59], v[16:17] op_sel_hi:[0,1,1] neg_lo:[1,0,0] neg_hi:[1,0,0]
	v_pk_fma_f32 v[14:15], v[56:57], v[60:61], v[14:15] op_sel_hi:[0,1,1] neg_lo:[1,0,0] neg_hi:[1,0,0]
	;; [unrolled: 1-line block ×4, first 2 shown]
	v_pk_fma_f32 v[0:1], v[56:57], v[26:27], v[0:1] op_sel:[1,0,0] neg_lo:[1,0,0] neg_hi:[1,0,0]
	v_pk_fma_f32 v[2:3], v[56:57], v[30:31], v[2:3] op_sel:[1,0,0] neg_lo:[1,0,0] neg_hi:[1,0,0]
	;; [unrolled: 1-line block ×8, first 2 shown]
	s_cbranch_scc1 .LBB22_24
.LBB22_25:
	s_bitcmp0_b32 s8, 0
	s_cbranch_scc1 .LBB22_27
; %bb.26:
	s_lshl_b32 s8, s11, 2
	v_add_co_u32_e32 v18, vcc, s8, v20
	v_addc_co_u32_e32 v19, vcc, 0, v21, vcc
	global_load_dword v18, v[18:19], off
	s_mul_i32 s8, s6, 20
	s_add_i32 s8, s8, s11
	s_lshl_b32 s8, s8, 2
	v_mov_b32_e32 v19, s8
	v_add_u32_e32 v36, 0x200, v19
	ds_read2_b32 v[24:25], v19 offset1:20
	ds_read2_b32 v[26:27], v19 offset0:40 offset1:60
	ds_read2_b32 v[28:29], v19 offset0:80 offset1:100
	;; [unrolled: 1-line block ×5, first 2 shown]
	v_add_u32_e32 v19, 0x400, v19
	ds_read2_b32 v[36:37], v36 offset0:112 offset1:132
	ds_read2_b32 v[38:39], v19 offset0:24 offset1:44
	s_waitcnt vmcnt(0) lgkmcnt(7)
	v_pk_fma_f32 v[0:1], v[18:19], v[24:25], v[0:1] op_sel_hi:[0,1,1] neg_lo:[1,0,0] neg_hi:[1,0,0]
	s_waitcnt lgkmcnt(6)
	v_pk_fma_f32 v[2:3], v[18:19], v[26:27], v[2:3] op_sel_hi:[0,1,1] neg_lo:[1,0,0] neg_hi:[1,0,0]
	s_waitcnt lgkmcnt(5)
	;; [unrolled: 2-line block ×7, first 2 shown]
	v_pk_fma_f32 v[10:11], v[18:19], v[38:39], v[10:11] op_sel_hi:[0,1,1] neg_lo:[1,0,0] neg_hi:[1,0,0]
.LBB22_27:
	s_mul_i32 s8, s6, 0x54
	v_mov_b32_e32 v36, s8
	s_or_b32 s8, s6, 1
	s_mul_i32 s8, s8, 20
	s_add_i32 s8, s8, s6
	s_lshl_b32 s8, s8, 2
	ds_read2_b32 v[18:19], v36 offset1:84
	v_mov_b32_e32 v37, s8
	ds_read2_b64 v[24:27], v37 offset1:42
	ds_read_b96 v[32:34], v37 offset:80
	ds_read_b128 v[28:31], v37 offset:160
	s_waitcnt lgkmcnt(3)
	v_mul_f32_e32 v0, v18, v0
	s_mul_i32 s7, s7, 20
	s_waitcnt lgkmcnt(2)
	v_fma_f32 v1, -v0, v24, v1
	v_mul_f32_e32 v1, v25, v1
	s_waitcnt lgkmcnt(1)
	v_fma_f32 v2, -v0, v32, v2
	v_fma_f32 v2, -v1, v33, v2
	v_mul_f32_e32 v2, v34, v2
	ds_read_b128 v[32:35], v37 offset:240
	s_waitcnt lgkmcnt(1)
	v_fma_f32 v3, -v0, v28, v3
	v_fma_f32 v3, -v1, v29, v3
	;; [unrolled: 1-line block ×3, first 2 shown]
	v_mul_f32_e32 v3, v31, v3
	ds_read_b128 v[28:31], v37 offset:320
	s_waitcnt lgkmcnt(1)
	v_fma_f32 v4, -v0, v32, v4
	v_fma_f32 v4, -v1, v33, v4
	;; [unrolled: 1-line block ×4, first 2 shown]
	v_mul_f32_e32 v4, v19, v4
	ds_read2_b32 v[18:19], v37 offset0:100 offset1:105
	ds_read2_b32 v[24:25], v37 offset0:101 offset1:102
	s_waitcnt lgkmcnt(2)
	v_fma_f32 v5, -v0, v28, v5
	v_fma_f32 v5, -v1, v29, v5
	;; [unrolled: 1-line block ×4, first 2 shown]
	s_waitcnt lgkmcnt(1)
	v_fma_f32 v6, -v0, v18, v6
	global_store_dwordx4 v[8:9], v[0:3], off
	v_fma_f32 v5, -v4, v26, v5
	s_waitcnt lgkmcnt(0)
	v_fma_f32 v6, -v1, v24, v6
	v_mul_f32_e32 v5, v27, v5
	ds_read2_b32 v[26:27], v37 offset0:103 offset1:104
	ds_read2_b32 v[28:29], v37 offset0:121 offset1:122
	;; [unrolled: 1-line block ×3, first 2 shown]
	v_fma_f32 v6, -v2, v25, v6
	ds_read2_b32 v[24:25], v36 offset0:126 offset1:147
	ds_read2_b32 v[32:33], v37 offset0:120 offset1:140
	s_waitcnt lgkmcnt(4)
	v_fma_f32 v6, -v3, v26, v6
	v_fma_f32 v6, -v4, v27, v6
	v_fma_f32 v6, -v5, v19, v6
	ds_read2_b32 v[18:19], v37 offset0:125 offset1:126
	s_waitcnt lgkmcnt(1)
	v_fma_f32 v7, -v0, v32, v7
	v_fma_f32 v7, -v1, v28, v7
	;; [unrolled: 1-line block ×5, first 2 shown]
	ds_read2_b32 v[26:27], v37 offset0:141 offset1:142
	ds_read2_b32 v[28:29], v37 offset0:143 offset1:144
	;; [unrolled: 1-line block ×3, first 2 shown]
	v_fma_f32 v16, -v0, v33, v16
	v_mul_f32_e32 v6, v24, v6
	s_waitcnt lgkmcnt(3)
	v_fma_f32 v7, -v5, v18, v7
	s_waitcnt lgkmcnt(2)
	v_fma_f32 v16, -v1, v26, v16
	v_fma_f32 v7, -v6, v19, v7
	ds_read2_b32 v[18:19], v37 offset0:147 offset1:160
	v_fma_f32 v16, -v2, v27, v16
	s_waitcnt lgkmcnt(2)
	v_fma_f32 v16, -v3, v28, v16
	ds_read2_b32 v[26:27], v37 offset0:161 offset1:162
	v_fma_f32 v16, -v4, v29, v16
	v_mul_f32_e32 v7, v25, v7
	s_waitcnt lgkmcnt(2)
	v_fma_f32 v16, -v5, v30, v16
	global_store_dwordx4 v[8:9], v[4:7], off offset:16
	v_fma_f32 v16, -v6, v31, v16
	ds_read2_b32 v[24:25], v36 offset0:168 offset1:189
	s_waitcnt lgkmcnt(2)
	v_fma_f32 v16, -v7, v18, v16
	v_fma_f32 v17, -v0, v19, v17
	ds_read2_b32 v[18:19], v37 offset0:163 offset1:164
	ds_read2_b32 v[28:29], v37 offset0:165 offset1:166
	;; [unrolled: 1-line block ×3, first 2 shown]
	s_waitcnt lgkmcnt(4)
	v_fma_f32 v17, -v1, v26, v17
	v_fma_f32 v17, -v2, v27, v17
	s_waitcnt lgkmcnt(2)
	v_fma_f32 v17, -v3, v18, v17
	v_fma_f32 v17, -v4, v19, v17
	;; [unrolled: 3-line block ×3, first 2 shown]
	v_mul_f32_e32 v16, v24, v16
	s_waitcnt lgkmcnt(0)
	v_fma_f32 v17, -v7, v30, v17
	ds_read2_b32 v[18:19], v37 offset0:180 offset1:189
	v_fma_f32 v17, -v16, v31, v17
	v_mul_f32_e32 v17, v25, v17
	ds_read2_b32 v[24:25], v37 offset0:181 offset1:182
	ds_read2_b32 v[26:27], v37 offset0:183 offset1:184
	;; [unrolled: 1-line block ×4, first 2 shown]
	s_waitcnt lgkmcnt(4)
	v_fma_f32 v14, -v0, v18, v14
	s_add_i32 s7, s7, s6
	s_add_i32 s8, s6, 16
	s_waitcnt lgkmcnt(3)
	v_fma_f32 v14, -v1, v24, v14
	v_fma_f32 v14, -v2, v25, v14
	s_waitcnt lgkmcnt(2)
	v_fma_f32 v14, -v3, v26, v14
	v_fma_f32 v14, -v4, v27, v14
	s_waitcnt lgkmcnt(1)
	v_fma_f32 v14, -v5, v28, v14
	ds_read2_b32 v[24:25], v36 offset0:210 offset1:231
	ds_read2_b32 v[26:27], v37 offset0:200 offset1:220
	v_fma_f32 v14, -v6, v29, v14
	ds_read2_b32 v[28:29], v37 offset0:201 offset1:202
	s_waitcnt lgkmcnt(3)
	v_fma_f32 v14, -v7, v30, v14
	v_fma_f32 v14, -v16, v31, v14
	v_fma_f32 v14, -v17, v19, v14
	s_waitcnt lgkmcnt(2)
	v_mul_f32_e32 v18, v24, v14
	s_waitcnt lgkmcnt(1)
	v_fma_f32 v19, -v0, v26, v15
	ds_read2_b32 v[14:15], v37 offset0:203 offset1:204
	ds_read2_b32 v[30:31], v37 offset0:205 offset1:206
	;; [unrolled: 1-line block ×3, first 2 shown]
	s_waitcnt lgkmcnt(3)
	v_fma_f32 v19, -v1, v28, v19
	v_fma_f32 v19, -v2, v29, v19
	s_waitcnt lgkmcnt(2)
	v_fma_f32 v14, -v3, v14, v19
	v_fma_f32 v14, -v4, v15, v14
	;; [unrolled: 3-line block ×3, first 2 shown]
	s_waitcnt lgkmcnt(0)
	v_fma_f32 v19, -v7, v32, v14
	ds_read2_b32 v[14:15], v37 offset0:209 offset1:210
	v_fma_f32 v19, -v16, v33, v19
	ds_read2_b32 v[28:29], v37 offset0:221 offset1:222
	ds_read2_b32 v[30:31], v37 offset0:223 offset1:224
	;; [unrolled: 1-line block ×3, first 2 shown]
	v_fma_f32 v12, -v0, v27, v12
	s_lshl_b32 s6, s7, 2
	s_waitcnt lgkmcnt(3)
	v_fma_f32 v14, -v17, v14, v19
	v_fma_f32 v14, -v18, v15, v14
	s_waitcnt lgkmcnt(2)
	v_fma_f32 v12, -v1, v28, v12
	v_mul_f32_e32 v19, v25, v14
	v_fma_f32 v12, -v2, v29, v12
	ds_read2_b32 v[24:25], v37 offset0:227 offset1:228
	s_waitcnt lgkmcnt(2)
	v_fma_f32 v12, -v3, v30, v12
	v_fma_f32 v12, -v4, v31, v12
	global_store_dwordx4 v[8:9], v[16:19], off offset:32
	s_waitcnt lgkmcnt(1)
	v_fma_f32 v12, -v5, v32, v12
	ds_read2_b32 v[14:15], v37 offset0:231 offset1:240
	v_fma_f32 v12, -v6, v33, v12
	ds_read2_b32 v[26:27], v37 offset0:229 offset1:230
	ds_read2_b32 v[28:29], v37 offset0:241 offset1:242
	;; [unrolled: 1-line block ×3, first 2 shown]
	s_waitcnt lgkmcnt(4)
	v_fma_f32 v12, -v7, v24, v12
	v_fma_f32 v12, -v16, v25, v12
	s_waitcnt lgkmcnt(2)
	v_fma_f32 v12, -v17, v26, v12
	v_fma_f32 v12, -v18, v27, v12
	;; [unrolled: 1-line block ×4, first 2 shown]
	ds_read2_b32 v[14:15], v37 offset0:245 offset1:246
	s_waitcnt lgkmcnt(2)
	v_fma_f32 v13, -v1, v28, v13
	v_fma_f32 v13, -v2, v29, v13
	v_add_u32_e32 v24, 0x200, v36
	s_waitcnt lgkmcnt(1)
	v_fma_f32 v13, -v3, v30, v13
	ds_read2_b32 v[32:33], v24 offset0:124 offset1:145
	v_fma_f32 v13, -v4, v31, v13
	ds_read2_b32 v[24:25], v37 offset0:247 offset1:248
	ds_read2_b32 v[26:27], v37 offset0:249 offset1:250
	;; [unrolled: 1-line block ×3, first 2 shown]
	s_waitcnt lgkmcnt(4)
	v_fma_f32 v13, -v5, v14, v13
	v_fma_f32 v13, -v6, v15, v13
	s_waitcnt lgkmcnt(2)
	v_fma_f32 v13, -v7, v24, v13
	v_fma_f32 v13, -v16, v25, v13
	;; [unrolled: 3-line block ×3, first 2 shown]
	ds_read_b128 v[24:27], v36 offset:1120
	v_mul_f32_e32 v12, v32, v12
	s_waitcnt lgkmcnt(1)
	v_fma_f32 v13, -v19, v28, v13
	v_fma_f32 v13, -v12, v29, v13
	ds_read_b128 v[28:31], v36 offset:1136
	s_waitcnt lgkmcnt(1)
	v_fma_f32 v10, -v0, v24, v10
	v_fma_f32 v10, -v1, v25, v10
	;; [unrolled: 1-line block ×4, first 2 shown]
	ds_read_b128 v[24:27], v36 offset:1152
	s_waitcnt lgkmcnt(1)
	v_fma_f32 v10, -v4, v28, v10
	v_fma_f32 v10, -v5, v29, v10
	;; [unrolled: 1-line block ×4, first 2 shown]
	s_waitcnt lgkmcnt(0)
	v_fma_f32 v10, -v16, v24, v10
	v_fma_f32 v10, -v17, v25, v10
	ds_read_b96 v[28:30], v36 offset:1168
	v_fma_f32 v10, -v18, v26, v10
	v_mov_b32_e32 v15, s6
	v_fma_f32 v10, -v19, v27, v10
	ds_read_b128 v[24:27], v15
	v_mul_f32_e32 v13, v33, v13
	s_waitcnt lgkmcnt(1)
	v_fma_f32 v10, -v12, v28, v10
	v_fma_f32 v10, -v13, v29, v10
	v_mul_f32_e32 v14, v30, v10
	s_waitcnt lgkmcnt(0)
	v_fma_f32 v0, -v0, v24, v11
	ds_read_b128 v[28:31], v15 offset:16
	ds_read_b128 v[32:35], v15 offset:32
	;; [unrolled: 1-line block ×3, first 2 shown]
	v_fma_f32 v0, -v1, v25, v0
	v_fma_f32 v0, -v2, v26, v0
	v_fma_f32 v0, -v3, v27, v0
	s_waitcnt lgkmcnt(2)
	v_fma_f32 v0, -v4, v28, v0
	v_fma_f32 v0, -v5, v29, v0
	v_fma_f32 v0, -v6, v30, v0
	v_fma_f32 v0, -v7, v31, v0
	s_waitcnt lgkmcnt(1)
	v_fma_f32 v0, -v16, v32, v0
	;; [unrolled: 5-line block ×3, first 2 shown]
	v_fma_f32 v0, -v13, v37, v0
	v_fma_f32 v0, -v14, v38, v0
	v_mul_f32_e32 v15, v39, v0
	s_mov_b32 s6, s8
	global_store_dwordx4 v[8:9], v[12:15], off offset:48
.LBB22_28:
	s_cmp_ge_i32 s6, s18
	s_cbranch_scc1 .LBB22_39
; %bb.29:
	s_add_i32 s11, s6, -1
	s_add_u32 s7, s2, s4
	s_addc_u32 s8, s3, s5
	s_add_u32 s7, s7, s0
	s_addc_u32 s8, s8, s1
	v_mov_b32_e32 v0, s8
	v_add_co_u32_e32 v6, vcc, s7, v22
	v_addc_co_u32_e32 v7, vcc, v0, v23, vcc
	v_add_co_u32_e32 v0, vcc, 28, v6
	s_mul_i32 s12, s6, 0x50
	v_addc_co_u32_e32 v1, vcc, 0, v7, vcc
	s_mov_b32 s9, 0
	s_mov_b32 s14, s6
	;; [unrolled: 1-line block ×3, first 2 shown]
	s_branch .LBB22_31
.LBB22_30:                              ;   in Loop: Header=BB22_31 Depth=1
	s_mul_i32 s7, s6, 0x54
	v_mov_b32_e32 v4, s7
	ds_read_b32 v4, v4
	s_add_i32 s6, s6, 1
	s_add_i32 s13, s13, 1
	s_addk_i32 s12, 0x50
	v_add_u16_e64 v5, s14, 1
	s_waitcnt lgkmcnt(0)
	v_mul_f32_e32 v4, v4, v8
	s_cmp_ge_i32 s6, s18
	v_readfirstlane_b32 s14, v5
	global_store_dword v[2:3], v4, off
	s_cbranch_scc1 .LBB22_39
.LBB22_31:                              ; =>This Loop Header: Depth=1
                                        ;     Child Loop BB22_34 Depth 2
                                        ;     Child Loop BB22_38 Depth 2
	s_ashr_i32 s7, s6, 31
	s_lshl_b64 s[20:21], s[6:7], 2
	v_mov_b32_e32 v3, s21
	v_add_co_u32_e32 v2, vcc, s20, v20
	v_addc_co_u32_e32 v3, vcc, v21, v3, vcc
	global_load_dword v4, v[2:3], off
	s_cmp_eq_u32 s6, 0
	s_waitcnt vmcnt(0)
	v_mul_f32_e32 v8, s16, v4
	s_cbranch_scc1 .LBB22_30
; %bb.32:                               ;   in Loop: Header=BB22_31 Depth=1
	s_add_i32 s7, s11, s13
	s_cmp_lt_u32 s7, 7
	s_cbranch_scc1 .LBB22_36
; %bb.33:                               ;   in Loop: Header=BB22_31 Depth=1
	s_and_b32 s8, s6, -8
	s_mov_b32 s7, 0
	v_pk_mov_b32 v[4:5], v[0:1], v[0:1] op_sel:[0,1]
	s_mov_b32 s15, s12
.LBB22_34:                              ;   Parent Loop BB22_31 Depth=1
                                        ; =>  This Inner Loop Header: Depth=2
	global_load_dwordx4 v[10:13], v[4:5], off offset:-28
	global_load_dwordx4 v[14:17], v[4:5], off offset:-12
	v_mov_b32_e32 v9, s15
	ds_read_b128 v[24:27], v9
	ds_read_b128 v[28:31], v9 offset:16
	s_add_i32 s7, s7, 8
	s_add_i32 s15, s15, 32
	v_add_co_u32_e32 v4, vcc, 32, v4
	v_addc_co_u32_e32 v5, vcc, 0, v5, vcc
	s_cmp_lg_u32 s8, s7
	s_waitcnt vmcnt(1) lgkmcnt(1)
	v_fma_f32 v8, -v10, v24, v8
	v_fma_f32 v8, -v11, v25, v8
	;; [unrolled: 1-line block ×4, first 2 shown]
	s_waitcnt vmcnt(0) lgkmcnt(0)
	v_fma_f32 v8, -v14, v28, v8
	v_fma_f32 v8, -v15, v29, v8
	;; [unrolled: 1-line block ×4, first 2 shown]
	s_cbranch_scc1 .LBB22_34
; %bb.35:                               ;   in Loop: Header=BB22_31 Depth=1
	s_and_b32 s7, s6, 7
	s_cmp_eq_u32 s7, 0
	s_cbranch_scc0 .LBB22_37
	s_branch .LBB22_30
.LBB22_36:                              ;   in Loop: Header=BB22_31 Depth=1
	s_mov_b32 s8, 0
	s_and_b32 s7, s6, 7
	s_cmp_eq_u32 s7, 0
	s_cbranch_scc1 .LBB22_30
.LBB22_37:                              ;   in Loop: Header=BB22_31 Depth=1
	s_lshl_b64 s[20:21], s[8:9], 2
	v_mov_b32_e32 v5, s21
	v_add_co_u32_e32 v4, vcc, s20, v6
	s_and_b32 s7, s14, 7
	s_lshl_b32 s15, s8, 2
	v_addc_co_u32_e32 v5, vcc, v7, v5, vcc
.LBB22_38:                              ;   Parent Loop BB22_31 Depth=1
                                        ; =>  This Inner Loop Header: Depth=2
	global_load_dword v9, v[4:5], off
	s_add_i32 s8, s12, s15
	v_mov_b32_e32 v10, s8
	ds_read_b32 v10, v10
	s_add_i32 s15, s15, 4
	v_add_co_u32_e32 v4, vcc, 4, v4
	s_add_i32 s7, s7, -1
	v_addc_co_u32_e32 v5, vcc, 0, v5, vcc
	s_cmp_lg_u32 s7, 0
	s_waitcnt vmcnt(0) lgkmcnt(0)
	v_fma_f32 v8, -v9, v10, v8
	s_cbranch_scc1 .LBB22_38
	s_branch .LBB22_30
.LBB22_39:
	s_mov_b64 s[6:7], 0
.LBB22_40:
	s_and_b64 vcc, exec, s[6:7]
	s_cbranch_vccz .LBB22_62
; %bb.41:
	s_add_i32 s6, s18, -1
	s_cmp_gt_i32 s10, 19
	s_mov_b32 s8, s6
	s_cbranch_scc0 .LBB22_43
; %bb.42:
	s_ashr_i32 s19, s18, 31
	s_lshl_b64 s[8:9], s[18:19], 2
	v_mov_b32_e32 v0, s9
	v_add_co_u32_e32 v24, vcc, s8, v20
	v_addc_co_u32_e32 v25, vcc, v21, v0, vcc
	global_load_dword v7, v[24:25], off offset:-4
	s_mov_b32 s19, 0
	s_lshl_b64 s[8:9], s[18:19], 2
	v_mov_b32_e32 v0, s9
	v_add_co_u32_e32 v26, vcc, s8, v20
	v_addc_co_u32_e32 v27, vcc, v21, v0, vcc
	global_load_dwordx3 v[4:6], v[26:27], off offset:-16
	global_load_dwordx4 v[8:11], v[26:27], off offset:-32
	global_load_dwordx4 v[0:3], v[26:27], off offset:-80
	;; [unrolled: 1-line block ×4, first 2 shown]
	s_mul_i32 s8, s6, 0x54
	s_mul_i32 s7, s6, 20
	s_add_i32 s9, s18, -4
	s_add_i32 s11, s18, -6
	s_add_i32 s12, s18, s7
	s_add_i32 s13, s8, 0xffffffac
	;; [unrolled: 1-line block ×3, first 2 shown]
	s_sub_i32 s15, s7, 20
	s_sub_i32 s17, s7, 40
	s_add_i32 s19, s8, 0xffffff04
	s_add_i32 s20, s11, s7
	s_lshl_b32 s12, s12, 2
	v_mov_b32_e32 v28, s13
	s_lshl_b32 s13, s14, 2
	s_add_i32 s14, s9, s15
	s_add_i32 s9, s9, s17
	;; [unrolled: 1-line block ×3, first 2 shown]
	v_mov_b32_e32 v34, s19
	s_lshl_b32 s19, s20, 2
	s_add_i32 s12, s12, -8
	v_mov_b32_e32 v29, s13
	s_lshl_b32 s13, s14, 2
	s_lshl_b32 s9, s9, 2
	;; [unrolled: 1-line block ×3, first 2 shown]
	v_mov_b32_e32 v35, s19
	v_mov_b32_e32 v30, s12
	v_mov_b32_e32 v31, s13
	v_mov_b32_e32 v32, s9
	v_mov_b32_e32 v36, s14
	ds_read2_b32 v[26:27], v30 offset1:1
	ds_read_b32 v45, v28
	ds_read2_b32 v[28:29], v29 offset1:1
	ds_read2_b32 v[30:31], v31 offset1:1
	;; [unrolled: 1-line block ×3, first 2 shown]
	ds_read_b32 v46, v34
	ds_read2_b32 v[34:35], v35 offset1:1
	ds_read2_b32 v[36:37], v36 offset1:1
	s_add_i32 s11, s11, s17
	s_lshl_b32 s11, s11, 2
	s_add_i32 s9, s11, 0xffffffb0
	v_mov_b32_e32 v38, s11
	s_addk_i32 s11, 0xff60
	v_mov_b32_e32 v40, s9
	s_add_i32 s9, s7, 0xffffff9c
	s_add_i32 s21, s8, 0xfffffe5c
	v_mov_b32_e32 v42, s11
	s_add_i32 s11, s18, s9
	v_mov_b32_e32 v44, s21
	s_lshl_b32 s11, s11, 2
	ds_read2_b32 v[38:39], v38 offset1:1
	ds_read2_b32 v[40:41], v40 offset1:1
	;; [unrolled: 1-line block ×3, first 2 shown]
	ds_read_b32 v44, v44
	s_addk_i32 s8, 0xfe08
	s_waitcnt vmcnt(5)
	v_mul_f32_e32 v7, s16, v7
	s_waitcnt lgkmcnt(11)
	v_mul_f32_e32 v7, v27, v7
	v_mul_f32_e32 v26, v7, v26
	s_waitcnt lgkmcnt(9)
	v_mul_f32_e32 v27, v7, v29
	;; [unrolled: 3-line block ×3, first 2 shown]
	v_mul_f32_e32 v29, v7, v35
	s_waitcnt vmcnt(4)
	v_fma_f32 v6, v6, s16, -v26
	v_fma_f32 v5, v5, s16, -v27
	v_mul_f32_e32 v6, v45, v6
	v_fma_f32 v4, v4, s16, -v28
	v_fma_f32 v5, -v6, v31, v5
	v_fma_f32 v4, -v6, v30, v4
	v_mul_f32_e32 v5, v33, v5
	v_fma_f32 v4, -v5, v32, v4
	s_waitcnt vmcnt(3)
	v_fma_f32 v10, v10, s16, -v34
	v_mul_f32_e32 v4, v46, v4
	s_waitcnt lgkmcnt(4)
	v_fma_f32 v10, -v6, v36, v10
	global_store_dwordx4 v[24:25], v[4:7], off offset:-16
	v_mov_b32_e32 v36, s11
	v_fma_f32 v11, v11, s16, -v29
	ds_read2_b32 v[26:27], v36 offset0:92 offset1:93
	ds_read2_b32 v[28:29], v36 offset0:72 offset1:73
	s_sub_i32 s11, s11, 32
	v_mov_b32_e32 v30, s11
	ds_read2_b32 v[30:31], v30 offset1:1
	ds_read2_b32 v[32:33], v36 offset0:52 offset1:53
	s_waitcnt lgkmcnt(3)
	v_mul_f32_e32 v27, v7, v27
	v_fma_f32 v9, v9, s16, -v27
	v_mov_b32_e32 v27, s8
	s_add_i32 s8, s18, -9
	v_fma_f32 v11, -v6, v37, v11
	ds_read2_b32 v[34:35], v36 offset0:32 offset1:33
	ds_read2_b32 v[36:37], v36 offset0:12 offset1:13
	s_add_i32 s11, s9, s8
	v_fma_f32 v11, -v5, v39, v11
	s_lshl_b32 s11, s11, 2
	v_fma_f32 v10, -v5, v38, v10
	v_fma_f32 v11, -v4, v41, v11
	s_waitcnt lgkmcnt(4)
	v_fma_f32 v9, -v6, v29, v9
	ds_read_b32 v27, v27
	v_mul_f32_e32 v26, v7, v26
	s_addk_i32 s11, 0xffb0
	v_mul_f32_e32 v11, v43, v11
	v_fma_f32 v10, -v4, v40, v10
	s_waitcnt lgkmcnt(3)
	v_fma_f32 v9, -v5, v33, v9
	v_fma_f32 v8, v8, s16, -v26
	v_mov_b32_e32 v26, s11
	s_add_i32 s11, s7, 0xffffff74
	v_fma_f32 v10, -v11, v42, v10
	s_waitcnt lgkmcnt(2)
	v_fma_f32 v9, -v4, v35, v9
	s_add_i32 s8, s8, s11
	v_mul_f32_e32 v10, v44, v10
	s_waitcnt lgkmcnt(1)
	v_fma_f32 v9, -v11, v37, v9
	s_lshl_b32 s8, s8, 2
	v_fma_f32 v9, -v10, v31, v9
	v_fma_f32 v8, -v6, v28, v8
	v_mov_b32_e32 v28, s8
	s_waitcnt lgkmcnt(0)
	v_mul_f32_e32 v9, v27, v9
	v_fma_f32 v8, -v5, v32, v8
	ds_read2_b32 v[26:27], v26 offset1:1
	ds_read2_b32 v[28:29], v28 offset1:1
	s_add_i32 s8, s18, -10
	v_fma_f32 v8, -v4, v34, v8
	s_add_i32 s11, s11, s8
	v_fma_f32 v8, -v11, v36, v8
	s_lshl_b32 s11, s11, 2
	s_add_i32 s8, s8, s9
	v_fma_f32 v8, -v10, v30, v8
	v_mov_b32_e32 v40, s11
	s_lshl_b32 s8, s8, 2
	ds_read2_b32 v[30:31], v40 offset0:80 offset1:81
	ds_read2_b32 v[32:33], v40 offset0:60 offset1:61
	s_waitcnt lgkmcnt(3)
	v_fma_f32 v8, -v9, v27, v8
	v_mov_b32_e32 v27, s8
	ds_read2_b32 v[34:35], v40 offset0:140 offset1:141
	ds_read2_b32 v[36:37], v27 offset1:1
	ds_read2_b32 v[38:39], v40 offset0:120 offset1:121
	ds_read2_b32 v[40:41], v40 offset0:100 offset1:101
	s_mul_i32 s8, s18, 0x54
	s_waitcnt lgkmcnt(3)
	v_mul_f32_e32 v27, v7, v35
	s_waitcnt vmcnt(1)
	v_fma_f32 v15, v15, s16, -v27
	s_waitcnt lgkmcnt(1)
	v_fma_f32 v15, -v6, v39, v15
	s_waitcnt lgkmcnt(0)
	v_fma_f32 v15, -v5, v41, v15
	v_fma_f32 v15, -v4, v31, v15
	v_fma_f32 v15, -v11, v33, v15
	v_fma_f32 v15, -v10, v37, v15
	s_add_i32 s11, s8, 0xfffffd0c
	v_fma_f32 v15, -v9, v26, v15
	v_mov_b32_e32 v26, s11
	ds_read_b32 v31, v26
	v_mul_f32_e32 v8, v29, v8
	s_add_i32 s11, s18, -11
	v_fma_f32 v15, -v8, v28, v15
	s_add_i32 s12, s9, s11
	s_lshl_b32 s12, s12, 2
	s_waitcnt lgkmcnt(0)
	v_mul_f32_e32 v15, v31, v15
	v_mul_f32_e32 v31, v7, v34
	s_add_i32 s13, s12, 0xffffffb0
	v_fma_f32 v14, v14, s16, -v31
	v_mov_b32_e32 v27, s13
	s_add_i32 s13, s12, 0xffffff60
	v_fma_f32 v14, -v6, v38, v14
	global_store_dwordx4 v[24:25], v[8:11], off offset:-32
	v_mov_b32_e32 v28, s13
	s_addk_i32 s12, 0xff10
	v_fma_f32 v14, -v5, v40, v14
	v_mov_b32_e32 v33, s12
	ds_read2_b32 v[26:27], v27 offset1:1
	ds_read2_b32 v[28:29], v28 offset1:1
	;; [unrolled: 1-line block ×3, first 2 shown]
	v_fma_f32 v14, -v4, v30, v14
	s_add_i32 s12, s7, 0xffffff4c
	v_fma_f32 v14, -v11, v32, v14
	s_add_i32 s11, s11, s12
	v_fma_f32 v14, -v10, v36, v14
	s_lshl_b32 s11, s11, 2
	s_waitcnt lgkmcnt(2)
	v_fma_f32 v14, -v9, v27, v14
	v_mov_b32_e32 v27, s11
	s_add_i32 s11, s18, -12
	s_add_i32 s12, s12, s11
	s_add_i32 s11, s11, s9
	s_lshl_b32 s11, s11, 2
	s_waitcnt lgkmcnt(1)
	v_fma_f32 v14, -v8, v29, v14
	v_mov_b32_e32 v29, s11
	s_add_i32 s11, s8, 0xfffffc64
	s_lshl_b32 s12, s12, 2
	v_mov_b32_e32 v34, s11
	ds_read2_b32 v[30:31], v27 offset1:1
	v_mov_b32_e32 v27, s12
	ds_read2_b32 v[32:33], v29 offset1:1
	ds_read_b32 v29, v34
	ds_read2_b32 v[34:35], v27 offset0:180 offset1:181
	ds_read2_b32 v[36:37], v27 offset0:160 offset1:161
	ds_read2_b32 v[38:39], v27 offset0:140 offset1:141
	ds_read2_b32 v[40:41], v27 offset0:120 offset1:121
	ds_read2_b32 v[44:45], v27 offset0:100 offset1:101
	s_waitcnt lgkmcnt(4)
	v_mul_f32_e32 v27, v7, v35
	v_fma_f32 v13, v13, s16, -v27
	s_waitcnt lgkmcnt(3)
	v_fma_f32 v13, -v6, v37, v13
	s_waitcnt lgkmcnt(2)
	v_fma_f32 v13, -v5, v39, v13
	;; [unrolled: 2-line block ×4, first 2 shown]
	s_add_i32 s11, s18, -13
	v_fma_f32 v13, -v10, v33, v13
	s_add_i32 s12, s9, s11
	v_fma_f32 v13, -v9, v26, v13
	v_mul_f32_e32 v26, v7, v34
	s_lshl_b32 s12, s12, 2
	v_fma_f32 v12, v12, s16, -v26
	s_add_i32 s13, s12, 0xffffffb0
	v_fma_f32 v14, -v15, v43, v14
	v_fma_f32 v13, -v8, v28, v13
	;; [unrolled: 1-line block ×3, first 2 shown]
	v_mov_b32_e32 v26, s13
	s_add_i32 s13, s12, 0xffffff60
	v_mul_f32_e32 v14, v31, v14
	v_fma_f32 v13, -v15, v42, v13
	v_fma_f32 v12, -v5, v38, v12
	v_mov_b32_e32 v28, s13
	s_add_i32 s13, s12, 0xffffff10
	v_fma_f32 v13, -v14, v30, v13
	v_fma_f32 v12, -v4, v40, v12
	v_mov_b32_e32 v30, s13
	s_add_i32 s13, s12, 0xfffffec0
	v_mul_f32_e32 v13, v29, v13
	v_fma_f32 v12, -v11, v44, v12
	v_mov_b32_e32 v33, s13
	ds_read2_b32 v[26:27], v26 offset1:1
	ds_read2_b32 v[28:29], v28 offset1:1
	;; [unrolled: 1-line block ×4, first 2 shown]
	v_fma_f32 v12, -v10, v32, v12
	s_addk_i32 s12, 0xfe70
	s_waitcnt lgkmcnt(3)
	v_fma_f32 v12, -v9, v27, v12
	v_mov_b32_e32 v27, s12
	s_add_i32 s12, s7, 0xffffff24
	s_add_i32 s11, s11, s12
	s_lshl_b32 s11, s11, 2
	s_waitcnt lgkmcnt(2)
	v_fma_f32 v12, -v8, v29, v12
	v_mov_b32_e32 v29, s11
	s_add_i32 s11, s18, -14
	s_add_i32 s12, s12, s11
	s_lshl_b32 s12, s12, 2
	s_add_i32 s11, s11, s9
	ds_read2_b32 v[32:33], v27 offset1:1
	ds_read2_b32 v[36:37], v29 offset1:1
	v_mov_b32_e32 v27, s12
	s_lshl_b32 s11, s11, 2
	ds_read2_b32 v[38:39], v27 offset0:160 offset1:161
	ds_read2_b32 v[40:41], v27 offset0:140 offset1:141
	v_mov_b32_e32 v29, s11
	ds_read2_b32 v[42:43], v27 offset0:220 offset1:221
	ds_read2_b32 v[44:45], v29 offset1:1
	ds_read2_b32 v[46:47], v27 offset0:200 offset1:201
	ds_read2_b32 v[48:49], v27 offset0:180 offset1:181
	s_add_i32 s11, s8, 0xfffffbbc
	s_waitcnt lgkmcnt(3)
	v_mul_f32_e32 v27, v7, v43
	v_fma_f32 v19, v19, s16, -v27
	s_waitcnt lgkmcnt(1)
	v_fma_f32 v19, -v6, v47, v19
	s_waitcnt lgkmcnt(0)
	v_fma_f32 v19, -v5, v49, v19
	v_fma_f32 v19, -v4, v39, v19
	;; [unrolled: 1-line block ×8, first 2 shown]
	v_mov_b32_e32 v26, s11
	v_fma_f32 v12, -v15, v31, v12
	v_fma_f32 v19, -v13, v32, v19
	ds_read_b32 v32, v26
	v_fma_f32 v12, -v14, v35, v12
	v_fma_f32 v12, -v13, v33, v12
	s_add_i32 s11, s18, -15
	v_mul_f32_e32 v12, v37, v12
	s_add_i32 s12, s9, s11
	v_fma_f32 v19, -v12, v36, v19
	s_lshl_b32 s12, s12, 2
	s_add_i32 s13, s12, 0xffffffb0
	s_waitcnt lgkmcnt(0)
	v_mul_f32_e32 v19, v32, v19
	v_mul_f32_e32 v32, v7, v42
	v_mov_b32_e32 v27, s13
	s_add_i32 s13, s12, 0xffffff60
	v_fma_f32 v18, v18, s16, -v32
	v_mov_b32_e32 v28, s13
	s_add_i32 s13, s12, 0xffffff10
	v_fma_f32 v18, -v6, v46, v18
	global_store_dwordx4 v[24:25], v[12:15], off offset:-48
	v_mov_b32_e32 v30, s13
	v_fma_f32 v18, -v5, v48, v18
	ds_read2_b32 v[26:27], v27 offset1:1
	ds_read2_b32 v[28:29], v28 offset1:1
	;; [unrolled: 1-line block ×3, first 2 shown]
	v_fma_f32 v18, -v4, v38, v18
	v_fma_f32 v18, -v11, v40, v18
	;; [unrolled: 1-line block ×3, first 2 shown]
	s_add_i32 s13, s12, 0xfffffec0
	s_waitcnt lgkmcnt(2)
	v_fma_f32 v18, -v9, v27, v18
	v_mov_b32_e32 v27, s13
	s_add_i32 s13, s12, 0xfffffe70
	s_waitcnt lgkmcnt(1)
	v_fma_f32 v18, -v8, v29, v18
	v_mov_b32_e32 v29, s13
	s_add_i32 s13, s12, 0xfffffe20
	s_addk_i32 s12, 0xfdd0
	v_mov_b32_e32 v38, s12
	s_add_i32 s12, s7, 0xfffffefc
	s_add_i32 s11, s11, s12
	v_mov_b32_e32 v36, s13
	s_lshl_b32 s11, s11, 2
	ds_read2_b32 v[32:33], v27 offset1:1
	ds_read2_b32 v[34:35], v29 offset1:1
	;; [unrolled: 1-line block ×4, first 2 shown]
	v_mov_b32_e32 v27, s11
	s_add_i32 s11, s18, -16
	s_add_i32 s12, s12, s11
	s_lshl_b32 s12, s12, 2
	s_add_i32 s13, s12, 0x410
	v_mov_b32_e32 v29, s13
	ds_read2_b32 v[40:41], v27 offset1:1
	ds_read2_b32 v[42:43], v29 offset1:1
	s_add_i32 s11, s11, s9
	s_lshl_b32 s11, s11, 2
	v_mov_b32_e32 v27, s12
	v_mov_b32_e32 v29, s11
	s_add_i32 s11, s8, 0xfffffb14
	s_waitcnt lgkmcnt(6)
	v_fma_f32 v18, -v15, v31, v18
	v_mov_b32_e32 v31, s11
	ds_read2_b32 v[44:45], v29 offset1:1
	ds_read_b32 v29, v31
	ds_read2_b32 v[46:47], v27 offset0:240 offset1:241
	ds_read2_b32 v[48:49], v27 offset0:220 offset1:221
	;; [unrolled: 1-line block ×4, first 2 shown]
	s_waitcnt lgkmcnt(6)
	v_mul_f32_e32 v27, v7, v43
	v_fma_f32 v17, v17, s16, -v27
	s_waitcnt lgkmcnt(3)
	v_fma_f32 v17, -v6, v47, v17
	s_waitcnt lgkmcnt(2)
	v_fma_f32 v17, -v5, v49, v17
	;; [unrolled: 2-line block ×4, first 2 shown]
	v_fma_f32 v17, -v10, v45, v17
	v_fma_f32 v17, -v9, v26, v17
	;; [unrolled: 1-line block ×3, first 2 shown]
	s_sub_i32 s11, s18, 17
	v_fma_f32 v18, -v14, v33, v18
	v_fma_f32 v17, -v15, v30, v17
	s_add_i32 s12, s9, s11
	v_fma_f32 v18, -v13, v35, v18
	v_fma_f32 v17, -v14, v32, v17
	s_lshl_b32 s12, s12, 2
	v_fma_f32 v18, -v12, v37, v18
	v_fma_f32 v17, -v13, v34, v17
	v_mul_f32_e32 v26, v7, v42
	s_add_i32 s13, s12, 0xffffffb0
	v_fma_f32 v18, -v19, v39, v18
	v_fma_f32 v17, -v12, v36, v17
	v_fma_f32 v16, v16, s16, -v26
	v_mov_b32_e32 v26, s13
	s_add_i32 s13, s12, 0xffffff60
	v_mul_f32_e32 v18, v41, v18
	v_fma_f32 v17, -v19, v38, v17
	v_fma_f32 v16, -v6, v46, v16
	v_mov_b32_e32 v28, s13
	s_add_i32 s13, s12, 0xffffff10
	v_fma_f32 v17, -v18, v40, v17
	v_fma_f32 v16, -v5, v48, v16
	v_mov_b32_e32 v30, s13
	v_mul_f32_e32 v17, v29, v17
	v_fma_f32 v16, -v4, v50, v16
	ds_read2_b32 v[26:27], v26 offset1:1
	ds_read2_b32 v[28:29], v28 offset1:1
	;; [unrolled: 1-line block ×3, first 2 shown]
	v_fma_f32 v16, -v11, v52, v16
	s_add_i32 s13, s12, 0xfffffec0
	v_fma_f32 v16, -v10, v44, v16
	v_mov_b32_e32 v32, s13
	s_add_i32 s13, s12, 0xfffffe70
	s_waitcnt lgkmcnt(2)
	v_fma_f32 v16, -v9, v27, v16
	v_mov_b32_e32 v27, s13
	s_add_i32 s13, s12, 0xfffffe20
	s_waitcnt lgkmcnt(1)
	;; [unrolled: 4-line block ×3, first 2 shown]
	v_fma_f32 v16, -v15, v31, v16
	v_mov_b32_e32 v31, s13
	s_add_i32 s13, s12, 0xfffffd80
	ds_read2_b32 v[32:33], v32 offset1:1
	v_mov_b32_e32 v40, s13
	s_addk_i32 s12, 0xfd30
	ds_read2_b32 v[34:35], v27 offset1:1
	ds_read2_b32 v[36:37], v29 offset1:1
	ds_read2_b32 v[38:39], v31 offset1:1
	ds_read2_b32 v[40:41], v40 offset1:1
	v_mov_b32_e32 v27, s12
	s_add_i32 s12, s7, 0xfffffed4
	s_add_i32 s11, s11, s12
	s_lshl_b32 s11, s11, 2
	v_mov_b32_e32 v29, s11
	s_sub_i32 s11, s18, 18
	s_waitcnt lgkmcnt(4)
	v_fma_f32 v16, -v14, v33, v16
	s_add_i32 s12, s12, s11
	s_waitcnt lgkmcnt(3)
	v_fma_f32 v16, -v13, v35, v16
	s_lshl_b32 s12, s12, 2
	ds_read2_b32 v[42:43], v27 offset1:1
	ds_read2_b32 v[44:45], v29 offset1:1
	s_waitcnt lgkmcnt(4)
	v_fma_f32 v16, -v12, v37, v16
	s_add_i32 s13, s12, 0x4b0
	s_waitcnt lgkmcnt(3)
	v_fma_f32 v16, -v19, v39, v16
	v_mov_b32_e32 v31, s13
	s_add_i32 s13, s12, 0x460
	s_waitcnt lgkmcnt(2)
	v_fma_f32 v16, -v18, v41, v16
	v_mov_b32_e32 v27, s13
	ds_read2_b32 v[46:47], v31 offset1:1
	ds_read2_b32 v[48:49], v27 offset1:1
	s_add_i32 s13, s12, 0x410
	s_waitcnt lgkmcnt(3)
	v_fma_f32 v16, -v17, v43, v16
	v_mov_b32_e32 v29, s13
	s_add_i32 s11, s11, s9
	s_waitcnt lgkmcnt(2)
	v_mul_f32_e32 v16, v45, v16
	ds_read2_b32 v[50:51], v29 offset1:1
	s_lshl_b32 s11, s11, 2
	global_store_dwordx4 v[24:25], v[16:19], off offset:-64
	v_mov_b32_e32 v31, s11
	s_waitcnt lgkmcnt(2)
	v_mul_f32_e32 v27, v7, v47
	v_mov_b32_e32 v29, s12
	ds_read2_b32 v[52:53], v31 offset1:1
	ds_read2_b32 v[54:55], v29 offset0:240 offset1:241
	ds_read2_b32 v[56:57], v29 offset0:220 offset1:221
	v_fma_f32 v3, v3, s16, -v27
	s_waitcnt lgkmcnt(4)
	v_fma_f32 v3, -v6, v49, v3
	s_waitcnt lgkmcnt(3)
	v_fma_f32 v3, -v5, v51, v3
	;; [unrolled: 2-line block ×4, first 2 shown]
	v_fma_f32 v3, -v10, v53, v3
	v_fma_f32 v3, -v9, v26, v3
	;; [unrolled: 1-line block ×5, first 2 shown]
	s_add_i32 s11, s8, 0xfffffa6c
	v_fma_f32 v3, -v13, v34, v3
	v_mov_b32_e32 v26, s11
	v_fma_f32 v3, -v12, v36, v3
	ds_read_b32 v32, v26
	v_fma_f32 v3, -v19, v38, v3
	v_fma_f32 v3, -v18, v40, v3
	s_sub_i32 s11, s18, 19
	v_fma_f32 v3, -v17, v42, v3
	s_add_i32 s9, s9, s11
	v_fma_f32 v3, -v16, v44, v3
	s_lshl_b32 s9, s9, 2
	s_add_i32 s12, s9, 0xffffffb0
	s_waitcnt lgkmcnt(0)
	v_mul_f32_e32 v3, v32, v3
	v_mul_f32_e32 v32, v7, v46
	v_mov_b32_e32 v27, s12
	s_add_i32 s12, s9, 0xffffff60
	v_fma_f32 v2, v2, s16, -v32
	v_mov_b32_e32 v28, s12
	s_add_i32 s12, s9, 0xffffff10
	v_fma_f32 v2, -v6, v48, v2
	v_mov_b32_e32 v30, s12
	v_fma_f32 v2, -v5, v50, v2
	ds_read2_b32 v[26:27], v27 offset1:1
	ds_read2_b32 v[28:29], v28 offset1:1
	;; [unrolled: 1-line block ×3, first 2 shown]
	v_fma_f32 v2, -v4, v54, v2
	v_fma_f32 v2, -v11, v56, v2
	;; [unrolled: 1-line block ×3, first 2 shown]
	s_add_i32 s12, s9, 0xfffffec0
	s_waitcnt lgkmcnt(2)
	v_fma_f32 v2, -v9, v27, v2
	v_mov_b32_e32 v27, s12
	s_add_i32 s12, s9, 0xfffffe70
	s_waitcnt lgkmcnt(1)
	v_fma_f32 v2, -v8, v29, v2
	v_mov_b32_e32 v29, s12
	s_add_i32 s12, s9, 0xfffffe20
	s_addk_i32 s7, 0xfeac
	s_waitcnt lgkmcnt(0)
	v_fma_f32 v2, -v15, v31, v2
	v_mov_b32_e32 v31, s12
	s_add_i32 s12, s9, 0xfffffdd0
	s_add_i32 s11, s11, s7
	ds_read2_b32 v[32:33], v27 offset1:1
	ds_read2_b32 v[34:35], v29 offset1:1
	;; [unrolled: 1-line block ×3, first 2 shown]
	v_mov_b32_e32 v27, s12
	s_lshl_b32 s11, s11, 2
	ds_read2_b32 v[38:39], v27 offset1:1
	v_mov_b32_e32 v27, s11
	s_sub_i32 s11, s18, 20
	s_add_i32 s7, s7, s11
	s_lshl_b32 s7, s7, 2
	s_add_i32 s11, s7, 0x550
	v_mov_b32_e32 v29, s11
	ds_read2_b32 v[40:41], v27 offset1:1
	ds_read2_b32 v[42:43], v29 offset1:1
	s_add_i32 s11, s7, 0x500
	v_mov_b32_e32 v31, s11
	s_add_i32 s11, s7, 0x4b0
	v_mov_b32_e32 v27, s11
	ds_read2_b32 v[44:45], v31 offset1:1
	ds_read2_b32 v[46:47], v27 offset1:1
	s_waitcnt lgkmcnt(2)
	v_mul_f32_e32 v27, v7, v43
	s_add_i32 s12, s7, 0x460
	v_fma_f32 v2, -v14, v33, v2
	v_fma_f32 v1, v1, s16, -v27
	v_mov_b32_e32 v27, s12
	s_add_i32 s12, s7, 0x410
	v_fma_f32 v2, -v13, v35, v2
	v_mov_b32_e32 v29, s12
	v_mov_b32_e32 v35, s7
	ds_read2_b32 v[48:49], v27 offset1:1
	ds_read2_b32 v[50:51], v29 offset1:1
	ds_read2_b32 v[52:53], v35 offset0:240 offset1:241
	s_waitcnt lgkmcnt(4)
	v_fma_f32 v1, -v6, v45, v1
	s_waitcnt lgkmcnt(3)
	v_fma_f32 v1, -v5, v47, v1
	s_waitcnt lgkmcnt(2)
	v_fma_f32 v1, -v4, v49, v1
	s_waitcnt lgkmcnt(1)
	v_fma_f32 v1, -v11, v51, v1
	s_add_i32 s11, s9, 0xfffffd80
	s_waitcnt lgkmcnt(0)
	v_fma_f32 v1, -v10, v53, v1
	v_fma_f32 v1, -v9, v26, v1
	v_mov_b32_e32 v26, s11
	s_add_i32 s11, s9, 0xfffffd30
	s_add_i32 s12, s8, 0xfffff9c4
	v_mov_b32_e32 v29, s11
	s_add_i32 s11, s9, 0xfffffce0
	v_fma_f32 v1, -v8, v28, v1
	s_addk_i32 s9, 0xfc90
	v_mul_f32_e32 v7, v7, v42
	v_mov_b32_e32 v27, s12
	v_mov_b32_e32 v31, s11
	v_mov_b32_e32 v33, s9
	v_fma_f32 v1, -v15, v30, v1
	v_fma_f32 v0, v0, s16, -v7
	v_fma_f32 v2, -v12, v37, v2
	ds_read_b32 v37, v27
	v_fma_f32 v1, -v14, v32, v1
	ds_read2_b32 v[26:27], v26 offset1:1
	ds_read2_b32 v[28:29], v29 offset1:1
	;; [unrolled: 1-line block ×4, first 2 shown]
	v_fma_f32 v0, -v6, v44, v0
	ds_read2_b32 v[6:7], v35 offset0:200 offset1:220
	v_fma_f32 v0, -v5, v46, v0
	v_fma_f32 v0, -v4, v48, v0
	;; [unrolled: 1-line block ×3, first 2 shown]
	ds_read2_b32 v[4:5], v35 offset0:160 offset1:180
	v_fma_f32 v0, -v10, v52, v0
	s_waitcnt lgkmcnt(1)
	v_fma_f32 v0, -v9, v7, v0
	v_fma_f32 v0, -v8, v6, v0
	ds_read2_b32 v[6:7], v35 offset0:120 offset1:140
	ds_read2_b32 v[8:9], v35 offset0:80 offset1:100
	s_waitcnt lgkmcnt(2)
	v_fma_f32 v0, -v15, v5, v0
	v_fma_f32 v0, -v14, v4, v0
	ds_read2_b32 v[4:5], v35 offset0:40 offset1:60
	s_waitcnt lgkmcnt(2)
	v_fma_f32 v0, -v13, v7, v0
	v_fma_f32 v1, -v13, v34, v1
	;; [unrolled: 1-line block ×5, first 2 shown]
	s_waitcnt lgkmcnt(1)
	v_fma_f32 v0, -v19, v9, v0
	v_fma_f32 v2, -v18, v27, v2
	;; [unrolled: 1-line block ×4, first 2 shown]
	ds_read2_b32 v[6:7], v35 offset1:20
	s_addk_i32 s7, 0xffb0
	v_fma_f32 v2, -v17, v29, v2
	v_fma_f32 v1, -v18, v26, v1
	s_waitcnt lgkmcnt(1)
	v_fma_f32 v0, -v17, v5, v0
	v_mov_b32_e32 v5, s7
	s_add_i32 s7, s8, 0xfffff970
	v_fma_f32 v2, -v16, v31, v2
	v_fma_f32 v1, -v17, v28, v1
	ds_read_b32 v5, v5
	v_mov_b32_e32 v8, s7
	v_fma_f32 v2, -v3, v33, v2
	v_fma_f32 v1, -v16, v30, v1
	ds_read_b32 v8, v8
	v_mul_f32_e32 v2, v41, v2
	v_fma_f32 v1, -v3, v32, v1
	v_fma_f32 v0, -v16, v4, v0
	;; [unrolled: 1-line block ×3, first 2 shown]
	s_waitcnt lgkmcnt(2)
	v_fma_f32 v0, -v3, v7, v0
	v_mul_f32_e32 v1, v37, v1
	v_fma_f32 v0, -v2, v6, v0
	s_waitcnt lgkmcnt(1)
	v_fma_f32 v0, -v1, v5, v0
	s_waitcnt lgkmcnt(0)
	v_mul_f32_e32 v0, v8, v0
	s_sub_i32 s8, s18, 21
	global_store_dwordx4 v[24:25], v[0:3], off offset:-80
.LBB22_43:
	s_cmp_gt_i32 s8, -1
	s_cbranch_scc0 .LBB22_62
; %bb.44:
	s_cmp_lt_u32 s8, 15
	s_cbranch_scc1 .LBB22_49
; %bb.45:
	s_mov_b32 s9, 0
	s_lshl_b64 s[12:13], s[8:9], 2
	v_mov_b32_e32 v0, s13
	v_add_co_u32_e32 v10, vcc, s12, v20
	v_addc_co_u32_e32 v11, vcc, v21, v0, vcc
	global_load_dwordx4 v[0:3], v[10:11], off offset:-12
	global_load_dwordx4 v[4:7], v[10:11], off offset:-28
	;; [unrolled: 1-line block ×4, first 2 shown]
	s_cmp_le_i32 s6, s8
	s_waitcnt vmcnt(3)
	v_pk_mul_f32 v[16:17], v[2:3], s[16:17] op_sel_hi:[1,0]
	v_pk_mul_f32 v[8:9], v[0:1], s[16:17] op_sel_hi:[1,0]
	s_waitcnt vmcnt(2)
	v_pk_mul_f32 v[2:3], v[6:7], s[16:17] op_sel_hi:[1,0]
	v_pk_mul_f32 v[0:1], v[4:5], s[16:17] op_sel_hi:[1,0]
	;; [unrolled: 3-line block ×4, first 2 shown]
	s_cbranch_scc1 .LBB22_48
; %bb.46:
	s_mul_i32 s7, s18, 0x50
	s_lshl_b32 s9, s8, 2
	s_add_i32 s7, s7, s9
	s_add_i32 s9, s7, 0xffffff74
	s_ashr_i32 s7, s6, 31
	s_lshl_b64 s[12:13], s[6:7], 2
	s_add_u32 s7, s2, s12
	s_addc_u32 s11, s3, s13
	s_add_u32 s7, s7, s4
	s_addc_u32 s11, s11, s5
	;; [unrolled: 2-line block ×3, first 2 shown]
	v_mov_b32_e32 v19, s11
	v_add_co_u32_e32 v18, vcc, s7, v22
	v_addc_co_u32_e32 v19, vcc, v19, v23, vcc
	s_mov_b32 s7, s6
.LBB22_47:                              ; =>This Inner Loop Header: Depth=1
	global_load_dword v24, v[18:19], off
	v_mov_b32_e32 v25, s9
	ds_read2_b32 v[26:27], v25 offset0:14 offset1:15
	ds_read2_b32 v[28:29], v25 offset0:12 offset1:13
	;; [unrolled: 1-line block ×7, first 2 shown]
	ds_read2_b32 v[40:41], v25 offset1:1
	s_add_i32 s7, s7, -1
	s_addk_i32 s9, 0xffb0
	v_add_co_u32_e32 v18, vcc, -4, v18
	v_addc_co_u32_e32 v19, vcc, -1, v19, vcc
	s_cmp_gt_i32 s7, s8
	s_waitcnt vmcnt(0) lgkmcnt(7)
	v_pk_fma_f32 v[16:17], v[24:25], v[26:27], v[16:17] op_sel_hi:[0,1,1] neg_lo:[1,0,0] neg_hi:[1,0,0]
	s_waitcnt lgkmcnt(6)
	v_pk_fma_f32 v[8:9], v[24:25], v[28:29], v[8:9] op_sel_hi:[0,1,1] neg_lo:[1,0,0] neg_hi:[1,0,0]
	s_waitcnt lgkmcnt(5)
	;; [unrolled: 2-line block ×7, first 2 shown]
	v_pk_fma_f32 v[12:13], v[24:25], v[40:41], v[12:13] op_sel_hi:[0,1,1] neg_lo:[1,0,0] neg_hi:[1,0,0]
	s_cbranch_scc1 .LBB22_47
.LBB22_48:
	s_mul_i32 s7, s8, 0x54
	s_add_i32 s9, s7, -4
	v_mov_b32_e32 v18, s9
	s_mul_i32 s11, s8, 20
	s_add_i32 s9, s7, 0xffffffac
	s_add_i32 s13, s8, -3
	v_mov_b32_e32 v19, s9
	s_add_i32 s9, s13, s11
	s_lshl_b32 s9, s9, 2
	s_sub_i32 s12, s11, 20
	ds_read2_b32 v[24:25], v18 offset1:1
	v_mov_b32_e32 v26, s9
	s_add_i32 s9, s13, s12
	s_lshl_b32 s9, s9, 2
	v_mov_b32_e32 v18, s9
	s_ashr_i32 s9, s8, 31
	s_lshl_b64 s[14:15], s[8:9], 2
	s_sub_i32 s9, s11, 40
	ds_read_b32 v19, v19
	ds_read2_b32 v[26:27], v26 offset1:1
	ds_read2_b32 v[28:29], v18 offset1:1
	s_waitcnt lgkmcnt(3)
	v_mul_f32_e32 v18, v25, v17
	s_add_i32 s13, s13, s9
	global_store_dword v[10:11], v18, off
	v_fma_f32 v10, -v18, v24, v16
	v_mov_b32_e32 v11, s15
	v_add_co_u32_e32 v16, vcc, s14, v20
	s_lshl_b32 s13, s13, 2
	v_addc_co_u32_e32 v17, vcc, v21, v11, vcc
	v_mov_b32_e32 v11, s13
	s_add_i32 s13, s7, 0xffffff04
	s_add_i32 s15, s8, -5
	s_waitcnt lgkmcnt(2)
	v_mul_f32_e32 v10, v19, v10
	v_mov_b32_e32 v19, s13
	s_add_i32 s13, s15, s11
	s_lshl_b32 s13, s13, 2
	s_waitcnt lgkmcnt(1)
	v_fma_f32 v9, -v18, v27, v9
	v_mov_b32_e32 v27, s13
	s_add_i32 s13, s15, s12
	ds_read2_b32 v[24:25], v11 offset1:1
	s_lshl_b32 s13, s13, 2
	v_mov_b32_e32 v11, s13
	s_add_i32 s13, s15, s9
	s_lshl_b32 s13, s13, 2
	s_waitcnt lgkmcnt(1)
	v_fma_f32 v9, -v10, v29, v9
	ds_read_b32 v19, v19
	ds_read2_b32 v[30:31], v27 offset1:1
	ds_read2_b32 v[32:33], v11 offset1:1
	v_fma_f32 v8, -v18, v26, v8
	v_mov_b32_e32 v11, s13
	s_sub_i32 s13, s11, 60
	s_waitcnt lgkmcnt(3)
	v_mul_f32_e32 v9, v25, v9
	v_fma_f32 v8, -v10, v28, v8
	s_add_i32 s14, s15, s13
	v_fma_f32 v8, -v9, v24, v8
	s_lshl_b32 s14, s14, 2
	s_waitcnt lgkmcnt(2)
	v_mul_f32_e32 v8, v19, v8
	v_mov_b32_e32 v19, s14
	s_add_i32 s14, s11, 0xffffffb0
	s_add_i32 s15, s15, s14
	s_lshl_b32 s15, s15, 2
	global_store_dwordx3 v[16:17], v[8:10], off offset:-12
	v_mov_b32_e32 v28, s15
	s_add_i32 s15, s7, 0xfffffe5c
	ds_read2_b32 v[24:25], v11 offset1:1
	ds_read2_b32 v[26:27], v19 offset1:1
	;; [unrolled: 1-line block ×3, first 2 shown]
	s_waitcnt lgkmcnt(4)
	v_fma_f32 v3, -v18, v31, v3
	v_mov_b32_e32 v11, s15
	s_waitcnt lgkmcnt(3)
	v_fma_f32 v3, -v10, v33, v3
	ds_read_b32 v11, v11
	v_fma_f32 v2, -v18, v30, v2
	s_waitcnt lgkmcnt(3)
	v_fma_f32 v3, -v9, v25, v3
	v_fma_f32 v2, -v10, v32, v2
	s_waitcnt lgkmcnt(2)
	v_fma_f32 v3, -v8, v27, v3
	v_fma_f32 v2, -v9, v24, v2
	s_add_i32 s19, s8, -7
	s_waitcnt lgkmcnt(1)
	v_mul_f32_e32 v3, v29, v3
	v_fma_f32 v2, -v8, v26, v2
	s_add_i32 s15, s19, s11
	v_fma_f32 v2, -v3, v28, v2
	s_lshl_b32 s15, s15, 2
	s_waitcnt lgkmcnt(0)
	v_mul_f32_e32 v2, v11, v2
	v_mov_b32_e32 v11, s15
	s_add_i32 s15, s19, s12
	s_lshl_b32 s15, s15, 2
	v_mov_b32_e32 v19, s15
	s_add_i32 s15, s19, s9
	s_lshl_b32 s15, s15, 2
	;; [unrolled: 3-line block ×3, first 2 shown]
	ds_read2_b32 v[24:25], v11 offset1:1
	ds_read2_b32 v[26:27], v19 offset1:1
	v_mov_b32_e32 v11, s15
	s_add_i32 s15, s19, s14
	s_lshl_b32 s15, s15, 2
	ds_read2_b32 v[28:29], v28 offset1:1
	ds_read2_b32 v[30:31], v11 offset1:1
	v_mov_b32_e32 v11, s15
	s_add_i32 s15, s11, 0xffffff9c
	s_add_i32 s17, s19, s15
	s_lshl_b32 s17, s17, 2
	v_mov_b32_e32 v19, s17
	s_add_i32 s17, s7, 0xfffffe08
	s_waitcnt lgkmcnt(3)
	v_fma_f32 v1, -v18, v25, v1
	ds_read2_b32 v[32:33], v11 offset1:1
	ds_read2_b32 v[34:35], v19 offset1:1
	v_mov_b32_e32 v11, s17
	s_waitcnt lgkmcnt(4)
	v_fma_f32 v1, -v10, v27, v1
	ds_read_b32 v11, v11
	s_waitcnt lgkmcnt(4)
	v_fma_f32 v1, -v9, v29, v1
	s_waitcnt lgkmcnt(3)
	v_fma_f32 v1, -v8, v31, v1
	s_add_i32 s17, s11, 0xffffff88
	s_waitcnt lgkmcnt(2)
	v_fma_f32 v1, -v3, v33, v1
	s_add_i32 s19, s19, s17
	s_waitcnt lgkmcnt(1)
	v_fma_f32 v1, -v2, v35, v1
	s_lshl_b32 s19, s19, 2
	s_waitcnt lgkmcnt(0)
	v_mul_f32_e32 v1, v11, v1
	v_mov_b32_e32 v11, s19
	s_add_i32 s19, s7, 0xfffffdb4
	s_add_i32 s21, s8, -9
	v_fma_f32 v0, -v18, v24, v0
	v_mov_b32_e32 v19, s19
	s_add_i32 s19, s21, s11
	v_fma_f32 v0, -v10, v26, v0
	s_lshl_b32 s19, s19, 2
	v_fma_f32 v0, -v9, v28, v0
	v_mov_b32_e32 v24, s19
	s_add_i32 s19, s21, s12
	ds_read_b32 v11, v11
	ds_read_b32 v19, v19
	v_fma_f32 v0, -v8, v30, v0
	s_lshl_b32 s19, s19, 2
	v_fma_f32 v0, -v3, v32, v0
	v_mov_b32_e32 v26, s19
	s_add_i32 s19, s21, s9
	v_fma_f32 v0, -v2, v34, v0
	s_lshl_b32 s19, s19, 2
	ds_read2_b32 v[24:25], v24 offset1:1
	ds_read2_b32 v[26:27], v26 offset1:1
	s_waitcnt lgkmcnt(3)
	v_fma_f32 v0, -v1, v11, v0
	v_mov_b32_e32 v11, s19
	s_add_i32 s19, s21, s13
	s_lshl_b32 s19, s19, 2
	s_waitcnt lgkmcnt(2)
	v_mul_f32_e32 v0, v19, v0
	v_mov_b32_e32 v19, s19
	s_add_i32 s19, s21, s14
	s_lshl_b32 s19, s19, 2
	s_waitcnt lgkmcnt(1)
	v_fma_f32 v7, -v18, v25, v7
	v_mov_b32_e32 v25, s19
	s_add_i32 s19, s21, s15
	s_lshl_b32 s19, s19, 2
	v_mov_b32_e32 v34, s19
	s_add_i32 s19, s21, s17
	global_store_dwordx4 v[16:17], v[0:3], off offset:-28
	s_lshl_b32 s19, s19, 2
	ds_read2_b32 v[28:29], v11 offset1:1
	ds_read2_b32 v[30:31], v19 offset1:1
	;; [unrolled: 1-line block ×4, first 2 shown]
	v_mov_b32_e32 v11, s19
	s_add_i32 s19, s11, 0xffffff74
	s_add_i32 s20, s21, s19
	s_lshl_b32 s20, s20, 2
	v_mov_b32_e32 v19, s20
	s_add_i32 s20, s11, 0xffffff60
	s_waitcnt lgkmcnt(4)
	v_fma_f32 v7, -v10, v27, v7
	s_add_i32 s21, s21, s20
	v_fma_f32 v6, -v18, v24, v6
	s_waitcnt lgkmcnt(3)
	v_fma_f32 v7, -v9, v29, v7
	s_lshl_b32 s21, s21, 2
	v_fma_f32 v6, -v10, v26, v6
	s_waitcnt lgkmcnt(2)
	v_fma_f32 v7, -v8, v31, v7
	v_mov_b32_e32 v25, s21
	s_add_i32 s21, s7, 0xfffffd0c
	ds_read2_b32 v[36:37], v11 offset1:1
	ds_read2_b32 v[38:39], v19 offset1:1
	;; [unrolled: 1-line block ×3, first 2 shown]
	v_fma_f32 v6, -v9, v28, v6
	s_waitcnt lgkmcnt(4)
	v_fma_f32 v7, -v3, v33, v7
	v_mov_b32_e32 v11, s21
	v_fma_f32 v6, -v8, v30, v6
	s_waitcnt lgkmcnt(3)
	v_fma_f32 v7, -v2, v35, v7
	ds_read_b32 v11, v11
	v_fma_f32 v6, -v3, v32, v6
	s_waitcnt lgkmcnt(3)
	v_fma_f32 v7, -v1, v37, v7
	v_fma_f32 v6, -v2, v34, v6
	s_waitcnt lgkmcnt(2)
	v_fma_f32 v7, -v0, v39, v7
	v_fma_f32 v6, -v1, v36, v6
	s_add_i32 s23, s8, -11
	s_waitcnt lgkmcnt(1)
	v_mul_f32_e32 v7, v41, v7
	v_fma_f32 v6, -v0, v38, v6
	s_add_i32 s21, s23, s11
	v_fma_f32 v6, -v7, v40, v6
	s_lshl_b32 s21, s21, 2
	s_waitcnt lgkmcnt(0)
	v_mul_f32_e32 v6, v11, v6
	v_mov_b32_e32 v11, s21
	s_add_i32 s21, s23, s12
	s_lshl_b32 s21, s21, 2
	v_mov_b32_e32 v19, s21
	s_add_i32 s21, s23, s9
	s_lshl_b32 s21, s21, 2
	;; [unrolled: 3-line block ×3, first 2 shown]
	ds_read2_b32 v[24:25], v11 offset1:1
	ds_read2_b32 v[26:27], v19 offset1:1
	;; [unrolled: 1-line block ×3, first 2 shown]
	v_mov_b32_e32 v11, s21
	s_add_i32 s21, s23, s14
	s_lshl_b32 s21, s21, 2
	ds_read2_b32 v[30:31], v11 offset1:1
	v_mov_b32_e32 v11, s21
	s_add_i32 s21, s23, s15
	s_lshl_b32 s21, s21, 2
	v_mov_b32_e32 v19, s21
	s_add_i32 s21, s23, s17
	s_lshl_b32 s21, s21, 2
	s_waitcnt lgkmcnt(3)
	v_fma_f32 v5, -v18, v25, v5
	v_mov_b32_e32 v25, s21
	s_add_i32 s21, s23, s19
	s_lshl_b32 s21, s21, 2
	s_waitcnt lgkmcnt(2)
	v_fma_f32 v5, -v10, v27, v5
	v_mov_b32_e32 v27, s21
	s_add_i32 s21, s23, s20
	s_lshl_b32 s21, s21, 2
	s_add_i32 s22, s11, 0xffffff4c
	ds_read2_b32 v[32:33], v11 offset1:1
	ds_read2_b32 v[34:35], v19 offset1:1
	;; [unrolled: 1-line block ×4, first 2 shown]
	v_mov_b32_e32 v11, s21
	s_add_i32 s21, s23, s22
	s_lshl_b32 s21, s21, 2
	v_fma_f32 v4, -v18, v24, v4
	s_waitcnt lgkmcnt(5)
	v_fma_f32 v5, -v9, v29, v5
	v_mov_b32_e32 v19, s21
	s_add_i32 s21, s11, 0xffffff38
	v_fma_f32 v4, -v10, v26, v4
	s_waitcnt lgkmcnt(4)
	v_fma_f32 v5, -v8, v31, v5
	s_add_i32 s23, s23, s21
	v_fma_f32 v4, -v9, v28, v4
	s_waitcnt lgkmcnt(3)
	v_fma_f32 v5, -v3, v33, v5
	s_lshl_b32 s23, s23, 2
	v_fma_f32 v4, -v8, v30, v4
	s_waitcnt lgkmcnt(2)
	v_fma_f32 v5, -v2, v35, v5
	v_mov_b32_e32 v25, s23
	s_add_i32 s23, s7, 0xfffffc64
	ds_read2_b32 v[40:41], v11 offset1:1
	ds_read2_b32 v[42:43], v19 offset1:1
	;; [unrolled: 1-line block ×3, first 2 shown]
	v_fma_f32 v4, -v3, v32, v4
	s_waitcnt lgkmcnt(4)
	v_fma_f32 v5, -v1, v37, v5
	v_mov_b32_e32 v11, s23
	v_fma_f32 v4, -v2, v34, v4
	s_waitcnt lgkmcnt(3)
	v_fma_f32 v5, -v0, v39, v5
	ds_read_b32 v11, v11
	v_fma_f32 v4, -v1, v36, v4
	s_waitcnt lgkmcnt(3)
	v_fma_f32 v5, -v7, v41, v5
	v_fma_f32 v4, -v0, v38, v4
	s_waitcnt lgkmcnt(2)
	v_fma_f32 v5, -v6, v43, v5
	v_fma_f32 v4, -v7, v40, v4
	s_add_i32 s23, s8, -13
	s_waitcnt lgkmcnt(1)
	v_mul_f32_e32 v5, v45, v5
	v_fma_f32 v4, -v6, v42, v4
	s_add_i32 s24, s23, s11
	v_fma_f32 v4, -v5, v44, v4
	s_lshl_b32 s24, s24, 2
	s_waitcnt lgkmcnt(0)
	v_mul_f32_e32 v4, v11, v4
	v_mov_b32_e32 v11, s24
	s_add_i32 s24, s23, s12
	s_lshl_b32 s24, s24, 2
	v_mov_b32_e32 v19, s24
	s_add_i32 s24, s23, s9
	s_lshl_b32 s24, s24, 2
	;; [unrolled: 3-line block ×3, first 2 shown]
	v_mov_b32_e32 v30, s24
	ds_read2_b32 v[24:25], v11 offset1:1
	ds_read2_b32 v[26:27], v19 offset1:1
	;; [unrolled: 1-line block ×4, first 2 shown]
	s_add_i32 s24, s23, s14
	s_lshl_b32 s24, s24, 2
	s_waitcnt lgkmcnt(3)
	v_fma_f32 v11, -v18, v25, v15
	v_mov_b32_e32 v15, s24
	s_add_i32 s24, s23, s15
	s_lshl_b32 s24, s24, 2
	v_mov_b32_e32 v19, s24
	s_add_i32 s24, s23, s17
	s_lshl_b32 s24, s24, 2
	v_mov_b32_e32 v25, s24
	s_add_i32 s24, s23, s19
	global_store_dwordx4 v[16:17], v[4:7], off offset:-44
	s_lshl_b32 s24, s24, 2
	ds_read2_b32 v[32:33], v15 offset1:1
	ds_read2_b32 v[34:35], v19 offset1:1
	;; [unrolled: 1-line block ×3, first 2 shown]
	v_mov_b32_e32 v15, s24
	s_add_i32 s24, s23, s20
	s_lshl_b32 s24, s24, 2
	ds_read2_b32 v[38:39], v15 offset1:1
	v_mov_b32_e32 v15, s24
	s_add_i32 s24, s23, s22
	s_lshl_b32 s24, s24, 2
	v_mov_b32_e32 v19, s24
	s_add_i32 s24, s23, s21
	s_lshl_b32 s24, s24, 2
	v_mov_b32_e32 v25, s24
	s_add_i32 s24, s11, 0xffffff24
	s_add_i32 s25, s23, s24
	s_waitcnt lgkmcnt(6)
	v_fma_f32 v11, -v10, v27, v11
	s_lshl_b32 s25, s25, 2
	s_waitcnt lgkmcnt(5)
	v_fma_f32 v11, -v9, v29, v11
	v_mov_b32_e32 v27, s25
	s_add_i32 s25, s11, 0xffffff10
	s_waitcnt lgkmcnt(4)
	v_fma_f32 v11, -v8, v31, v11
	s_add_i32 s23, s23, s25
	s_waitcnt lgkmcnt(3)
	v_fma_f32 v11, -v3, v33, v11
	s_lshl_b32 s23, s23, 2
	s_waitcnt lgkmcnt(2)
	v_fma_f32 v11, -v2, v35, v11
	ds_read2_b32 v[40:41], v15 offset1:1
	ds_read2_b32 v[42:43], v19 offset1:1
	;; [unrolled: 1-line block ×4, first 2 shown]
	v_mov_b32_e32 v15, s23
	s_add_i32 s23, s7, 0xfffffbbc
	s_waitcnt lgkmcnt(5)
	v_fma_f32 v11, -v1, v37, v11
	v_mov_b32_e32 v19, s23
	s_add_i32 s23, s8, -15
	s_waitcnt lgkmcnt(4)
	v_fma_f32 v11, -v0, v39, v11
	s_add_i32 s11, s23, s11
	ds_read2_b32 v[48:49], v15 offset1:1
	s_waitcnt lgkmcnt(4)
	v_fma_f32 v11, -v7, v41, v11
	s_lshl_b32 s11, s11, 2
	s_waitcnt lgkmcnt(3)
	v_fma_f32 v11, -v6, v43, v11
	v_mov_b32_e32 v25, s11
	s_add_i32 s11, s23, s12
	s_waitcnt lgkmcnt(2)
	v_fma_f32 v11, -v5, v45, v11
	s_lshl_b32 s11, s11, 2
	s_waitcnt lgkmcnt(1)
	v_fma_f32 v11, -v4, v47, v11
	v_mov_b32_e32 v15, s11
	ds_read_b32 v19, v19
	ds_read2_b32 v[50:51], v25 offset1:1
	ds_read2_b32 v[52:53], v15 offset1:1
	s_waitcnt lgkmcnt(3)
	v_mul_f32_e32 v15, v49, v11
	v_fma_f32 v11, -v18, v24, v14
	v_fma_f32 v11, -v10, v26, v11
	;; [unrolled: 1-line block ×12, first 2 shown]
	s_add_i32 s9, s23, s9
	v_fma_f32 v11, -v15, v48, v11
	s_lshl_b32 s9, s9, 2
	s_waitcnt lgkmcnt(2)
	v_mul_f32_e32 v14, v19, v11
	s_waitcnt lgkmcnt(1)
	v_fma_f32 v11, -v18, v51, v13
	v_mov_b32_e32 v13, s9
	s_add_i32 s9, s23, s13
	s_lshl_b32 s9, s9, 2
	v_mov_b32_e32 v19, s9
	s_add_i32 s9, s23, s14
	s_lshl_b32 s9, s9, 2
	;; [unrolled: 3-line block ×3, first 2 shown]
	ds_read2_b32 v[24:25], v13 offset1:1
	ds_read2_b32 v[26:27], v19 offset1:1
	;; [unrolled: 1-line block ×3, first 2 shown]
	v_mov_b32_e32 v13, s9
	s_add_i32 s9, s23, s17
	s_lshl_b32 s9, s9, 2
	ds_read2_b32 v[30:31], v13 offset1:1
	v_mov_b32_e32 v13, s9
	s_add_i32 s9, s23, s19
	s_lshl_b32 s9, s9, 2
	v_mov_b32_e32 v19, s9
	s_add_i32 s9, s23, s20
	s_waitcnt lgkmcnt(4)
	v_fma_f32 v11, -v10, v53, v11
	s_lshl_b32 s9, s9, 2
	s_waitcnt lgkmcnt(3)
	v_fma_f32 v11, -v9, v25, v11
	v_mov_b32_e32 v25, s9
	s_add_i32 s9, s23, s22
	s_lshl_b32 s9, s9, 2
	s_waitcnt lgkmcnt(2)
	v_fma_f32 v11, -v8, v27, v11
	v_mov_b32_e32 v27, s9
	s_add_i32 s9, s23, s21
	s_lshl_b32 s9, s9, 2
	ds_read2_b32 v[32:33], v13 offset1:1
	ds_read2_b32 v[34:35], v19 offset1:1
	;; [unrolled: 1-line block ×4, first 2 shown]
	v_mov_b32_e32 v13, s9
	s_add_i32 s9, s23, s24
	s_waitcnt lgkmcnt(5)
	v_fma_f32 v11, -v3, v29, v11
	s_lshl_b32 s9, s9, 2
	s_add_i32 s23, s23, s25
	s_waitcnt lgkmcnt(4)
	v_fma_f32 v11, -v2, v31, v11
	v_mov_b32_e32 v19, s9
	s_lshl_b32 s9, s23, 2
	s_waitcnt lgkmcnt(3)
	v_fma_f32 v11, -v1, v33, v11
	s_add_i32 s11, s9, 0xffffffb0
	s_waitcnt lgkmcnt(2)
	v_fma_f32 v11, -v0, v35, v11
	v_mov_b32_e32 v25, s9
	ds_read2_b32 v[40:41], v13 offset1:1
	ds_read2_b32 v[42:43], v19 offset1:1
	;; [unrolled: 1-line block ×3, first 2 shown]
	v_mov_b32_e32 v13, s11
	s_addk_i32 s9, 0xff60
	s_waitcnt lgkmcnt(4)
	v_fma_f32 v11, -v7, v37, v11
	ds_read2_b32 v[46:47], v13 offset1:1
	v_mov_b32_e32 v13, s9
	s_waitcnt lgkmcnt(4)
	v_fma_f32 v11, -v6, v39, v11
	ds_read2_b32 v[48:49], v13 offset1:1
	s_waitcnt lgkmcnt(4)
	v_fma_f32 v11, -v5, v41, v11
	s_waitcnt lgkmcnt(3)
	v_fma_f32 v11, -v4, v43, v11
	;; [unrolled: 2-line block ×3, first 2 shown]
	s_addk_i32 s7, 0xfb14
	s_waitcnt lgkmcnt(1)
	v_fma_f32 v11, -v14, v47, v11
	v_mov_b32_e32 v13, s7
	ds_read_b32 v19, v13
	s_waitcnt lgkmcnt(1)
	v_mul_f32_e32 v13, v49, v11
	v_fma_f32 v11, -v18, v50, v12
	v_fma_f32 v10, -v10, v52, v11
	;; [unrolled: 1-line block ×15, first 2 shown]
	s_waitcnt lgkmcnt(0)
	v_mul_f32_e32 v12, v19, v0
	s_add_i32 s8, s8, -16
	global_store_dwordx4 v[16:17], v[12:15], off offset:-60
.LBB22_49:
	s_cmp_lt_i32 s8, 0
	s_cbranch_scc1 .LBB22_62
; %bb.50:
	s_bitcmp1_b32 s8, 0
	s_cselect_b64 s[12:13], -1, 0
	s_and_b64 vcc, exec, s[12:13]
	s_mov_b32 s12, s8
	s_cbranch_vccnz .LBB22_55
; %bb.51:
	s_mov_b32 s9, 0
	s_lshl_b64 s[12:13], s[8:9], 2
	v_mov_b32_e32 v1, s13
	v_add_co_u32_e32 v0, vcc, s12, v20
	v_addc_co_u32_e32 v1, vcc, v21, v1, vcc
	global_load_dword v2, v[0:1], off
	s_cmp_le_i32 s6, s8
	s_waitcnt vmcnt(0)
	v_mul_f32_e32 v4, s16, v2
	s_cbranch_scc1 .LBB22_54
; %bb.52:
	s_mul_i32 s7, s18, 0x50
	s_lshl_b32 s9, s8, 2
	s_add_i32 s7, s7, s9
	s_add_i32 s9, s7, 0xffffffb0
	s_ashr_i32 s7, s6, 31
	s_lshl_b64 s[12:13], s[6:7], 2
	s_add_u32 s7, s2, s12
	s_addc_u32 s11, s3, s13
	s_add_u32 s7, s7, s4
	s_addc_u32 s11, s11, s5
	;; [unrolled: 2-line block ×3, first 2 shown]
	v_mov_b32_e32 v3, s11
	v_add_co_u32_e32 v2, vcc, s7, v22
	v_addc_co_u32_e32 v3, vcc, v3, v23, vcc
	s_mov_b32 s7, s6
.LBB22_53:                              ; =>This Inner Loop Header: Depth=1
	global_load_dword v5, v[2:3], off
	v_mov_b32_e32 v6, s9
	ds_read_b32 v6, v6
	s_add_i32 s7, s7, -1
	s_addk_i32 s9, 0xffb0
	v_add_co_u32_e32 v2, vcc, -4, v2
	v_addc_co_u32_e32 v3, vcc, -1, v3, vcc
	s_cmp_gt_i32 s7, s8
	s_waitcnt vmcnt(0) lgkmcnt(0)
	v_fma_f32 v4, -v5, v6, v4
	s_cbranch_scc1 .LBB22_53
.LBB22_54:
	s_mul_i32 s7, s8, 0x54
	v_mov_b32_e32 v2, s7
	ds_read_b32 v2, v2
	s_add_i32 s12, s8, -1
	s_waitcnt lgkmcnt(0)
	v_mul_f32_e32 v2, v2, v4
	global_store_dword v[0:1], v2, off
.LBB22_55:
	s_cmp_eq_u32 s8, 0
	s_mov_b32 s13, 0
	s_cbranch_scc1 .LBB22_62
; %bb.56:
	s_mul_i32 s7, s18, 0x50
	s_lshl_b32 s8, s12, 2
	s_add_i32 s9, s7, s8
	s_add_i32 s8, s9, 0xffffffb0
	s_add_u32 s0, s4, s0
	s_addc_u32 s1, s5, s1
	s_ashr_i32 s7, s6, 31
	v_mov_b32_e32 v0, s1
	v_add_co_u32_e32 v2, vcc, s0, v22
	s_lshl_b64 s[0:1], s[6:7], 2
	s_add_u32 s0, s2, s0
	v_addc_co_u32_e32 v3, vcc, v0, v23, vcc
	s_addc_u32 s1, s3, s1
	s_ashr_i32 s11, s10, 31
	v_add_co_u32_e32 v0, vcc, s0, v2
	s_add_i32 s0, s9, 0xffffffac
	v_cmp_lt_i64_e64 s[4:5], s[10:11], 20
	s_and_b64 s[4:5], s[4:5], exec
	s_cselect_b32 s5, s11, 0
	s_cselect_b32 s4, s10, 20
	s_lshl_b64 s[4:5], s[4:5], 2
	v_mov_b32_e32 v1, s1
	s_add_u32 s1, s2, s4
	v_addc_co_u32_e32 v1, vcc, v1, v3, vcc
	s_addc_u32 s2, s3, s5
	v_mov_b32_e32 v4, s2
	v_add_co_u32_e32 v2, vcc, s1, v2
	v_addc_co_u32_e32 v3, vcc, v4, v3, vcc
	v_add_co_u32_e32 v2, vcc, -4, v2
	v_addc_co_u32_e32 v3, vcc, -1, v3, vcc
	s_branch .LBB22_58
.LBB22_57:                              ;   in Loop: Header=BB22_58 Depth=1
	s_addk_i32 s1, 0xffac
	v_mov_b32_e32 v6, s1
	ds_read_b32 v6, v6
	s_add_i32 s1, s12, -2
	s_add_i32 s8, s8, -8
	;; [unrolled: 1-line block ×3, first 2 shown]
	s_cmp_lt_i32 s12, 2
	s_waitcnt lgkmcnt(0)
	v_mul_f32_e32 v6, v6, v8
	s_mov_b32 s12, s1
	global_store_dword v[4:5], v6, off offset:-4
	s_cbranch_scc1 .LBB22_62
.LBB22_58:                              ; =>This Loop Header: Depth=1
                                        ;     Child Loop BB22_59 Depth 2
                                        ;     Child Loop BB22_61 Depth 2
	s_lshl_b64 s[2:3], s[12:13], 2
	v_mov_b32_e32 v5, s3
	v_add_co_u32_e32 v4, vcc, s2, v20
	v_addc_co_u32_e32 v5, vcc, v21, v5, vcc
	global_load_dword v6, v[4:5], off
	v_pk_mov_b32 v[4:5], v[0:1], v[0:1] op_sel:[0,1]
	s_mov_b32 s1, s8
	s_cmp_le_i32 s6, s12
	s_mov_b32 s2, s6
	s_waitcnt vmcnt(0)
	v_mul_f32_e32 v8, s16, v6
	s_cbranch_scc1 .LBB22_60
.LBB22_59:                              ;   Parent Loop BB22_58 Depth=1
                                        ; =>  This Inner Loop Header: Depth=2
	global_load_dword v6, v[4:5], off
	v_mov_b32_e32 v7, s1
	ds_read_b32 v7, v7
	s_add_i32 s2, s2, -1
	s_addk_i32 s1, 0xffb0
	v_add_co_u32_e32 v4, vcc, -4, v4
	v_addc_co_u32_e32 v5, vcc, -1, v5, vcc
	s_cmp_gt_i32 s2, s12
	s_waitcnt vmcnt(0) lgkmcnt(0)
	v_fma_f32 v8, -v6, v7, v8
	s_cbranch_scc1 .LBB22_59
.LBB22_60:                              ;   in Loop: Header=BB22_58 Depth=1
	s_add_i32 s2, s12, -1
	s_mov_b32 s3, s13
	s_lshl_b64 s[2:3], s[2:3], 2
	v_mov_b32_e32 v5, s3
	v_add_co_u32_e32 v4, vcc, s2, v20
	v_addc_co_u32_e32 v5, vcc, v21, v5, vcc
	global_load_dword v9, v[4:5], off
	s_mul_i32 s1, s12, 0x54
	v_mov_b32_e32 v4, s1
	ds_read_b32 v10, v4
	s_ashr_i32 s5, s12, 31
	s_mov_b32 s4, s12
	s_lshl_b64 s[4:5], s[4:5], 2
	v_mov_b32_e32 v5, s5
	v_add_co_u32_e32 v4, vcc, s4, v20
	v_addc_co_u32_e32 v5, vcc, v21, v5, vcc
	s_waitcnt lgkmcnt(0)
	v_mul_f32_e32 v8, v10, v8
	v_pk_mov_b32 v[6:7], v[2:3], v[2:3] op_sel:[0,1]
	s_mov_b32 s2, s0
	s_cmp_le_i32 s18, s12
	global_store_dword v[4:5], v8, off
	s_mov_b32 s3, s18
	s_waitcnt vmcnt(1)
	v_mul_f32_e32 v8, s16, v9
	s_cbranch_scc1 .LBB22_57
.LBB22_61:                              ;   Parent Loop BB22_58 Depth=1
                                        ; =>  This Inner Loop Header: Depth=2
	global_load_dword v9, v[6:7], off
	v_mov_b32_e32 v10, s2
	ds_read_b32 v10, v10
	s_add_i32 s3, s3, -1
	s_addk_i32 s2, 0xffb0
	v_add_co_u32_e32 v6, vcc, -4, v6
	v_addc_co_u32_e32 v7, vcc, -1, v7, vcc
	s_cmp_gt_i32 s3, s12
	s_waitcnt vmcnt(0) lgkmcnt(0)
	v_fma_f32 v8, -v9, v10, v8
	s_cbranch_scc1 .LBB22_61
	s_branch .LBB22_57
.LBB22_62:
	s_endpgm
	.section	.rodata,"a",@progbits
	.p2align	6, 0x0
	.amdhsa_kernel _ZL30rocblas_trsm_small_left_deviceILi20ELi20ELb0EffPKfPfEv13rocblas_fill_18rocblas_operation_17rocblas_diagonal_iiT3_T4_lilT5_lili
		.amdhsa_group_segment_fixed_size 1600
		.amdhsa_private_segment_fixed_size 0
		.amdhsa_kernarg_size 352
		.amdhsa_user_sgpr_count 6
		.amdhsa_user_sgpr_private_segment_buffer 1
		.amdhsa_user_sgpr_dispatch_ptr 0
		.amdhsa_user_sgpr_queue_ptr 0
		.amdhsa_user_sgpr_kernarg_segment_ptr 1
		.amdhsa_user_sgpr_dispatch_id 0
		.amdhsa_user_sgpr_flat_scratch_init 0
		.amdhsa_user_sgpr_kernarg_preload_length 0
		.amdhsa_user_sgpr_kernarg_preload_offset 0
		.amdhsa_user_sgpr_private_segment_size 0
		.amdhsa_uses_dynamic_stack 0
		.amdhsa_system_sgpr_private_segment_wavefront_offset 0
		.amdhsa_system_sgpr_workgroup_id_x 1
		.amdhsa_system_sgpr_workgroup_id_y 0
		.amdhsa_system_sgpr_workgroup_id_z 1
		.amdhsa_system_sgpr_workgroup_info 0
		.amdhsa_system_vgpr_workitem_id 0
		.amdhsa_next_free_vgpr 66
		.amdhsa_next_free_sgpr 43
		.amdhsa_accum_offset 68
		.amdhsa_reserve_vcc 1
		.amdhsa_reserve_flat_scratch 0
		.amdhsa_float_round_mode_32 0
		.amdhsa_float_round_mode_16_64 0
		.amdhsa_float_denorm_mode_32 3
		.amdhsa_float_denorm_mode_16_64 3
		.amdhsa_dx10_clamp 1
		.amdhsa_ieee_mode 1
		.amdhsa_fp16_overflow 0
		.amdhsa_tg_split 0
		.amdhsa_exception_fp_ieee_invalid_op 0
		.amdhsa_exception_fp_denorm_src 0
		.amdhsa_exception_fp_ieee_div_zero 0
		.amdhsa_exception_fp_ieee_overflow 0
		.amdhsa_exception_fp_ieee_underflow 0
		.amdhsa_exception_fp_ieee_inexact 0
		.amdhsa_exception_int_div_zero 0
	.end_amdhsa_kernel
	.section	.text._ZL30rocblas_trsm_small_left_deviceILi20ELi20ELb0EffPKfPfEv13rocblas_fill_18rocblas_operation_17rocblas_diagonal_iiT3_T4_lilT5_lili,"axG",@progbits,_ZL30rocblas_trsm_small_left_deviceILi20ELi20ELb0EffPKfPfEv13rocblas_fill_18rocblas_operation_17rocblas_diagonal_iiT3_T4_lilT5_lili,comdat
.Lfunc_end22:
	.size	_ZL30rocblas_trsm_small_left_deviceILi20ELi20ELb0EffPKfPfEv13rocblas_fill_18rocblas_operation_17rocblas_diagonal_iiT3_T4_lilT5_lili, .Lfunc_end22-_ZL30rocblas_trsm_small_left_deviceILi20ELi20ELb0EffPKfPfEv13rocblas_fill_18rocblas_operation_17rocblas_diagonal_iiT3_T4_lilT5_lili
                                        ; -- End function
	.section	.AMDGPU.csdata,"",@progbits
; Kernel info:
; codeLenInByte = 15100
; NumSgprs: 47
; NumVgprs: 66
; NumAgprs: 0
; TotalNumVgprs: 66
; ScratchSize: 0
; MemoryBound: 1
; FloatMode: 240
; IeeeMode: 1
; LDSByteSize: 1600 bytes/workgroup (compile time only)
; SGPRBlocks: 5
; VGPRBlocks: 8
; NumSGPRsForWavesPerEU: 47
; NumVGPRsForWavesPerEU: 66
; AccumOffset: 68
; Occupancy: 7
; WaveLimiterHint : 0
; COMPUTE_PGM_RSRC2:SCRATCH_EN: 0
; COMPUTE_PGM_RSRC2:USER_SGPR: 6
; COMPUTE_PGM_RSRC2:TRAP_HANDLER: 0
; COMPUTE_PGM_RSRC2:TGID_X_EN: 1
; COMPUTE_PGM_RSRC2:TGID_Y_EN: 0
; COMPUTE_PGM_RSRC2:TGID_Z_EN: 1
; COMPUTE_PGM_RSRC2:TIDIG_COMP_CNT: 0
; COMPUTE_PGM_RSRC3_GFX90A:ACCUM_OFFSET: 16
; COMPUTE_PGM_RSRC3_GFX90A:TG_SPLIT: 0
	.section	.text._ZL38rocblas_trsm_small_left_device_sharedBILi20ELi20ELb1EffPKfPfEv13rocblas_fill_18rocblas_operation_17rocblas_diagonal_iiT3_T4_lilT5_lili,"axG",@progbits,_ZL38rocblas_trsm_small_left_device_sharedBILi20ELi20ELb1EffPKfPfEv13rocblas_fill_18rocblas_operation_17rocblas_diagonal_iiT3_T4_lilT5_lili,comdat
	.globl	_ZL38rocblas_trsm_small_left_device_sharedBILi20ELi20ELb1EffPKfPfEv13rocblas_fill_18rocblas_operation_17rocblas_diagonal_iiT3_T4_lilT5_lili ; -- Begin function _ZL38rocblas_trsm_small_left_device_sharedBILi20ELi20ELb1EffPKfPfEv13rocblas_fill_18rocblas_operation_17rocblas_diagonal_iiT3_T4_lilT5_lili
	.p2align	8
	.type	_ZL38rocblas_trsm_small_left_device_sharedBILi20ELi20ELb1EffPKfPfEv13rocblas_fill_18rocblas_operation_17rocblas_diagonal_iiT3_T4_lilT5_lili,@function
_ZL38rocblas_trsm_small_left_device_sharedBILi20ELi20ELb1EffPKfPfEv13rocblas_fill_18rocblas_operation_17rocblas_diagonal_iiT3_T4_lilT5_lili: ; @_ZL38rocblas_trsm_small_left_device_sharedBILi20ELi20ELb1EffPKfPfEv13rocblas_fill_18rocblas_operation_17rocblas_diagonal_iiT3_T4_lilT5_lili
; %bb.0:
	s_load_dwordx4 s[8:11], s[4:5], 0x4
	s_load_dword s18, s[4:5], 0x14
	s_load_dwordx4 s[0:3], s[4:5], 0x30
	s_load_dwordx2 s[16:17], s[4:5], 0x40
	s_mov_b32 s27, 0
	s_waitcnt lgkmcnt(0)
	s_min_i32 s26, s10, 20
	v_cmp_gt_i32_e32 vcc, s26, v0
	s_and_saveexec_b64 s[20:21], vcc
	s_cbranch_execz .LBB23_15
; %bb.1:
	s_load_dword s22, s[4:5], 0x28
	s_load_dwordx4 s[12:15], s[4:5], 0x18
	s_cmp_gt_u32 s26, 1
	s_cselect_b64 s[24:25], -1, 0
	s_mov_b32 s19, 1
	s_waitcnt lgkmcnt(0)
	s_cmp_eq_u32 s22, 1
	s_cselect_b64 s[28:29], -1, 0
	s_and_b64 s[28:29], s[24:25], s[28:29]
	s_mov_b64 s[24:25], -1
	s_and_b64 vcc, exec, s[28:29]
	s_cbranch_vccz .LBB23_9
; %bb.2:
	s_add_i32 s24, s26, -2
	s_lshr_b32 s25, s24, 1
	s_add_i32 s25, s25, 1
	s_mov_b32 s23, 0
	s_cmp_lt_u32 s24, 14
	s_mov_b32 s24, s23
	s_cbranch_scc1 .LBB23_5
; %bb.3:
	s_mul_i32 s19, s1, s7
	s_mul_hi_u32 s23, s0, s7
	s_add_i32 s29, s23, s19
	s_mul_i32 s28, s0, s7
	s_and_b32 s27, s25, -8
	s_lshl_b64 s[28:29], s[28:29], 2
	s_lshl_b64 s[30:31], s[14:15], 2
	s_add_u32 s19, s28, s30
	s_addc_u32 s23, s29, s31
	s_add_u32 s19, s12, s19
	v_lshlrev_b32_e32 v1, 2, v0
	s_addc_u32 s23, s13, s23
	v_mov_b32_e32 v2, s23
	v_add_co_u32_e32 v1, vcc, s19, v1
	v_addc_co_u32_e32 v3, vcc, 0, v2, vcc
	v_add_co_u32_e32 v2, vcc, 56, v1
	v_addc_co_u32_e32 v3, vcc, 0, v3, vcc
	s_mov_b32 s19, 1
	s_mov_b32 s24, 0
	;; [unrolled: 1-line block ×3, first 2 shown]
.LBB23_4:                               ; =>This Inner Loop Header: Depth=1
	global_load_dwordx4 v[4:7], v[2:3], off offset:-56
	global_load_dwordx4 v[8:11], v[2:3], off offset:-40
	;; [unrolled: 1-line block ×4, first 2 shown]
	s_mul_i32 s28, s19, 20
	s_mul_i32 s29, s23, 20
	s_add_i32 s24, s24, 16
	s_add_i32 s19, s19, 16
	;; [unrolled: 1-line block ×3, first 2 shown]
	s_add_i32 s27, s27, -8
	v_add_co_u32_e32 v2, vcc, 64, v2
	v_add_lshl_u32 v1, s29, v0, 2
	v_add_lshl_u32 v20, s28, v0, 2
	s_add_i32 s30, s28, 40
	s_add_i32 s31, s29, 40
	;; [unrolled: 1-line block ×12, first 2 shown]
	s_addk_i32 s28, 0x118
	s_addk_i32 s29, 0x118
	v_addc_co_u32_e32 v3, vcc, 0, v3, vcc
	s_cmp_lg_u32 s27, 0
	v_add_lshl_u32 v21, s31, v0, 2
	v_add_lshl_u32 v22, s30, v0, 2
	;; [unrolled: 1-line block ×14, first 2 shown]
	s_waitcnt vmcnt(3)
	ds_write_b32 v1, v4
	ds_write_b32 v20, v5
	ds_write_b32 v21, v6
	ds_write_b32 v22, v7
	s_waitcnt vmcnt(2)
	ds_write_b32 v23, v8
	ds_write_b32 v24, v9
	ds_write_b32 v25, v10
	ds_write_b32 v26, v11
	;; [unrolled: 5-line block ×4, first 2 shown]
	s_cbranch_scc1 .LBB23_4
.LBB23_5:
	s_and_b32 s27, s25, 7
	s_cmp_eq_u32 s27, 0
	s_mov_b32 s25, 0
	s_cbranch_scc1 .LBB23_8
; %bb.6:
	s_mul_i32 s28, s1, s7
	s_mul_hi_u32 s29, s0, s7
	s_add_i32 s29, s29, s28
	s_mul_i32 s28, s0, s7
	s_lshl_b64 s[28:29], s[28:29], 2
	s_lshl_b64 s[30:31], s[14:15], 2
	s_add_u32 s28, s28, s30
	s_addc_u32 s29, s29, s31
	s_lshl_b64 s[24:25], s[24:25], 2
	s_add_u32 s24, s12, s24
	s_addc_u32 s25, s13, s25
	s_add_u32 s24, s24, s28
	v_lshlrev_b32_e32 v1, 2, v0
	s_addc_u32 s25, s25, s29
	v_mov_b32_e32 v3, s25
	v_add_co_u32_e32 v2, vcc, s24, v1
	v_addc_co_u32_e32 v3, vcc, 0, v3, vcc
	s_lshl_b32 s24, s27, 3
.LBB23_7:                               ; =>This Inner Loop Header: Depth=1
	global_load_dwordx2 v[4:5], v[2:3], off
	s_mul_i32 s25, s19, 20
	s_mul_i32 s27, s23, 20
	s_add_i32 s19, s19, 2
	s_add_i32 s23, s23, 2
	v_add_co_u32_e32 v2, vcc, 8, v2
	s_add_i32 s24, s24, -8
	v_addc_co_u32_e32 v3, vcc, 0, v3, vcc
	v_add_lshl_u32 v1, s27, v0, 2
	s_cmp_lg_u32 s24, 0
	v_add_lshl_u32 v6, s25, v0, 2
	s_waitcnt vmcnt(0)
	ds_write_b32 v1, v4
	ds_write_b32 v6, v5
	s_cbranch_scc1 .LBB23_7
.LBB23_8:
	s_and_b32 s27, s26, -2
	s_cmp_lg_u32 s26, s27
	s_cselect_b64 s[24:25], -1, 0
.LBB23_9:
	s_and_b64 vcc, exec, s[24:25]
	s_cbranch_vccz .LBB23_12
; %bb.10:
	s_ashr_i32 s23, s22, 31
	s_mul_i32 s1, s1, s7
	s_mul_hi_u32 s19, s0, s7
	s_add_i32 s1, s19, s1
	s_mul_hi_u32 s19, s22, s27
	s_mul_i32 s24, s23, s27
	s_mul_i32 s0, s0, s7
	s_add_i32 s25, s19, s24
	s_mul_i32 s24, s22, s27
	s_lshl_b64 s[0:1], s[0:1], 2
	s_lshl_b64 s[24:25], s[24:25], 2
	s_add_u32 s19, s0, s24
	s_addc_u32 s24, s1, s25
	s_lshl_b64 s[0:1], s[14:15], 2
	s_add_u32 s0, s19, s0
	s_addc_u32 s1, s24, s1
	s_add_u32 s0, s12, s0
	v_lshlrev_b32_e32 v1, 2, v0
	s_addc_u32 s1, s13, s1
	v_mov_b32_e32 v3, s1
	v_add_co_u32_e32 v2, vcc, s0, v1
	s_lshl_b64 s[0:1], s[22:23], 2
	s_mul_i32 s13, s27, 0x50
	v_addc_co_u32_e32 v3, vcc, 0, v3, vcc
	s_sub_i32 s12, s26, s27
	v_lshl_add_u32 v1, v0, 2, s13
	v_mov_b32_e32 v4, s1
.LBB23_11:                              ; =>This Inner Loop Header: Depth=1
	global_load_dword v5, v[2:3], off
	v_add_co_u32_e32 v2, vcc, s0, v2
	s_add_i32 s12, s12, -1
	v_addc_co_u32_e32 v3, vcc, v3, v4, vcc
	s_cmp_eq_u32 s12, 0
	s_waitcnt vmcnt(0)
	ds_write_b32 v1, v5
	v_add_u32_e32 v1, 0x50, v1
	s_cbranch_scc0 .LBB23_11
.LBB23_12:
	v_mul_u32_u24_e32 v1, 21, v0
	s_cmpk_lg_i32 s9, 0x84
	v_lshlrev_b32_e32 v1, 2, v1
	v_mov_b32_e32 v2, 1.0
	s_cbranch_scc0 .LBB23_14
; %bb.13:
	ds_read_b32 v2, v1
	s_waitcnt lgkmcnt(0)
	v_div_scale_f32 v3, s[0:1], v2, v2, 1.0
	v_rcp_f32_e32 v4, v3
	v_div_scale_f32 v5, vcc, 1.0, v2, 1.0
	v_fma_f32 v6, -v3, v4, 1.0
	v_fmac_f32_e32 v4, v6, v4
	v_mul_f32_e32 v6, v5, v4
	v_fma_f32 v7, -v3, v6, v5
	v_fmac_f32_e32 v6, v7, v4
	v_fma_f32 v3, -v3, v6, v5
	v_div_fmas_f32 v3, v3, v4, v6
	v_div_fixup_f32 v2, v3, v2, 1.0
.LBB23_14:
	ds_write_b32 v1, v2
.LBB23_15:
	s_or_b64 exec, exec, s[20:21]
	s_load_dword s9, s[4:5], 0x60
	s_load_dword s22, s[4:5], 0x48
	s_load_dwordx2 s[0:1], s[4:5], 0x50
	s_mul_i32 s4, s6, 0xffffffec
	s_add_i32 s4, s4, s11
	s_waitcnt lgkmcnt(0)
	s_add_i32 s9, s9, -1
	s_ashr_i32 s11, s22, 31
	s_cmp_ge_u32 s6, s9
	s_cselect_b32 s9, s4, 20
	s_mul_i32 s4, s6, 20
	s_ashr_i32 s5, s4, 31
	s_cmp_gt_i32 s10, 0
	v_cmp_gt_i32_e32 vcc, s9, v0
	s_cselect_b64 s[12:13], -1, 0
	s_mov_b32 s9, 0
	s_and_b64 s[12:13], vcc, s[12:13]
	s_and_saveexec_b64 s[14:15], s[12:13]
	s_cbranch_execz .LBB23_27
; %bb.16:
	s_cmp_lt_i32 s10, 2
	s_mov_b64 s[20:21], -1
	s_cbranch_scc1 .LBB23_24
; %bb.17:
	s_add_i32 s20, s26, -2
	s_lshr_b32 s21, s20, 1
	s_add_i32 s21, s21, 1
	s_mov_b32 s19, s18
	s_mov_b32 s6, 1
	s_cmp_lt_u32 s20, 14
	s_mov_b32 s20, s9
	s_cbranch_scc1 .LBB23_20
; %bb.18:
	s_mul_i32 s9, s1, s7
	s_mul_hi_u32 s20, s0, s7
	s_add_i32 s25, s20, s9
	s_mul_i32 s24, s0, s7
	s_lshl_b64 s[28:29], s[4:5], 2
	v_lshlrev_b32_e32 v1, 2, v0
	s_and_b32 s23, s21, -8
	s_lshl_b64 s[24:25], s[24:25], 2
	v_mov_b32_e32 v2, s29
	v_add_co_u32_e32 v1, vcc, s28, v1
	s_lshl_b64 s[28:29], s[16:17], 2
	s_add_u32 s9, s2, s28
	s_addc_u32 s20, s3, s29
	s_add_u32 s24, s9, s24
	s_addc_u32 s25, s20, s25
	v_addc_co_u32_e32 v4, vcc, 0, v2, vcc
	v_pk_mov_b32 v[2:3], s[24:25], s[24:25] op_sel:[0,1]
	v_mad_u64_u32 v[2:3], s[24:25], v1, s22, v[2:3]
	v_mul_lo_u32 v1, v1, s11
	v_mul_lo_u32 v4, v4, s22
	v_add3_u32 v1, v4, v3, v1
	v_add_co_u32_e32 v2, vcc, 56, v2
	v_addc_co_u32_e32 v3, vcc, 0, v1, vcc
	s_mov_b32 s20, 0
	s_mov_b32 s9, 0
.LBB23_19:                              ; =>This Inner Loop Header: Depth=1
	global_load_dwordx4 v[4:7], v[2:3], off offset:-56
	global_load_dwordx4 v[8:11], v[2:3], off offset:-40
	;; [unrolled: 1-line block ×4, first 2 shown]
	s_mul_i32 s24, s6, 20
	s_mul_i32 s25, s9, 20
	s_add_i32 s20, s20, 16
	s_add_i32 s6, s6, 16
	;; [unrolled: 1-line block ×3, first 2 shown]
	s_add_i32 s23, s23, -8
	v_add_co_u32_e32 v2, vcc, 64, v2
	v_add_lshl_u32 v1, s25, v0, 2
	v_add_lshl_u32 v20, s24, v0, 2
	s_add_i32 s27, s24, 40
	s_add_i32 s28, s25, 40
	;; [unrolled: 1-line block ×12, first 2 shown]
	s_addk_i32 s24, 0x118
	s_addk_i32 s25, 0x118
	v_addc_co_u32_e32 v3, vcc, 0, v3, vcc
	s_cmp_lg_u32 s23, 0
	v_add_lshl_u32 v21, s28, v0, 2
	v_add_lshl_u32 v22, s27, v0, 2
	;; [unrolled: 1-line block ×14, first 2 shown]
	s_waitcnt vmcnt(3)
	v_pk_mul_f32 v[4:5], v[4:5], s[18:19]
	v_pk_mul_f32 v[6:7], v[6:7], s[18:19]
	s_waitcnt vmcnt(2)
	v_pk_mul_f32 v[8:9], v[8:9], s[18:19]
	v_pk_mul_f32 v[10:11], v[10:11], s[18:19]
	;; [unrolled: 3-line block ×4, first 2 shown]
	ds_write_b32 v1, v4 offset:1600
	ds_write_b32 v20, v5 offset:1600
	;; [unrolled: 1-line block ×16, first 2 shown]
	s_cbranch_scc1 .LBB23_19
.LBB23_20:
	s_and_b32 s23, s21, 7
	s_cmp_eq_u32 s23, 0
	s_mov_b32 s21, 0
	s_cbranch_scc1 .LBB23_23
; %bb.21:
	s_mul_i32 s24, s1, s7
	s_mul_hi_u32 s25, s0, s7
	s_add_i32 s25, s25, s24
	s_mul_i32 s24, s0, s7
	s_lshl_b64 s[28:29], s[4:5], 2
	v_lshlrev_b32_e32 v1, 2, v0
	s_lshl_b64 s[24:25], s[24:25], 2
	v_mov_b32_e32 v2, s29
	v_add_co_u32_e32 v1, vcc, s28, v1
	s_lshl_b64 s[28:29], s[16:17], 2
	s_lshl_b64 s[20:21], s[20:21], 2
	s_add_u32 s20, s2, s20
	s_addc_u32 s21, s3, s21
	s_add_u32 s20, s20, s28
	s_addc_u32 s21, s21, s29
	;; [unrolled: 2-line block ×3, first 2 shown]
	v_addc_co_u32_e32 v4, vcc, 0, v2, vcc
	v_pk_mov_b32 v[2:3], s[20:21], s[20:21] op_sel:[0,1]
	v_mad_u64_u32 v[2:3], s[20:21], v1, s22, v[2:3]
	v_mul_lo_u32 v1, v1, s11
	v_mul_lo_u32 v4, v4, s22
	v_add3_u32 v3, v4, v3, v1
	s_lshl_b32 s20, s23, 3
.LBB23_22:                              ; =>This Inner Loop Header: Depth=1
	global_load_dwordx2 v[4:5], v[2:3], off
	s_mul_i32 s21, s6, 20
	s_mul_i32 s23, s9, 20
	s_add_i32 s6, s6, 2
	s_add_i32 s9, s9, 2
	v_add_co_u32_e32 v2, vcc, 8, v2
	s_add_i32 s20, s20, -8
	v_addc_co_u32_e32 v3, vcc, 0, v3, vcc
	v_add_lshl_u32 v1, s23, v0, 2
	s_cmp_lg_u32 s20, 0
	v_add_lshl_u32 v6, s21, v0, 2
	s_waitcnt vmcnt(0)
	v_pk_mul_f32 v[4:5], v[4:5], s[18:19]
	ds_write_b32 v1, v4 offset:1600
	ds_write_b32 v6, v5 offset:1600
	s_cbranch_scc1 .LBB23_22
.LBB23_23:
	s_and_b32 s9, s26, 30
	s_cmp_lg_u32 s26, s9
	s_cselect_b64 s[20:21], -1, 0
.LBB23_24:
	s_and_b64 vcc, exec, s[20:21]
	s_cbranch_vccz .LBB23_27
; %bb.25:
	s_mul_i32 s19, s9, 0x50
	v_lshl_add_u32 v1, v0, 2, s19
	s_mul_i32 s19, s1, s7
	s_mul_hi_u32 s20, s0, s7
	s_add_i32 s21, s20, s19
	s_mul_i32 s20, s0, s7
	s_lshl_b64 s[24:25], s[4:5], 2
	v_lshlrev_b32_e32 v2, 2, v0
	s_sub_i32 s6, s26, s9
	s_lshl_b64 s[20:21], s[20:21], 2
	v_mov_b32_e32 v3, s25
	v_add_co_u32_e32 v4, vcc, s24, v2
	s_lshl_b64 s[24:25], s[16:17], 2
	s_lshl_b32 s9, s9, 2
	s_add_u32 s9, s2, s9
	s_addc_u32 s19, s3, 0
	s_add_u32 s9, s9, s24
	s_addc_u32 s19, s19, s25
	;; [unrolled: 2-line block ×3, first 2 shown]
	v_addc_co_u32_e32 v5, vcc, 0, v3, vcc
	v_pk_mov_b32 v[2:3], s[20:21], s[20:21] op_sel:[0,1]
	v_mad_u64_u32 v[2:3], s[20:21], v4, s22, v[2:3]
	v_mul_lo_u32 v4, v4, s11
	v_mul_lo_u32 v5, v5, s22
	v_add_u32_e32 v1, 0x640, v1
	v_add3_u32 v3, v5, v3, v4
.LBB23_26:                              ; =>This Inner Loop Header: Depth=1
	global_load_dword v4, v[2:3], off
	s_add_i32 s6, s6, -1
	v_add_co_u32_e32 v2, vcc, 4, v2
	v_addc_co_u32_e32 v3, vcc, 0, v3, vcc
	s_cmp_lg_u32 s6, 0
	s_waitcnt vmcnt(0)
	v_mul_f32_e32 v4, s18, v4
	ds_write_b32 v1, v4
	v_add_u32_e32 v1, 0x50, v1
	s_cbranch_scc1 .LBB23_26
.LBB23_27:
	s_or_b64 exec, exec, s[14:15]
	s_cmpk_eq_i32 s8, 0x6f
	s_mov_b64 s[8:9], -1
	s_waitcnt lgkmcnt(0)
	; wave barrier
	s_waitcnt lgkmcnt(0)
	s_cbranch_scc1 .LBB23_50
; %bb.28:
	s_add_i32 s6, s26, -1
	s_cmp_gt_i32 s10, 19
	s_mov_b32 s8, s6
	s_cbranch_scc0 .LBB23_30
; %bb.29:
	s_mul_i32 s8, s6, 20
	s_mul_i32 s27, s26, 20
	v_add_lshl_u32 v1, s8, v0, 2
	s_sub_i32 s8, s27, 40
	s_sub_i32 s29, s27, 60
	s_add_i32 s28, s27, 0xffffff4c
	s_add_i32 s15, s27, 0xfffffeac
	v_add_lshl_u32 v8, s8, v0, 2
	v_add_lshl_u32 v11, s29, v0, 2
	s_add_i32 s30, s27, 0xffffffb0
	s_add_i32 s31, s27, 0xffffff9c
	;; [unrolled: 1-line block ×5, first 2 shown]
	v_add_lshl_u32 v34, s28, v0, 2
	s_add_i32 s25, s27, 0xffffff38
	s_add_i32 s18, s27, 0xffffff24
	;; [unrolled: 1-line block ×7, first 2 shown]
	v_add_lshl_u32 v13, s15, v0, 2
	s_add_i32 s14, s27, 0xfffffe98
	s_add_i32 s9, s27, 0xfffffe84
	;; [unrolled: 1-line block ×3, first 2 shown]
	s_sub_i32 s36, s27, 20
	s_mul_i32 s27, s6, 0x54
	s_add_i32 s29, s29, s6
	v_add_lshl_u32 v12, s30, v0, 2
	v_add_lshl_u32 v14, s31, v0, 2
	;; [unrolled: 1-line block ×5, first 2 shown]
	ds_read_b32 v4, v1 offset:1600
	ds_read_b32 v5, v8 offset:1600
	;; [unrolled: 1-line block ×8, first 2 shown]
	v_add_lshl_u32 v35, s25, v0, 2
	v_add_lshl_u32 v36, s18, v0, 2
	;; [unrolled: 1-line block ×7, first 2 shown]
	ds_read_b32 v40, v34 offset:1600
	ds_read_b32 v41, v35 offset:1600
	ds_read_b32 v42, v36 offset:1600
	ds_read_b32 v43, v37 offset:1600
	ds_read_b32 v44, v38 offset:1600
	ds_read_b32 v45, v39 offset:1600
	ds_read_b32 v46, v20 offset:1600
	ds_read_b32 v21, v17 offset:1600
	v_add_lshl_u32 v9, s14, v0, 2
	v_add_lshl_u32 v2, s9, v0, 2
	;; [unrolled: 1-line block ×3, first 2 shown]
	v_mov_b32_e32 v6, s27
	s_add_i32 s37, s27, 0xffffffac
	ds_read_b32 v19, v13 offset:1600
	ds_read_b32 v15, v9 offset:1600
	;; [unrolled: 1-line block ×4, first 2 shown]
	ds_read_b32 v23, v6
	s_lshl_b32 s29, s29, 2
	v_mov_b32_e32 v7, s37
	v_mov_b32_e32 v24, s29
	ds_read2_b32 v[6:7], v7 offset1:1
	ds_read_b32 v24, v24
	s_waitcnt lgkmcnt(2)
	v_mul_f32_e32 v4, v23, v4
	s_add_i32 s29, s27, 0xffffff58
	s_add_i32 s30, s30, s6
	s_waitcnt lgkmcnt(1)
	v_fma_f32 v5, -v4, v7, v5
	v_mul_f32_e32 v5, v6, v5
	v_mov_b32_e32 v6, s29
	s_lshl_b32 s29, s30, 2
	s_add_i32 s29, s29, -4
	ds_write_b32 v8, v5 offset:1600
	s_waitcnt lgkmcnt(1)
	v_fma_f32 v8, -v4, v24, v22
	v_mov_b32_e32 v22, s29
	s_add_i32 s29, s27, 0xffffff04
	s_add_i32 s31, s31, s6
	ds_read2_b32 v[6:7], v6 offset1:1
	v_add_lshl_u32 v23, s36, v0, 2
	v_mov_b32_e32 v24, s29
	s_lshl_b32 s29, s31, 2
	ds_write_b32 v23, v4 offset:1600
	v_mov_b32_e32 v28, s29
	ds_read2_b32 v[22:23], v22 offset1:1
	ds_read2_b32 v[24:25], v24 offset1:1
	ds_read_b32 v28, v28
	s_waitcnt lgkmcnt(4)
	v_fma_f32 v7, -v5, v7, v8
	v_mul_f32_e32 v6, v6, v7
	s_waitcnt lgkmcnt(2)
	v_fma_f32 v7, -v4, v23, v26
	v_fma_f32 v7, -v5, v22, v7
	s_add_i32 s29, s29, -8
	ds_write_b32 v11, v6 offset:1600
	s_waitcnt lgkmcnt(2)
	v_fma_f32 v7, -v6, v25, v7
	v_mov_b32_e32 v11, s29
	v_mul_f32_e32 v7, v24, v7
	s_add_i32 s29, s27, 0xfffffeb0
	s_add_i32 s33, s33, s6
	ds_read2_b32 v[22:23], v11 offset1:1
	ds_write_b32 v12, v7 offset:1600
	v_mov_b32_e32 v12, s29
	s_lshl_b32 s29, s33, 2
	s_add_i32 s30, s29, -4
	v_mov_b32_e32 v26, s30
	s_add_i32 s29, s29, -12
	s_waitcnt lgkmcnt(3)
	v_fma_f32 v8, -v4, v28, v27
	v_mov_b32_e32 v11, s29
	ds_read2_b32 v[24:25], v12 offset1:1
	ds_read2_b32 v[26:27], v26 offset1:1
	;; [unrolled: 1-line block ×3, first 2 shown]
	s_waitcnt lgkmcnt(4)
	v_fma_f32 v8, -v5, v23, v8
	v_fma_f32 v8, -v6, v22, v8
	s_add_i32 s29, s27, 0xfffffe5c
	s_add_i32 s34, s34, s6
	s_waitcnt lgkmcnt(2)
	v_fma_f32 v8, -v7, v25, v8
	v_mov_b32_e32 v12, s29
	s_lshl_b32 s29, s34, 2
	v_mul_f32_e32 v8, v24, v8
	s_waitcnt lgkmcnt(1)
	v_fma_f32 v11, -v4, v27, v31
	s_add_i32 s30, s29, -4
	ds_write_b32 v14, v8 offset:1600
	v_fma_f32 v11, -v5, v26, v11
	v_mov_b32_e32 v14, s30
	s_add_i32 s30, s29, -12
	s_waitcnt lgkmcnt(1)
	v_fma_f32 v11, -v6, v29, v11
	v_mov_b32_e32 v26, s30
	s_sub_i32 s29, s29, 20
	v_fma_f32 v11, -v7, v28, v11
	ds_read2_b32 v[22:23], v12 offset1:1
	v_mov_b32_e32 v12, s29
	ds_read2_b32 v[24:25], v14 offset1:1
	ds_read2_b32 v[26:27], v26 offset1:1
	;; [unrolled: 1-line block ×3, first 2 shown]
	s_add_i32 s29, s27, 0xfffffe08
	v_mov_b32_e32 v14, s29
	s_waitcnt lgkmcnt(2)
	v_fma_f32 v12, -v4, v25, v32
	v_fma_f32 v12, -v5, v24, v12
	ds_read_b32 v14, v14
	s_waitcnt lgkmcnt(2)
	v_fma_f32 v12, -v6, v27, v12
	v_fma_f32 v11, -v8, v23, v11
	;; [unrolled: 1-line block ×3, first 2 shown]
	v_mul_f32_e32 v11, v22, v11
	s_waitcnt lgkmcnt(1)
	v_fma_f32 v12, -v8, v29, v12
	v_fma_f32 v12, -v11, v28, v12
	s_add_i32 s35, s35, s6
	s_waitcnt lgkmcnt(0)
	v_mul_f32_e32 v12, v14, v12
	s_lshl_b32 s29, s35, 2
	ds_write_b32 v16, v11 offset:1600
	ds_write_b32 v18, v12 offset:1600
	v_mov_b32_e32 v14, s29
	s_add_i32 s30, s29, -8
	v_mov_b32_e32 v16, s30
	ds_read_b32 v14, v14
	ds_read2_b32 v[22:23], v16 offset1:1
	s_add_i32 s30, s29, -16
	v_mov_b32_e32 v18, s30
	s_sub_i32 s29, s29, 24
	v_mov_b32_e32 v16, s29
	ds_read2_b32 v[24:25], v18 offset1:1
	ds_read2_b32 v[26:27], v16 offset1:1
	s_waitcnt lgkmcnt(3)
	v_fma_f32 v14, -v4, v14, v33
	s_add_i32 s29, s27, 0xfffffdb4
	s_waitcnt lgkmcnt(2)
	v_fma_f32 v14, -v5, v23, v14
	v_mov_b32_e32 v16, s29
	v_fma_f32 v14, -v6, v22, v14
	ds_read_b32 v16, v16
	s_waitcnt lgkmcnt(2)
	v_fma_f32 v14, -v7, v25, v14
	v_fma_f32 v14, -v8, v24, v14
	s_add_i32 s28, s28, s6
	s_waitcnt lgkmcnt(1)
	v_fma_f32 v14, -v11, v27, v14
	s_lshl_b32 s28, s28, 2
	v_fma_f32 v14, -v12, v26, v14
	s_add_i32 s29, s28, -4
	s_waitcnt lgkmcnt(0)
	v_mul_f32_e32 v14, v16, v14
	v_mov_b32_e32 v16, s29
	ds_read2_b32 v[22:23], v16 offset1:1
	s_add_i32 s29, s28, -12
	v_mov_b32_e32 v18, s29
	s_sub_i32 s29, s28, 20
	ds_write_b32 v30, v14 offset:1600
	v_mov_b32_e32 v26, s29
	s_sub_i32 s28, s28, 28
	v_mov_b32_e32 v16, s28
	ds_read2_b32 v[24:25], v18 offset1:1
	ds_read2_b32 v[26:27], v26 offset1:1
	;; [unrolled: 1-line block ×3, first 2 shown]
	s_waitcnt lgkmcnt(4)
	v_fma_f32 v16, -v4, v23, v40
	v_fma_f32 v16, -v5, v22, v16
	s_add_i32 s28, s27, 0xfffffd60
	s_waitcnt lgkmcnt(2)
	v_fma_f32 v16, -v6, v25, v16
	v_mov_b32_e32 v18, s28
	v_fma_f32 v16, -v7, v24, v16
	ds_read_b32 v18, v18
	s_waitcnt lgkmcnt(2)
	v_fma_f32 v16, -v8, v27, v16
	v_fma_f32 v16, -v11, v26, v16
	s_waitcnt lgkmcnt(1)
	v_fma_f32 v16, -v12, v29, v16
	s_add_i32 s25, s25, s6
	v_fma_f32 v16, -v14, v28, v16
	s_lshl_b32 s25, s25, 2
	s_waitcnt lgkmcnt(0)
	v_mul_f32_e32 v16, v18, v16
	s_add_i32 s28, s25, -8
	ds_write_b32 v34, v16 offset:1600
	v_mov_b32_e32 v18, s25
	v_mov_b32_e32 v22, s28
	s_add_i32 s28, s25, -16
	ds_read_b32 v18, v18
	ds_read2_b32 v[22:23], v22 offset1:1
	v_mov_b32_e32 v24, s28
	s_sub_i32 s28, s25, 24
	v_mov_b32_e32 v26, s28
	ds_read2_b32 v[24:25], v24 offset1:1
	ds_read2_b32 v[26:27], v26 offset1:1
	s_waitcnt lgkmcnt(3)
	v_fma_f32 v18, -v4, v18, v41
	s_waitcnt lgkmcnt(2)
	v_fma_f32 v18, -v5, v23, v18
	s_sub_i32 s25, s25, 32
	v_fma_f32 v18, -v6, v22, v18
	v_mov_b32_e32 v22, s25
	s_waitcnt lgkmcnt(1)
	v_fma_f32 v18, -v7, v25, v18
	ds_read2_b32 v[22:23], v22 offset1:1
	s_add_i32 s25, s27, 0xfffffd0c
	v_fma_f32 v18, -v8, v24, v18
	v_mov_b32_e32 v24, s25
	ds_read_b32 v24, v24
	s_waitcnt lgkmcnt(2)
	v_fma_f32 v18, -v11, v27, v18
	v_fma_f32 v18, -v12, v26, v18
	s_waitcnt lgkmcnt(1)
	v_fma_f32 v18, -v14, v23, v18
	s_add_i32 s18, s18, s6
	v_fma_f32 v18, -v16, v22, v18
	s_lshl_b32 s18, s18, 2
	s_waitcnt lgkmcnt(0)
	v_mul_f32_e32 v18, v24, v18
	s_add_i32 s25, s18, -8
	ds_write_b32 v35, v18 offset:1600
	v_mov_b32_e32 v22, s18
	v_mov_b32_e32 v23, s25
	s_add_i32 s25, s18, -16
	ds_read_b32 v28, v22
	ds_read2_b32 v[22:23], v23 offset1:1
	v_mov_b32_e32 v24, s25
	s_sub_i32 s25, s18, 24
	v_mov_b32_e32 v26, s25
	ds_read2_b32 v[24:25], v24 offset1:1
	ds_read2_b32 v[26:27], v26 offset1:1
	s_waitcnt lgkmcnt(3)
	v_fma_f32 v28, -v4, v28, v42
	s_waitcnt lgkmcnt(2)
	v_fma_f32 v23, -v5, v23, v28
	v_fma_f32 v22, -v6, v22, v23
	s_waitcnt lgkmcnt(1)
	v_fma_f32 v22, -v7, v25, v22
	;; [unrolled: 3-line block ×3, first 2 shown]
	s_sub_i32 s18, s18, 32
	v_fma_f32 v30, -v12, v26, v22
	v_mov_b32_e32 v22, s18
	s_mul_i32 s18, s26, 0x54
	s_add_i32 s24, s24, s6
	s_add_i32 s25, s18, 0xfffffc64
	s_lshl_b32 s24, s24, 2
	ds_read2_b32 v[22:23], v22 offset1:1
	v_mov_b32_e32 v24, s25
	s_add_i32 s25, s24, -4
	v_mov_b32_e32 v26, s25
	s_add_i32 s25, s24, -12
	v_mov_b32_e32 v28, s25
	ds_read2_b32 v[24:25], v24 offset1:1
	ds_read2_b32 v[26:27], v26 offset1:1
	;; [unrolled: 1-line block ×3, first 2 shown]
	s_waitcnt lgkmcnt(3)
	v_fma_f32 v23, -v14, v23, v30
	v_fma_f32 v22, -v16, v22, v23
	s_waitcnt lgkmcnt(2)
	v_fma_f32 v22, -v18, v25, v22
	s_sub_i32 s25, s24, 20
	v_mul_f32_e32 v22, v24, v22
	s_waitcnt lgkmcnt(1)
	v_fma_f32 v23, -v4, v27, v43
	v_mov_b32_e32 v24, s25
	v_fma_f32 v23, -v5, v26, v23
	ds_read2_b32 v[24:25], v24 offset1:1
	s_waitcnt lgkmcnt(1)
	v_fma_f32 v23, -v6, v29, v23
	s_sub_i32 s25, s24, 28
	s_sub_i32 s24, s24, 36
	v_fma_f32 v23, -v7, v28, v23
	v_mov_b32_e32 v28, s24
	s_add_i32 s24, s18, 0xfffffc10
	ds_write_b32 v36, v22 offset:1600
	v_mov_b32_e32 v26, s25
	v_mov_b32_e32 v30, s24
	ds_read2_b32 v[26:27], v26 offset1:1
	ds_read2_b32 v[28:29], v28 offset1:1
	;; [unrolled: 1-line block ×3, first 2 shown]
	s_waitcnt lgkmcnt(4)
	v_fma_f32 v23, -v8, v25, v23
	v_fma_f32 v23, -v11, v24, v23
	s_waitcnt lgkmcnt(2)
	v_fma_f32 v23, -v12, v27, v23
	v_fma_f32 v23, -v14, v26, v23
	;; [unrolled: 3-line block ×3, first 2 shown]
	s_add_i32 s23, s23, s6
	s_waitcnt lgkmcnt(0)
	v_fma_f32 v23, -v22, v31, v23
	s_lshl_b32 s23, s23, 2
	v_mul_f32_e32 v23, v30, v23
	s_add_i32 s24, s23, -8
	ds_write_b32 v37, v23 offset:1600
	v_mov_b32_e32 v24, s23
	v_mov_b32_e32 v25, s24
	s_add_i32 s24, s23, -16
	ds_read_b32 v30, v24
	ds_read2_b32 v[24:25], v25 offset1:1
	v_mov_b32_e32 v26, s24
	s_sub_i32 s24, s23, 24
	v_mov_b32_e32 v28, s24
	ds_read2_b32 v[26:27], v26 offset1:1
	ds_read2_b32 v[28:29], v28 offset1:1
	s_waitcnt lgkmcnt(3)
	v_fma_f32 v30, -v4, v30, v44
	s_waitcnt lgkmcnt(2)
	v_fma_f32 v25, -v5, v25, v30
	v_fma_f32 v24, -v6, v24, v25
	s_waitcnt lgkmcnt(1)
	v_fma_f32 v24, -v7, v27, v24
	;; [unrolled: 3-line block ×3, first 2 shown]
	s_sub_i32 s24, s23, 32
	v_fma_f32 v32, -v12, v28, v24
	v_mov_b32_e32 v24, s24
	s_sub_i32 s23, s23, 40
	s_add_i32 s21, s21, s6
	ds_read2_b32 v[24:25], v24 offset1:1
	v_mov_b32_e32 v26, s23
	s_add_i32 s23, s18, 0xfffffbbc
	s_lshl_b32 s21, s21, 2
	v_mov_b32_e32 v28, s23
	s_add_i32 s23, s21, -4
	v_mov_b32_e32 v30, s23
	ds_read2_b32 v[26:27], v26 offset1:1
	ds_read2_b32 v[28:29], v28 offset1:1
	;; [unrolled: 1-line block ×3, first 2 shown]
	s_waitcnt lgkmcnt(3)
	v_fma_f32 v25, -v14, v25, v32
	v_fma_f32 v24, -v16, v24, v25
	s_waitcnt lgkmcnt(2)
	v_fma_f32 v24, -v18, v27, v24
	v_fma_f32 v24, -v22, v26, v24
	s_waitcnt lgkmcnt(1)
	v_fma_f32 v24, -v23, v29, v24
	v_mul_f32_e32 v32, v28, v24
	s_waitcnt lgkmcnt(0)
	v_fma_f32 v24, -v4, v31, v45
	s_add_i32 s23, s21, -12
	v_fma_f32 v33, -v5, v30, v24
	v_mov_b32_e32 v24, s23
	s_sub_i32 s23, s21, 20
	ds_read2_b32 v[24:25], v24 offset1:1
	v_mov_b32_e32 v26, s23
	s_sub_i32 s23, s21, 28
	v_mov_b32_e32 v28, s23
	s_sub_i32 s23, s21, 36
	ds_write_b32 v38, v32 offset:1600
	v_mov_b32_e32 v30, s23
	ds_read2_b32 v[26:27], v26 offset1:1
	ds_read2_b32 v[28:29], v28 offset1:1
	;; [unrolled: 1-line block ×3, first 2 shown]
	s_waitcnt lgkmcnt(4)
	v_fma_f32 v25, -v6, v25, v33
	v_fma_f32 v24, -v7, v24, v25
	s_waitcnt lgkmcnt(2)
	v_fma_f32 v24, -v8, v27, v24
	v_fma_f32 v24, -v11, v26, v24
	s_waitcnt lgkmcnt(1)
	v_fma_f32 v24, -v12, v29, v24
	v_fma_f32 v24, -v14, v28, v24
	s_waitcnt lgkmcnt(0)
	v_fma_f32 v24, -v16, v31, v24
	s_sub_i32 s21, s21, 44
	v_fma_f32 v30, -v18, v30, v24
	v_mov_b32_e32 v24, s21
	s_add_i32 s20, s20, s6
	ds_read2_b32 v[24:25], v24 offset1:1
	s_add_i32 s21, s18, 0xfffffb68
	s_lshl_b32 s20, s20, 2
	v_mov_b32_e32 v26, s21
	s_add_i32 s21, s20, -8
	v_mov_b32_e32 v28, s20
	v_mov_b32_e32 v29, s21
	ds_read2_b32 v[26:27], v26 offset1:1
	ds_read_b32 v31, v28
	ds_read2_b32 v[28:29], v29 offset1:1
	s_waitcnt lgkmcnt(3)
	v_fma_f32 v25, -v22, v25, v30
	v_fma_f32 v24, -v23, v24, v25
	s_waitcnt lgkmcnt(2)
	v_fma_f32 v24, -v32, v27, v24
	v_mul_f32_e32 v33, v26, v24
	s_waitcnt lgkmcnt(1)
	v_fma_f32 v24, -v4, v31, v46
	s_waitcnt lgkmcnt(0)
	v_fma_f32 v24, -v5, v29, v24
	s_add_i32 s21, s20, -16
	v_fma_f32 v34, -v6, v28, v24
	v_mov_b32_e32 v24, s21
	s_sub_i32 s21, s20, 24
	ds_read2_b32 v[24:25], v24 offset1:1
	v_mov_b32_e32 v26, s21
	s_sub_i32 s21, s20, 32
	v_mov_b32_e32 v28, s21
	s_sub_i32 s21, s20, 40
	ds_write_b32 v39, v33 offset:1600
	v_mov_b32_e32 v30, s21
	ds_read2_b32 v[26:27], v26 offset1:1
	ds_read2_b32 v[28:29], v28 offset1:1
	;; [unrolled: 1-line block ×3, first 2 shown]
	s_waitcnt lgkmcnt(4)
	v_fma_f32 v25, -v7, v25, v34
	v_fma_f32 v24, -v8, v24, v25
	s_waitcnt lgkmcnt(2)
	v_fma_f32 v24, -v11, v27, v24
	v_fma_f32 v24, -v12, v26, v24
	;; [unrolled: 3-line block ×3, first 2 shown]
	s_waitcnt lgkmcnt(0)
	v_fma_f32 v24, -v18, v31, v24
	s_sub_i32 s20, s20, 48
	v_fma_f32 v34, -v22, v30, v24
	v_mov_b32_e32 v24, s20
	s_add_i32 s19, s19, s6
	s_add_i32 s20, s18, 0xfffffb14
	s_lshl_b32 s19, s19, 2
	ds_read2_b32 v[24:25], v24 offset1:1
	v_mov_b32_e32 v26, s20
	s_add_i32 s20, s19, -4
	v_mov_b32_e32 v28, s20
	s_add_i32 s20, s19, -12
	v_mov_b32_e32 v30, s20
	ds_read2_b32 v[26:27], v26 offset1:1
	ds_read2_b32 v[28:29], v28 offset1:1
	ds_read2_b32 v[30:31], v30 offset1:1
	s_waitcnt lgkmcnt(3)
	v_fma_f32 v25, -v23, v25, v34
	v_fma_f32 v24, -v32, v24, v25
	s_waitcnt lgkmcnt(2)
	v_fma_f32 v24, -v33, v27, v24
	v_mul_f32_e32 v34, v26, v24
	ds_write_b32 v20, v34 offset:1600
	s_waitcnt lgkmcnt(2)
	v_fma_f32 v20, -v4, v29, v21
	v_fma_f32 v20, -v5, v28, v20
	s_waitcnt lgkmcnt(1)
	v_fma_f32 v20, -v6, v31, v20
	s_sub_i32 s20, s19, 20
	v_fma_f32 v30, -v7, v30, v20
	v_mov_b32_e32 v20, s20
	s_sub_i32 s20, s19, 28
	ds_read2_b32 v[20:21], v20 offset1:1
	v_mov_b32_e32 v24, s20
	s_sub_i32 s20, s19, 36
	v_mov_b32_e32 v26, s20
	s_sub_i32 s20, s19, 44
	v_mov_b32_e32 v28, s20
	ds_read2_b32 v[24:25], v24 offset1:1
	ds_read2_b32 v[26:27], v26 offset1:1
	;; [unrolled: 1-line block ×3, first 2 shown]
	s_waitcnt lgkmcnt(3)
	v_fma_f32 v21, -v8, v21, v30
	v_fma_f32 v20, -v11, v20, v21
	s_waitcnt lgkmcnt(2)
	v_fma_f32 v20, -v12, v25, v20
	v_fma_f32 v20, -v14, v24, v20
	;; [unrolled: 3-line block ×3, first 2 shown]
	s_waitcnt lgkmcnt(0)
	v_fma_f32 v20, -v22, v29, v20
	s_sub_i32 s19, s19, 52
	v_fma_f32 v28, -v23, v28, v20
	v_mov_b32_e32 v20, s19
	s_add_i32 s15, s15, s6
	ds_read2_b32 v[20:21], v20 offset1:1
	s_add_i32 s19, s18, 0xfffffac0
	s_lshl_b32 s15, s15, 2
	v_mov_b32_e32 v24, s19
	s_add_i32 s19, s15, -8
	v_mov_b32_e32 v26, s15
	v_mov_b32_e32 v27, s19
	ds_read2_b32 v[24:25], v24 offset1:1
	ds_read_b32 v29, v26
	ds_read2_b32 v[26:27], v27 offset1:1
	s_waitcnt lgkmcnt(3)
	v_fma_f32 v21, -v32, v21, v28
	v_fma_f32 v20, -v33, v20, v21
	s_waitcnt lgkmcnt(2)
	v_fma_f32 v20, -v34, v25, v20
	v_mul_f32_e32 v30, v24, v20
	s_add_i32 s19, s15, -16
	ds_write_b32 v17, v30 offset:1600
	s_waitcnt lgkmcnt(2)
	v_fma_f32 v17, -v4, v29, v19
	v_mov_b32_e32 v19, s19
	ds_read2_b32 v[20:21], v19 offset1:1
	s_sub_i32 s19, s15, 24
	s_waitcnt lgkmcnt(2)
	v_fma_f32 v17, -v5, v27, v17
	v_mov_b32_e32 v24, s19
	s_sub_i32 s19, s15, 32
	v_fma_f32 v17, -v6, v26, v17
	v_mov_b32_e32 v26, s19
	s_sub_i32 s19, s15, 40
	v_mov_b32_e32 v19, s19
	ds_read2_b32 v[24:25], v24 offset1:1
	ds_read2_b32 v[26:27], v26 offset1:1
	;; [unrolled: 1-line block ×3, first 2 shown]
	s_waitcnt lgkmcnt(3)
	v_fma_f32 v17, -v7, v21, v17
	v_fma_f32 v17, -v8, v20, v17
	s_sub_i32 s19, s15, 48
	s_waitcnt lgkmcnt(2)
	v_fma_f32 v17, -v11, v25, v17
	v_mov_b32_e32 v19, s19
	v_fma_f32 v17, -v12, v24, v17
	ds_read2_b32 v[20:21], v19 offset1:1
	s_waitcnt lgkmcnt(2)
	v_fma_f32 v17, -v14, v27, v17
	s_sub_i32 s15, s15, 56
	s_add_i32 s14, s14, s6
	v_fma_f32 v17, -v16, v26, v17
	v_mov_b32_e32 v24, s15
	s_add_i32 s15, s18, 0xfffffa6c
	s_lshl_b32 s14, s14, 2
	s_waitcnt lgkmcnt(1)
	v_fma_f32 v17, -v18, v29, v17
	v_mov_b32_e32 v26, s15
	s_add_i32 s15, s14, -4
	v_fma_f32 v17, -v22, v28, v17
	v_mov_b32_e32 v19, s15
	ds_read2_b32 v[24:25], v24 offset1:1
	ds_read2_b32 v[26:27], v26 offset1:1
	;; [unrolled: 1-line block ×3, first 2 shown]
	s_waitcnt lgkmcnt(3)
	v_fma_f32 v17, -v23, v21, v17
	v_fma_f32 v17, -v32, v20, v17
	s_waitcnt lgkmcnt(2)
	v_fma_f32 v17, -v33, v25, v17
	v_fma_f32 v17, -v34, v24, v17
	s_waitcnt lgkmcnt(1)
	v_fma_f32 v17, -v30, v27, v17
	v_mul_f32_e32 v17, v26, v17
	s_add_i32 s15, s14, -12
	ds_write_b32 v13, v17 offset:1600
	s_waitcnt lgkmcnt(1)
	v_fma_f32 v13, -v4, v29, v15
	v_mov_b32_e32 v15, s15
	ds_read2_b32 v[20:21], v15 offset1:1
	s_sub_i32 s15, s14, 20
	v_mov_b32_e32 v19, s15
	s_sub_i32 s15, s14, 28
	v_mov_b32_e32 v26, s15
	s_sub_i32 s15, s14, 36
	v_fma_f32 v13, -v5, v28, v13
	v_mov_b32_e32 v15, s15
	ds_read2_b32 v[24:25], v19 offset1:1
	ds_read2_b32 v[26:27], v26 offset1:1
	;; [unrolled: 1-line block ×3, first 2 shown]
	s_waitcnt lgkmcnt(3)
	v_fma_f32 v13, -v6, v21, v13
	v_fma_f32 v13, -v7, v20, v13
	s_sub_i32 s15, s14, 44
	s_waitcnt lgkmcnt(2)
	v_fma_f32 v13, -v8, v25, v13
	v_mov_b32_e32 v15, s15
	v_fma_f32 v13, -v11, v24, v13
	ds_read2_b32 v[20:21], v15 offset1:1
	s_waitcnt lgkmcnt(2)
	v_fma_f32 v13, -v12, v27, v13
	v_fma_f32 v13, -v14, v26, v13
	s_sub_i32 s15, s14, 52
	s_sub_i32 s14, s14, 60
	s_waitcnt lgkmcnt(1)
	v_fma_f32 v13, -v16, v29, v13
	v_mov_b32_e32 v19, s15
	v_mov_b32_e32 v26, s14
	s_add_i32 s14, s18, 0xfffffa18
	v_fma_f32 v13, -v18, v28, v13
	v_mov_b32_e32 v15, s14
	ds_read2_b32 v[24:25], v19 offset1:1
	ds_read2_b32 v[26:27], v26 offset1:1
	ds_read2_b32 v[28:29], v15 offset1:1
	s_waitcnt lgkmcnt(3)
	v_fma_f32 v13, -v22, v21, v13
	v_fma_f32 v13, -v23, v20, v13
	s_waitcnt lgkmcnt(2)
	v_fma_f32 v13, -v32, v25, v13
	v_fma_f32 v13, -v33, v24, v13
	;; [unrolled: 3-line block ×3, first 2 shown]
	s_waitcnt lgkmcnt(0)
	v_fma_f32 v13, -v17, v29, v13
	s_add_i32 s9, s9, s6
	v_mul_f32_e32 v13, v28, v13
	s_lshl_b32 s9, s9, 2
	ds_write_b32 v9, v13 offset:1600
	v_mov_b32_e32 v9, s9
	s_add_i32 s14, s9, -8
	v_mov_b32_e32 v15, s14
	ds_read_b32 v9, v9
	ds_read2_b32 v[20:21], v15 offset1:1
	s_add_i32 s14, s9, -16
	v_mov_b32_e32 v19, s14
	s_sub_i32 s14, s9, 24
	v_mov_b32_e32 v15, s14
	ds_read2_b32 v[24:25], v19 offset1:1
	ds_read2_b32 v[26:27], v15 offset1:1
	s_waitcnt lgkmcnt(3)
	v_fma_f32 v9, -v4, v9, v10
	s_sub_i32 s14, s9, 32
	s_waitcnt lgkmcnt(2)
	v_fma_f32 v9, -v5, v21, v9
	v_mov_b32_e32 v10, s14
	v_fma_f32 v9, -v6, v20, v9
	ds_read2_b32 v[20:21], v10 offset1:1
	s_waitcnt lgkmcnt(2)
	v_fma_f32 v9, -v7, v25, v9
	s_sub_i32 s14, s9, 40
	v_fma_f32 v9, -v8, v24, v9
	v_mov_b32_e32 v15, s14
	s_sub_i32 s14, s9, 48
	s_waitcnt lgkmcnt(1)
	v_fma_f32 v9, -v11, v27, v9
	v_mov_b32_e32 v19, s14
	s_sub_i32 s14, s9, 56
	v_fma_f32 v9, -v12, v26, v9
	v_mov_b32_e32 v10, s14
	ds_read2_b32 v[24:25], v15 offset1:1
	ds_read2_b32 v[26:27], v19 offset1:1
	;; [unrolled: 1-line block ×3, first 2 shown]
	s_waitcnt lgkmcnt(3)
	v_fma_f32 v9, -v14, v21, v9
	v_fma_f32 v9, -v16, v20, v9
	s_sub_i32 s9, s9, 64
	s_waitcnt lgkmcnt(2)
	v_fma_f32 v9, -v18, v25, v9
	v_mov_b32_e32 v10, s9
	v_fma_f32 v9, -v22, v24, v9
	s_add_i32 s8, s8, s6
	ds_read2_b32 v[20:21], v10 offset1:1
	s_waitcnt lgkmcnt(2)
	v_fma_f32 v9, -v23, v27, v9
	s_add_i32 s9, s18, 0xfffff9c4
	s_lshl_b32 s8, s8, 2
	v_fma_f32 v9, -v32, v26, v9
	v_mov_b32_e32 v15, s9
	s_add_i32 s9, s8, -4
	s_waitcnt lgkmcnt(1)
	v_fma_f32 v9, -v33, v29, v9
	v_mov_b32_e32 v19, s9
	s_add_i32 s9, s8, -12
	v_fma_f32 v9, -v34, v28, v9
	v_mov_b32_e32 v10, s9
	ds_read2_b32 v[24:25], v15 offset1:1
	ds_read2_b32 v[26:27], v19 offset1:1
	;; [unrolled: 1-line block ×3, first 2 shown]
	s_waitcnt lgkmcnt(3)
	v_fma_f32 v9, -v30, v21, v9
	v_fma_f32 v9, -v17, v20, v9
	s_waitcnt lgkmcnt(2)
	v_fma_f32 v9, -v13, v25, v9
	v_mul_f32_e32 v10, v24, v9
	ds_write_b32 v2, v10 offset:1600
	s_waitcnt lgkmcnt(2)
	v_fma_f32 v2, -v4, v27, v3
	v_fma_f32 v2, -v5, v26, v2
	s_waitcnt lgkmcnt(1)
	v_fma_f32 v2, -v6, v29, v2
	s_sub_i32 s9, s8, 20
	v_fma_f32 v9, -v7, v28, v2
	v_mov_b32_e32 v2, s9
	ds_read2_b32 v[2:3], v2 offset1:1
	s_sub_i32 s9, s8, 28
	v_mov_b32_e32 v4, s9
	s_sub_i32 s9, s8, 36
	v_mov_b32_e32 v6, s9
	;; [unrolled: 2-line block ×3, first 2 shown]
	ds_read2_b32 v[4:5], v4 offset1:1
	ds_read2_b32 v[6:7], v6 offset1:1
	;; [unrolled: 1-line block ×3, first 2 shown]
	s_waitcnt lgkmcnt(3)
	v_fma_f32 v3, -v8, v3, v9
	v_fma_f32 v2, -v11, v2, v3
	s_waitcnt lgkmcnt(2)
	v_fma_f32 v2, -v12, v5, v2
	v_fma_f32 v2, -v14, v4, v2
	;; [unrolled: 3-line block ×3, first 2 shown]
	s_waitcnt lgkmcnt(0)
	v_fma_f32 v2, -v22, v21, v2
	s_sub_i32 s9, s8, 52
	v_fma_f32 v11, -v23, v20, v2
	v_mov_b32_e32 v2, s9
	ds_read2_b32 v[2:3], v2 offset1:1
	s_sub_i32 s9, s8, 60
	s_addk_i32 s8, 0xffbc
	v_mov_b32_e32 v6, s8
	s_add_i32 s8, s18, 0xfffff970
	v_mov_b32_e32 v4, s9
	v_mov_b32_e32 v8, s8
	ds_read2_b32 v[4:5], v4 offset1:1
	ds_read2_b32 v[6:7], v6 offset1:1
	ds_read2_b32 v[8:9], v8 offset1:1
	s_waitcnt lgkmcnt(3)
	v_fma_f32 v3, -v32, v3, v11
	v_fma_f32 v2, -v33, v2, v3
	s_waitcnt lgkmcnt(2)
	v_fma_f32 v2, -v34, v5, v2
	v_fma_f32 v2, -v30, v4, v2
	;; [unrolled: 3-line block ×3, first 2 shown]
	s_waitcnt lgkmcnt(0)
	v_fma_f32 v2, -v10, v9, v2
	v_mul_f32_e32 v2, v8, v2
	s_sub_i32 s8, s26, 21
	ds_write_b32 v1, v2 offset:1600
.LBB23_30:
	s_cmp_gt_i32 s8, -1
	s_cbranch_scc0 .LBB23_49
; %bb.31:
	s_cmp_lt_u32 s8, 15
	s_cbranch_scc1 .LBB23_36
; %bb.32:
	s_mul_i32 s9, s8, 20
	s_sub_i32 s14, s9, 40
	v_add_lshl_u32 v1, s14, v0, 2
	s_sub_i32 s14, s9, 60
	v_add_lshl_u32 v2, s14, v0, 2
	s_add_i32 s14, s9, 0xffffffb0
	v_add_lshl_u32 v3, s14, v0, 2
	s_add_i32 s14, s9, 0xffffff9c
	;; [unrolled: 2-line block ×4, first 2 shown]
	v_add_lshl_u32 v22, s9, v0, 2
	s_sub_i32 s21, s9, 20
	v_add_lshl_u32 v6, s14, v0, 2
	s_add_i32 s14, s9, 0xffffff60
	v_add_lshl_u32 v23, s21, v0, 2
	ds_read_b32 v21, v22 offset:1600
	ds_read_b32 v20, v23 offset:1600
	;; [unrolled: 1-line block ×8, first 2 shown]
	v_add_lshl_u32 v3, s14, v0, 2
	s_add_i32 s14, s9, 0xffffff4c
	v_add_lshl_u32 v5, s14, v0, 2
	s_add_i32 s14, s9, 0xffffff38
	;; [unrolled: 2-line block ×3, first 2 shown]
	s_add_i32 s19, s9, 0xffffff10
	s_add_i32 s15, s9, 0xfffffefc
	;; [unrolled: 1-line block ×3, first 2 shown]
	s_addk_i32 s9, 0xfed4
	v_add_lshl_u32 v9, s20, v0, 2
	v_add_lshl_u32 v6, s19, v0, 2
	;; [unrolled: 1-line block ×5, first 2 shown]
	ds_read_b32 v13, v3 offset:1600
	ds_read_b32 v12, v5 offset:1600
	;; [unrolled: 1-line block ×8, first 2 shown]
	s_cmp_le_i32 s6, s8
	s_cbranch_scc1 .LBB23_35
; %bb.33:
	s_mul_i32 s18, s8, 0x50
	s_lshl_b32 s23, s26, 2
	s_add_i32 s18, s18, s23
	s_mul_i32 s23, s26, 0x50
	v_lshl_add_u32 v24, v0, 2, s23
	s_addk_i32 s18, 0xfb4c
	v_add_u32_e32 v24, 0x5f0, v24
	s_mov_b32 s23, s6
.LBB23_34:                              ; =>This Inner Loop Header: Depth=1
	v_mov_b32_e32 v36, s18
	v_add_u32_e32 v38, 0x400, v36
	v_add_u32_e32 v40, 0x200, v36
	ds_read_b32 v25, v24
	ds_read2_b32 v[26:27], v36 offset0:200 offset1:220
	ds_read2_b32 v[28:29], v36 offset0:160 offset1:180
	;; [unrolled: 1-line block ×5, first 2 shown]
	ds_read2_b32 v[36:37], v36 offset1:20
	ds_read2_b32 v[38:39], v38 offset0:24 offset1:44
	ds_read2_b32 v[40:41], v40 offset0:112 offset1:132
	s_add_i32 s23, s23, -1
	s_add_i32 s18, s18, -4
	v_add_u32_e32 v24, 0xffffffb0, v24
	s_cmp_gt_i32 s23, s8
	s_waitcnt lgkmcnt(7)
	v_fma_f32 v17, -v25, v27, v17
	v_fma_f32 v16, -v25, v26, v16
	s_waitcnt lgkmcnt(6)
	v_fma_f32 v15, -v25, v29, v15
	v_fma_f32 v14, -v25, v28, v14
	;; [unrolled: 3-line block ×8, first 2 shown]
	s_cbranch_scc1 .LBB23_34
.LBB23_35:
	s_mul_i32 s18, s8, 0x54
	s_add_i32 s23, s18, 0xffffffac
	v_mov_b32_e32 v25, s23
	s_sub_i32 s23, s21, 20
	v_add_u32_e32 v24, 0x640, v22
	v_add_u32_e32 v22, 0x640, v23
	v_mov_b32_e32 v23, s18
	s_add_i32 s24, s23, s8
	s_lshl_b32 s24, s24, 2
	ds_read_b32 v23, v23
	v_mov_b32_e32 v28, s24
	s_add_i32 s24, s18, 0xffffff58
	v_mov_b32_e32 v29, s24
	ds_read2_b32 v[26:27], v25 offset1:1
	ds_read_b32 v25, v28
	ds_read2_b32 v[28:29], v29 offset1:1
	s_waitcnt lgkmcnt(3)
	v_mul_f32_e32 v30, v23, v21
	ds_write_b32 v24, v30
	s_waitcnt lgkmcnt(3)
	v_fma_f32 v20, -v30, v27, v20
	v_mul_f32_e32 v26, v26, v20
	s_waitcnt lgkmcnt(2)
	v_fma_f32 v19, -v30, v25, v19
	s_waitcnt lgkmcnt(1)
	v_fma_f32 v19, -v26, v29, v19
	v_mul_f32_e32 v27, v28, v19
	v_add_lshl_u32 v19, s23, v0, 2
	s_sub_i32 s23, s21, 40
	s_add_i32 s24, s23, s8
	s_lshl_b32 s24, s24, 2
	s_add_i32 s24, s24, -4
	ds_write_b32 v19, v27 offset:1600
	v_mov_b32_e32 v19, s24
	s_add_i32 s24, s18, 0xffffff04
	ds_write_b32 v22, v26
	v_mov_b32_e32 v22, s24
	s_sub_i32 s24, s21, 60
	ds_read2_b32 v[20:21], v19 offset1:1
	s_add_i32 s25, s24, s8
	s_lshl_b32 s25, s25, 2
	v_mov_b32_e32 v24, s25
	s_add_i32 s25, s25, -8
	v_mov_b32_e32 v19, s25
	ds_read2_b32 v[22:23], v22 offset1:1
	ds_read_b32 v28, v24
	ds_read2_b32 v[24:25], v19 offset1:1
	s_waitcnt lgkmcnt(3)
	v_fma_f32 v18, -v30, v21, v18
	v_fma_f32 v18, -v26, v20, v18
	s_waitcnt lgkmcnt(2)
	v_fma_f32 v18, -v27, v23, v18
	v_mul_f32_e32 v29, v22, v18
	v_add_lshl_u32 v18, s23, v0, 2
	s_add_i32 s23, s18, 0xfffffeb0
	ds_write_b32 v18, v29 offset:1600
	v_mov_b32_e32 v18, s23
	s_add_i32 s23, s21, 0xffffffb0
	s_add_i32 s25, s23, s8
	s_lshl_b32 s25, s25, 2
	s_waitcnt lgkmcnt(2)
	v_fma_f32 v17, -v30, v28, v17
	s_add_i32 s27, s25, -4
	s_add_i32 s25, s25, -12
	s_waitcnt lgkmcnt(1)
	v_fma_f32 v17, -v26, v25, v17
	v_mov_b32_e32 v22, s25
	s_add_i32 s25, s18, 0xfffffe5c
	v_fma_f32 v17, -v27, v24, v17
	v_mov_b32_e32 v20, s27
	v_mov_b32_e32 v24, s25
	ds_read2_b32 v[18:19], v18 offset1:1
	ds_read2_b32 v[20:21], v20 offset1:1
	;; [unrolled: 1-line block ×4, first 2 shown]
	s_add_i32 s20, s20, s8
	s_lshl_b32 s20, s20, 2
	s_waitcnt lgkmcnt(2)
	v_fma_f32 v16, -v30, v21, v16
	v_fma_f32 v16, -v26, v20, v16
	;; [unrolled: 1-line block ×3, first 2 shown]
	s_waitcnt lgkmcnt(1)
	v_fma_f32 v16, -v27, v23, v16
	v_mul_f32_e32 v28, v18, v17
	v_fma_f32 v16, -v29, v22, v16
	s_waitcnt lgkmcnt(0)
	v_fma_f32 v16, -v28, v25, v16
	v_mul_f32_e32 v22, v24, v16
	v_add_lshl_u32 v16, s23, v0, 2
	s_add_i32 s23, s21, 0xffffff9c
	v_add_lshl_u32 v17, s24, v0, 2
	s_add_i32 s24, s23, s8
	s_lshl_b32 s24, s24, 2
	s_add_i32 s25, s24, -4
	ds_write_b32 v16, v22 offset:1600
	v_mov_b32_e32 v16, s25
	ds_write_b32 v17, v28 offset:1600
	ds_read2_b32 v[16:17], v16 offset1:1
	s_add_i32 s25, s24, -12
	s_sub_i32 s24, s24, 20
	v_mov_b32_e32 v18, s25
	v_mov_b32_e32 v20, s24
	ds_read2_b32 v[18:19], v18 offset1:1
	ds_read2_b32 v[20:21], v20 offset1:1
	s_waitcnt lgkmcnt(2)
	v_fma_f32 v15, -v30, v17, v15
	s_add_i32 s24, s18, 0xfffffe08
	v_fma_f32 v15, -v26, v16, v15
	v_mov_b32_e32 v16, s24
	ds_read_b32 v16, v16
	s_waitcnt lgkmcnt(2)
	v_fma_f32 v15, -v27, v19, v15
	v_fma_f32 v15, -v29, v18, v15
	s_waitcnt lgkmcnt(1)
	v_fma_f32 v15, -v28, v21, v15
	v_fma_f32 v15, -v22, v20, v15
	s_waitcnt lgkmcnt(0)
	v_mul_f32_e32 v23, v16, v15
	v_add_lshl_u32 v15, s23, v0, 2
	s_add_i32 s23, s21, 0xffffff88
	s_add_i32 s24, s23, s8
	s_lshl_b32 s24, s24, 2
	s_add_i32 s25, s24, -8
	ds_write_b32 v15, v23 offset:1600
	v_mov_b32_e32 v15, s24
	v_mov_b32_e32 v16, s25
	ds_read_b32 v15, v15
	ds_read2_b32 v[16:17], v16 offset1:1
	s_add_i32 s25, s24, -16
	s_sub_i32 s24, s24, 24
	v_mov_b32_e32 v18, s25
	v_mov_b32_e32 v20, s24
	ds_read2_b32 v[18:19], v18 offset1:1
	ds_read2_b32 v[20:21], v20 offset1:1
	s_waitcnt lgkmcnt(3)
	v_fma_f32 v14, -v30, v15, v14
	s_add_i32 s24, s18, 0xfffffdb4
	s_waitcnt lgkmcnt(2)
	v_fma_f32 v14, -v26, v17, v14
	v_mov_b32_e32 v15, s24
	v_fma_f32 v14, -v27, v16, v14
	ds_read_b32 v15, v15
	s_waitcnt lgkmcnt(2)
	v_fma_f32 v14, -v29, v19, v14
	v_fma_f32 v14, -v28, v18, v14
	s_waitcnt lgkmcnt(1)
	v_fma_f32 v14, -v22, v21, v14
	v_fma_f32 v14, -v23, v20, v14
	s_waitcnt lgkmcnt(0)
	v_mul_f32_e32 v24, v15, v14
	v_add_lshl_u32 v14, s23, v0, 2
	s_add_i32 s23, s21, 0xffffff74
	s_add_i32 s24, s23, s8
	s_lshl_b32 s24, s24, 2
	s_add_i32 s25, s24, -4
	ds_write_b32 v14, v24 offset:1600
	v_mov_b32_e32 v14, s25
	ds_read2_b32 v[14:15], v14 offset1:1
	s_add_i32 s25, s24, -12
	v_mov_b32_e32 v16, s25
	s_sub_i32 s25, s24, 20
	s_sub_i32 s24, s24, 28
	v_mov_b32_e32 v18, s25
	v_mov_b32_e32 v20, s24
	ds_read2_b32 v[16:17], v16 offset1:1
	ds_read2_b32 v[18:19], v18 offset1:1
	;; [unrolled: 1-line block ×3, first 2 shown]
	s_waitcnt lgkmcnt(3)
	v_fma_f32 v13, -v30, v15, v13
	v_fma_f32 v13, -v26, v14, v13
	s_add_i32 s24, s18, 0xfffffd60
	s_waitcnt lgkmcnt(2)
	v_fma_f32 v13, -v27, v17, v13
	v_mov_b32_e32 v14, s24
	v_fma_f32 v13, -v29, v16, v13
	ds_read_b32 v14, v14
	s_waitcnt lgkmcnt(2)
	v_fma_f32 v13, -v28, v19, v13
	v_fma_f32 v13, -v22, v18, v13
	s_waitcnt lgkmcnt(1)
	v_fma_f32 v13, -v23, v21, v13
	v_fma_f32 v13, -v24, v20, v13
	s_waitcnt lgkmcnt(0)
	v_mul_f32_e32 v20, v14, v13
	v_add_lshl_u32 v13, s23, v0, 2
	s_add_i32 s23, s21, 0xffffff60
	s_add_i32 s24, s23, s8
	s_lshl_b32 s24, s24, 2
	s_add_i32 s25, s24, -8
	ds_write_b32 v13, v20 offset:1600
	v_mov_b32_e32 v13, s24
	v_mov_b32_e32 v14, s25
	s_add_i32 s25, s24, -16
	ds_read_b32 v13, v13
	ds_read2_b32 v[14:15], v14 offset1:1
	v_mov_b32_e32 v16, s25
	s_sub_i32 s25, s24, 24
	v_mov_b32_e32 v18, s25
	ds_read2_b32 v[16:17], v16 offset1:1
	ds_read2_b32 v[18:19], v18 offset1:1
	s_waitcnt lgkmcnt(3)
	v_fma_f32 v12, -v30, v13, v12
	s_waitcnt lgkmcnt(2)
	v_fma_f32 v12, -v26, v15, v12
	v_fma_f32 v12, -v27, v14, v12
	s_waitcnt lgkmcnt(1)
	v_fma_f32 v12, -v29, v17, v12
	s_sub_i32 s24, s24, 32
	v_fma_f32 v14, -v28, v16, v12
	v_mov_b32_e32 v12, s24
	ds_read2_b32 v[12:13], v12 offset1:1
	s_add_i32 s24, s18, 0xfffffd0c
	v_mov_b32_e32 v15, s24
	ds_read_b32 v15, v15
	s_waitcnt lgkmcnt(2)
	v_fma_f32 v14, -v22, v19, v14
	v_fma_f32 v14, -v23, v18, v14
	s_waitcnt lgkmcnt(1)
	v_fma_f32 v13, -v24, v13, v14
	v_fma_f32 v12, -v20, v12, v13
	s_addk_i32 s21, 0xff4c
	s_waitcnt lgkmcnt(0)
	v_mul_f32_e32 v21, v15, v12
	v_add_lshl_u32 v12, s23, v0, 2
	s_add_i32 s23, s21, s8
	s_lshl_b32 s23, s23, 2
	s_add_i32 s24, s23, -8
	ds_write_b32 v12, v21 offset:1600
	v_mov_b32_e32 v12, s23
	v_mov_b32_e32 v13, s24
	s_add_i32 s24, s23, -16
	ds_read_b32 v18, v12
	ds_read2_b32 v[12:13], v13 offset1:1
	v_mov_b32_e32 v14, s24
	s_sub_i32 s24, s23, 24
	v_mov_b32_e32 v16, s24
	ds_read2_b32 v[14:15], v14 offset1:1
	ds_read2_b32 v[16:17], v16 offset1:1
	s_waitcnt lgkmcnt(3)
	v_fma_f32 v11, -v30, v18, v11
	s_waitcnt lgkmcnt(2)
	v_fma_f32 v11, -v26, v13, v11
	v_fma_f32 v11, -v27, v12, v11
	s_waitcnt lgkmcnt(1)
	v_fma_f32 v11, -v29, v15, v11
	s_sub_i32 s23, s23, 32
	v_fma_f32 v11, -v28, v14, v11
	v_mov_b32_e32 v12, s23
	s_add_i32 s23, s18, 0xfffffcb8
	s_waitcnt lgkmcnt(0)
	v_fma_f32 v11, -v22, v17, v11
	v_mov_b32_e32 v14, s23
	s_add_i32 s23, s20, -4
	v_fma_f32 v11, -v23, v16, v11
	v_mov_b32_e32 v16, s23
	s_add_i32 s23, s20, -12
	ds_read2_b32 v[12:13], v12 offset1:1
	v_mov_b32_e32 v18, s23
	ds_read2_b32 v[14:15], v14 offset1:1
	ds_read2_b32 v[16:17], v16 offset1:1
	;; [unrolled: 1-line block ×3, first 2 shown]
	s_add_i32 s19, s19, s8
	s_lshl_b32 s19, s19, 2
	s_waitcnt lgkmcnt(3)
	v_fma_f32 v11, -v24, v13, v11
	v_fma_f32 v11, -v20, v12, v11
	s_waitcnt lgkmcnt(1)
	v_fma_f32 v10, -v30, v17, v10
	v_fma_f32 v11, -v21, v15, v11
	;; [unrolled: 1-line block ×3, first 2 shown]
	v_mul_f32_e32 v25, v14, v11
	v_add_lshl_u32 v11, s21, v0, 2
	s_waitcnt lgkmcnt(0)
	v_fma_f32 v10, -v27, v19, v10
	s_sub_i32 s21, s20, 20
	v_fma_f32 v18, -v29, v18, v10
	v_mov_b32_e32 v10, s21
	ds_write_b32 v11, v25 offset:1600
	ds_read2_b32 v[10:11], v10 offset1:1
	s_sub_i32 s21, s20, 28
	s_sub_i32 s20, s20, 36
	v_mov_b32_e32 v14, s20
	s_add_i32 s20, s18, 0xfffffc64
	v_mov_b32_e32 v12, s21
	v_mov_b32_e32 v16, s20
	ds_read2_b32 v[12:13], v12 offset1:1
	ds_read2_b32 v[14:15], v14 offset1:1
	;; [unrolled: 1-line block ×3, first 2 shown]
	s_waitcnt lgkmcnt(3)
	v_fma_f32 v11, -v28, v11, v18
	v_fma_f32 v10, -v22, v10, v11
	s_waitcnt lgkmcnt(2)
	v_fma_f32 v10, -v23, v13, v10
	v_fma_f32 v10, -v24, v12, v10
	;; [unrolled: 3-line block ×3, first 2 shown]
	s_waitcnt lgkmcnt(0)
	v_fma_f32 v10, -v25, v17, v10
	v_mul_f32_e32 v16, v16, v10
	s_add_i32 s20, s19, -8
	ds_write_b32 v9, v16 offset:1600
	v_mov_b32_e32 v9, s19
	v_mov_b32_e32 v10, s20
	s_add_i32 s20, s19, -16
	ds_read_b32 v9, v9
	ds_read2_b32 v[10:11], v10 offset1:1
	v_mov_b32_e32 v12, s20
	s_sub_i32 s20, s19, 24
	v_mov_b32_e32 v14, s20
	ds_read2_b32 v[12:13], v12 offset1:1
	ds_read2_b32 v[14:15], v14 offset1:1
	s_waitcnt lgkmcnt(3)
	v_fma_f32 v8, -v30, v9, v8
	s_waitcnt lgkmcnt(2)
	v_fma_f32 v8, -v26, v11, v8
	v_fma_f32 v8, -v27, v10, v8
	s_waitcnt lgkmcnt(1)
	v_fma_f32 v8, -v29, v13, v8
	v_fma_f32 v8, -v28, v12, v8
	s_waitcnt lgkmcnt(0)
	v_fma_f32 v8, -v22, v15, v8
	s_sub_i32 s20, s19, 32
	v_fma_f32 v17, -v23, v14, v8
	v_mov_b32_e32 v8, s20
	s_sub_i32 s19, s19, 40
	s_add_i32 s15, s15, s8
	ds_read2_b32 v[8:9], v8 offset1:1
	v_mov_b32_e32 v10, s19
	s_add_i32 s19, s18, 0xfffffc10
	s_lshl_b32 s15, s15, 2
	v_mov_b32_e32 v12, s19
	s_add_i32 s19, s15, -4
	v_mov_b32_e32 v14, s19
	ds_read2_b32 v[10:11], v10 offset1:1
	ds_read2_b32 v[12:13], v12 offset1:1
	;; [unrolled: 1-line block ×3, first 2 shown]
	s_waitcnt lgkmcnt(3)
	v_fma_f32 v9, -v24, v9, v17
	v_fma_f32 v8, -v20, v8, v9
	s_waitcnt lgkmcnt(2)
	v_fma_f32 v8, -v21, v11, v8
	v_fma_f32 v8, -v25, v10, v8
	s_waitcnt lgkmcnt(1)
	v_fma_f32 v8, -v16, v13, v8
	v_mul_f32_e32 v17, v12, v8
	ds_write_b32 v6, v17 offset:1600
	s_waitcnt lgkmcnt(1)
	v_fma_f32 v6, -v30, v15, v7
	s_add_i32 s19, s15, -12
	v_fma_f32 v14, -v26, v14, v6
	v_mov_b32_e32 v6, s19
	s_sub_i32 s19, s15, 20
	ds_read2_b32 v[6:7], v6 offset1:1
	v_mov_b32_e32 v8, s19
	s_sub_i32 s19, s15, 28
	v_mov_b32_e32 v10, s19
	s_sub_i32 s19, s15, 36
	v_mov_b32_e32 v12, s19
	ds_read2_b32 v[8:9], v8 offset1:1
	ds_read2_b32 v[10:11], v10 offset1:1
	;; [unrolled: 1-line block ×3, first 2 shown]
	s_waitcnt lgkmcnt(3)
	v_fma_f32 v7, -v27, v7, v14
	v_fma_f32 v6, -v29, v6, v7
	s_waitcnt lgkmcnt(2)
	v_fma_f32 v6, -v28, v9, v6
	v_fma_f32 v6, -v22, v8, v6
	;; [unrolled: 3-line block ×3, first 2 shown]
	s_waitcnt lgkmcnt(0)
	v_fma_f32 v6, -v20, v13, v6
	s_sub_i32 s15, s15, 44
	v_fma_f32 v12, -v21, v12, v6
	v_mov_b32_e32 v6, s15
	s_add_i32 s14, s14, s8
	ds_read2_b32 v[6:7], v6 offset1:1
	s_add_i32 s15, s18, 0xfffffbbc
	s_lshl_b32 s14, s14, 2
	v_mov_b32_e32 v8, s15
	s_add_i32 s15, s14, -8
	v_mov_b32_e32 v10, s14
	v_mov_b32_e32 v11, s15
	ds_read2_b32 v[8:9], v8 offset1:1
	ds_read_b32 v13, v10
	ds_read2_b32 v[10:11], v11 offset1:1
	s_waitcnt lgkmcnt(3)
	v_fma_f32 v7, -v25, v7, v12
	v_fma_f32 v6, -v16, v6, v7
	s_waitcnt lgkmcnt(2)
	v_fma_f32 v6, -v17, v9, v6
	v_mul_f32_e32 v12, v8, v6
	ds_write_b32 v4, v12 offset:1600
	s_waitcnt lgkmcnt(2)
	v_fma_f32 v4, -v30, v13, v5
	s_waitcnt lgkmcnt(1)
	v_fma_f32 v4, -v26, v11, v4
	s_add_i32 s15, s14, -16
	v_fma_f32 v13, -v27, v10, v4
	v_mov_b32_e32 v4, s15
	s_sub_i32 s15, s14, 24
	ds_read2_b32 v[4:5], v4 offset1:1
	v_mov_b32_e32 v6, s15
	s_sub_i32 s15, s14, 32
	v_mov_b32_e32 v8, s15
	s_sub_i32 s15, s14, 40
	v_mov_b32_e32 v10, s15
	ds_read2_b32 v[6:7], v6 offset1:1
	ds_read2_b32 v[8:9], v8 offset1:1
	;; [unrolled: 1-line block ×3, first 2 shown]
	s_waitcnt lgkmcnt(3)
	v_fma_f32 v5, -v29, v5, v13
	v_fma_f32 v4, -v28, v4, v5
	s_waitcnt lgkmcnt(2)
	v_fma_f32 v4, -v22, v7, v4
	v_fma_f32 v4, -v23, v6, v4
	;; [unrolled: 3-line block ×3, first 2 shown]
	s_waitcnt lgkmcnt(0)
	v_fma_f32 v4, -v21, v11, v4
	s_sub_i32 s14, s14, 48
	v_fma_f32 v13, -v25, v10, v4
	v_mov_b32_e32 v4, s14
	s_add_i32 s9, s9, s8
	s_add_i32 s14, s18, 0xfffffb68
	s_lshl_b32 s9, s9, 2
	ds_read2_b32 v[4:5], v4 offset1:1
	v_mov_b32_e32 v6, s14
	s_add_i32 s14, s9, -4
	v_mov_b32_e32 v8, s14
	s_add_i32 s14, s9, -12
	v_mov_b32_e32 v10, s14
	ds_read2_b32 v[6:7], v6 offset1:1
	ds_read2_b32 v[8:9], v8 offset1:1
	;; [unrolled: 1-line block ×3, first 2 shown]
	s_waitcnt lgkmcnt(3)
	v_fma_f32 v5, -v16, v5, v13
	v_fma_f32 v4, -v17, v4, v5
	s_waitcnt lgkmcnt(2)
	v_fma_f32 v4, -v12, v7, v4
	v_mul_f32_e32 v13, v6, v4
	ds_write_b32 v2, v13 offset:1600
	s_waitcnt lgkmcnt(2)
	v_fma_f32 v2, -v30, v9, v3
	v_fma_f32 v2, -v26, v8, v2
	s_waitcnt lgkmcnt(1)
	v_fma_f32 v2, -v27, v11, v2
	s_sub_i32 s14, s9, 20
	v_fma_f32 v10, -v29, v10, v2
	v_mov_b32_e32 v2, s14
	s_sub_i32 s14, s9, 28
	ds_read2_b32 v[2:3], v2 offset1:1
	v_mov_b32_e32 v4, s14
	s_sub_i32 s14, s9, 36
	v_mov_b32_e32 v6, s14
	s_sub_i32 s14, s9, 44
	v_mov_b32_e32 v8, s14
	ds_read2_b32 v[4:5], v4 offset1:1
	ds_read2_b32 v[6:7], v6 offset1:1
	;; [unrolled: 1-line block ×3, first 2 shown]
	s_waitcnt lgkmcnt(3)
	v_fma_f32 v3, -v28, v3, v10
	v_fma_f32 v2, -v22, v2, v3
	s_waitcnt lgkmcnt(2)
	v_fma_f32 v2, -v23, v5, v2
	v_fma_f32 v2, -v24, v4, v2
	s_waitcnt lgkmcnt(1)
	v_fma_f32 v2, -v20, v7, v2
	s_sub_i32 s9, s9, 52
	v_fma_f32 v6, -v21, v6, v2
	v_mov_b32_e32 v2, s9
	s_add_i32 s9, s18, 0xfffffb14
	ds_read2_b32 v[2:3], v2 offset1:1
	v_mov_b32_e32 v4, s9
	ds_read2_b32 v[4:5], v4 offset1:1
	s_waitcnt lgkmcnt(2)
	v_fma_f32 v6, -v25, v9, v6
	v_fma_f32 v6, -v16, v8, v6
	s_waitcnt lgkmcnt(1)
	v_fma_f32 v3, -v17, v3, v6
	v_fma_f32 v2, -v12, v2, v3
	s_waitcnt lgkmcnt(0)
	v_fma_f32 v2, -v13, v5, v2
	v_mul_f32_e32 v2, v4, v2
	s_add_i32 s8, s8, -16
	ds_write_b32 v1, v2 offset:1600
.LBB23_36:
	s_cmp_lt_i32 s8, 0
	s_cbranch_scc1 .LBB23_49
; %bb.37:
	s_bitcmp1_b32 s8, 0
	s_cselect_b64 s[14:15], -1, 0
	s_and_b64 vcc, exec, s[14:15]
	s_mov_b32 s9, s8
	s_cbranch_vccnz .LBB23_42
; %bb.38:
	s_mul_i32 s9, s8, 20
	v_add_lshl_u32 v2, s9, v0, 2
	ds_read_b32 v1, v2 offset:1600
	s_cmp_le_i32 s6, s8
	s_cbranch_scc1 .LBB23_41
; %bb.39:
	s_mul_i32 s9, s8, 0x50
	s_lshl_b32 s14, s26, 2
	s_add_i32 s9, s9, s14
	s_mul_i32 s14, s26, 0x50
	v_lshl_add_u32 v3, v0, 2, s14
	s_add_i32 s9, s9, -4
	v_add_u32_e32 v3, 0x5f0, v3
	s_mov_b32 s14, s6
.LBB23_40:                              ; =>This Inner Loop Header: Depth=1
	v_mov_b32_e32 v5, s9
	ds_read_b32 v4, v3
	ds_read_b32 v5, v5
	s_add_i32 s14, s14, -1
	s_add_i32 s9, s9, -4
	v_add_u32_e32 v3, 0xffffffb0, v3
	s_cmp_gt_i32 s14, s8
	s_waitcnt lgkmcnt(0)
	v_fma_f32 v1, -v4, v5, v1
	s_cbranch_scc1 .LBB23_40
.LBB23_41:
	s_mul_i32 s9, s8, 0x54
	v_mov_b32_e32 v3, s9
	ds_read_b32 v3, v3
	v_add_u32_e32 v2, 0x640, v2
	s_add_i32 s9, s8, -1
	s_waitcnt lgkmcnt(0)
	v_mul_f32_e32 v1, v3, v1
	ds_write_b32 v2, v1
.LBB23_42:
	s_cmp_eq_u32 s8, 0
	s_cbranch_scc1 .LBB23_49
; %bb.43:
	s_mul_i32 s8, s9, 0x50
	s_lshl_b32 s14, s26, 2
	s_mul_i32 s15, s26, 0x50
	s_add_i32 s14, s8, s14
	v_lshl_add_u32 v1, v0, 2, s15
	s_add_i32 s8, s14, -4
	v_add_u32_e32 v1, 0x5f0, v1
	s_addk_i32 s14, 0xffac
	s_branch .LBB23_45
.LBB23_44:                              ;   in Loop: Header=BB23_45 Depth=1
	s_addk_i32 s15, 0xffac
	v_add_u32_e32 v2, 0x640, v4
	v_mov_b32_e32 v4, s15
	ds_read_b32 v4, v4
	s_add_i32 s15, s9, -2
	s_addk_i32 s8, 0xff60
	s_addk_i32 s14, 0xff60
	s_cmp_lt_i32 s9, 2
	s_waitcnt lgkmcnt(0)
	v_mul_f32_e32 v3, v4, v3
	s_mov_b32 s9, s15
	ds_write_b32 v2, v3
	s_cbranch_scc1 .LBB23_49
.LBB23_45:                              ; =>This Loop Header: Depth=1
                                        ;     Child Loop BB23_46 Depth 2
                                        ;     Child Loop BB23_48 Depth 2
	s_mul_i32 s18, s9, 20
	v_add_lshl_u32 v3, s18, v0, 2
	ds_read_b32 v2, v3 offset:1600
	s_cmp_le_i32 s6, s9
	v_mov_b32_e32 v4, v1
	s_mov_b32 s15, s8
	s_mov_b32 s19, s6
	s_cbranch_scc1 .LBB23_47
.LBB23_46:                              ;   Parent Loop BB23_45 Depth=1
                                        ; =>  This Inner Loop Header: Depth=2
	v_mov_b32_e32 v6, s15
	ds_read_b32 v5, v4
	ds_read_b32 v6, v6
	s_add_i32 s19, s19, -1
	s_add_i32 s15, s15, -4
	v_add_u32_e32 v4, 0xffffffb0, v4
	s_cmp_gt_i32 s19, s9
	s_waitcnt lgkmcnt(0)
	v_fma_f32 v2, -v5, v6, v2
	s_cbranch_scc1 .LBB23_46
.LBB23_47:                              ;   in Loop: Header=BB23_45 Depth=1
	s_mul_i32 s15, s9, 0x54
	v_add_u32_e32 v5, 0x640, v3
	v_mov_b32_e32 v3, s15
	ds_read_b32 v6, v3
	s_sub_i32 s18, s18, 20
	v_add_lshl_u32 v4, s18, v0, 2
	ds_read_b32 v3, v4 offset:1600
	s_cmp_le_i32 s26, s9
	s_waitcnt lgkmcnt(1)
	v_mul_f32_e32 v2, v6, v2
	ds_write_b32 v5, v2
	v_mov_b32_e32 v2, v1
	s_mov_b32 s18, s14
	s_mov_b32 s19, s26
	s_cbranch_scc1 .LBB23_44
.LBB23_48:                              ;   Parent Loop BB23_45 Depth=1
                                        ; =>  This Inner Loop Header: Depth=2
	v_mov_b32_e32 v6, s18
	ds_read_b32 v5, v2
	ds_read_b32 v6, v6
	s_add_i32 s19, s19, -1
	s_add_i32 s18, s18, -4
	v_add_u32_e32 v2, 0xffffffb0, v2
	s_cmp_gt_i32 s19, s9
	s_waitcnt lgkmcnt(0)
	v_fma_f32 v3, -v5, v6, v3
	s_cbranch_scc1 .LBB23_48
	s_branch .LBB23_44
.LBB23_49:
	s_mov_b64 s[8:9], 0
.LBB23_50:
	s_and_b64 vcc, exec, s[8:9]
	s_cbranch_vccz .LBB23_75
; %bb.51:
	s_cmp_gt_i32 s10, 19
	s_cselect_b64 s[8:9], -1, 0
	s_mov_b32 s6, 0
	s_and_b64 vcc, exec, s[8:9]
	s_cbranch_vccz .LBB23_53
; %bb.52:
	v_lshlrev_b32_e32 v1, 2, v0
	v_add_u32_e32 v46, 0x400, v1
	v_add_u32_e32 v33, 0x800, v1
	v_mov_b32_e32 v32, 0
	ds_read2_b32 v[2:3], v46 offset0:144 offset1:164
	ds_read2_b32 v[30:31], v46 offset0:184 offset1:204
	;; [unrolled: 1-line block ×9, first 2 shown]
	ds_read_b128 v[10:13], v32
	v_add_u32_e32 v1, 0xa00, v1
	ds_read2_b32 v[14:15], v1 offset0:120 offset1:140
	ds_read2_b32 v[38:39], v32 offset0:21 offset1:22
	ds_read_b128 v[6:9], v32 offset:16
	ds_read2_b64 v[34:37], v32 offset0:21 offset1:22
	ds_read_b32 v74, v32 offset:156
	s_waitcnt lgkmcnt(5)
	v_mul_f32_e32 v10, v10, v2
	v_fma_f32 v11, -v10, v11, v3
	ds_read_b128 v[2:5], v32 offset:64
	ds_read2_b32 v[42:43], v32 offset0:23 offset1:24
	s_waitcnt lgkmcnt(5)
	v_mul_f32_e32 v11, v38, v11
	v_fma_f32 v12, -v10, v12, v30
	ds_write2_b32 v46, v10, v11 offset0:144 offset1:164
	v_fma_f32 v12, -v11, v39, v12
	v_fma_f32 v30, -v10, v13, v31
	s_waitcnt lgkmcnt(4)
	v_mul_f32_e32 v75, v34, v12
	ds_read2_b32 v[12:13], v32 offset0:25 offset1:26
	ds_read2_b32 v[54:55], v32 offset0:27 offset1:28
	;; [unrolled: 1-line block ×3, first 2 shown]
	s_waitcnt lgkmcnt(4)
	v_fma_f32 v34, -v11, v42, v30
	ds_read2_b32 v[30:31], v32 offset0:63 offset1:64
	ds_read2_b32 v[50:51], v32 offset0:65 offset1:66
	;; [unrolled: 1-line block ×4, first 2 shown]
	ds_read_b128 v[38:41], v32 offset:336
	v_fma_f32 v6, -v10, v6, v28
	v_fma_f32 v34, -v75, v35, v34
	;; [unrolled: 1-line block ×3, first 2 shown]
	ds_read_b128 v[42:45], v32 offset:352
	s_waitcnt lgkmcnt(5)
	v_mul_f32_e32 v76, v30, v34
	v_fma_f32 v6, -v75, v36, v6
	v_fma_f32 v6, -v76, v31, v6
	s_waitcnt lgkmcnt(1)
	v_mul_f32_e32 v77, v38, v6
	v_fma_f32 v6, -v10, v7, v29
	v_fma_f32 v6, -v11, v12, v6
	;; [unrolled: 1-line block ×4, first 2 shown]
	ds_read2_b32 v[6:7], v32 offset0:105 offset1:106
	ds_write2_b32 v46, v75, v76 offset0:184 offset1:204
	ds_read2_b32 v[58:59], v32 offset0:107 offset1:108
	ds_read2_b32 v[66:67], v32 offset0:109 offset1:110
	;; [unrolled: 1-line block ×3, first 2 shown]
	ds_read2_b64 v[28:31], v32 offset0:23 offset1:24
	ds_read2_b64 v[34:37], v32 offset0:25 offset1:26
	v_fma_f32 v12, -v77, v39, v12
	s_waitcnt lgkmcnt(6)
	v_mul_f32_e32 v78, v6, v12
	v_fma_f32 v6, -v10, v8, v26
	ds_write2_b32 v46, v77, v78 offset0:224 offset1:244
	v_fma_f32 v6, -v11, v13, v6
	ds_read2_b64 v[46:49], v32 offset0:63 offset1:64
	s_waitcnt lgkmcnt(3)
	v_fma_f32 v6, -v75, v28, v6
	v_fma_f32 v6, -v76, v51, v6
	ds_read2_b64 v[50:53], v32 offset0:65 offset1:66
	v_fma_f32 v6, -v77, v40, v6
	v_fma_f32 v6, -v78, v7, v6
	s_waitcnt lgkmcnt(1)
	v_mul_f32_e32 v79, v46, v6
	v_fma_f32 v6, -v10, v9, v27
	v_fma_f32 v6, -v11, v54, v6
	;; [unrolled: 1-line block ×7, first 2 shown]
	ds_read2_b32 v[6:7], v32 offset0:147 offset1:148
	ds_read_b128 v[26:29], v32 offset:32
	ds_read2_b32 v[12:13], v32 offset0:149 offset1:150
	ds_read2_b32 v[70:71], v32 offset0:151 offset1:152
	;; [unrolled: 1-line block ×3, first 2 shown]
	s_waitcnt lgkmcnt(4)
	v_mul_f32_e32 v80, v6, v8
	s_waitcnt lgkmcnt(3)
	v_fma_f32 v6, -v10, v26, v24
	v_fma_f32 v6, -v11, v55, v6
	v_fma_f32 v6, -v75, v30, v6
	v_fma_f32 v6, -v76, v57, v6
	ds_read_b128 v[54:57], v32 offset:672
	v_fma_f32 v6, -v77, v42, v6
	v_fma_f32 v6, -v78, v59, v6
	ds_read_b128 v[58:61], v32 offset:688
	v_fma_f32 v6, -v79, v48, v6
	v_fma_f32 v6, -v80, v7, v6
	s_waitcnt lgkmcnt(1)
	v_mul_f32_e32 v81, v54, v6
	v_fma_f32 v6, -v10, v27, v25
	v_fma_f32 v6, -v11, v62, v6
	;; [unrolled: 1-line block ×5, first 2 shown]
	ds_read2_b32 v[30:31], v32 offset0:189 offset1:190
	v_fma_f32 v6, -v78, v66, v6
	v_fma_f32 v6, -v79, v49, v6
	;; [unrolled: 1-line block ×4, first 2 shown]
	ds_read_b128 v[6:9], v32 offset:704
	s_waitcnt lgkmcnt(1)
	v_mul_f32_e32 v82, v30, v12
	v_fma_f32 v12, -v10, v28, v22
	v_fma_f32 v12, -v11, v63, v12
	;; [unrolled: 1-line block ×6, first 2 shown]
	ds_read2_b64 v[24:27], v32 offset0:105 offset1:106
	ds_read2_b64 v[46:49], v32 offset0:107 offset1:108
	v_fma_f32 v12, -v79, v50, v12
	v_fma_f32 v12, -v80, v13, v12
	;; [unrolled: 1-line block ×4, first 2 shown]
	ds_read_b128 v[38:41], v32 offset:48
	s_waitcnt lgkmcnt(2)
	v_mul_f32_e32 v83, v24, v12
	ds_read2_b32 v[12:13], v32 offset0:31 offset1:32
	ds_write2_b32 v33, v79, v80 offset0:8 offset1:28
	ds_write2_b32 v33, v81, v82 offset0:48 offset1:68
	v_fma_f32 v24, -v10, v29, v23
	ds_read2_b32 v[42:43], v32 offset0:33 offset1:34
	ds_read2_b32 v[54:55], v32 offset0:35 offset1:36
	;; [unrolled: 1-line block ×4, first 2 shown]
	s_waitcnt lgkmcnt(6)
	v_fma_f32 v12, -v11, v12, v24
	v_fma_f32 v12, -v75, v35, v12
	ds_read2_b32 v[34:35], v32 offset0:73 offset1:74
	ds_read2_b32 v[64:65], v32 offset0:75 offset1:76
	ds_read_b128 v[28:31], v32 offset:368
	s_waitcnt lgkmcnt(3)
	v_fma_f32 v12, -v76, v22, v12
	v_fma_f32 v12, -v77, v45, v12
	;; [unrolled: 1-line block ×4, first 2 shown]
	ds_read2_b32 v[44:45], v32 offset0:77 offset1:78
	v_fma_f32 v12, -v80, v70, v12
	v_fma_f32 v22, -v81, v57, v12
	;; [unrolled: 1-line block ×4, first 2 shown]
	ds_read2_b32 v[12:13], v32 offset0:191 offset1:192
	ds_read2_b32 v[50:51], v32 offset0:193 offset1:194
	;; [unrolled: 1-line block ×4, first 2 shown]
	v_fma_f32 v20, -v75, v36, v20
	v_fma_f32 v20, -v76, v23, v20
	s_waitcnt lgkmcnt(5)
	v_fma_f32 v20, -v77, v28, v20
	v_fma_f32 v20, -v78, v69, v20
	;; [unrolled: 1-line block ×4, first 2 shown]
	s_waitcnt lgkmcnt(3)
	v_fma_f32 v12, -v82, v12, v22
	v_fma_f32 v36, -v83, v25, v12
	;; [unrolled: 1-line block ×6, first 2 shown]
	ds_read_b128 v[20:23], v32 offset:384
	v_fma_f32 v25, -v75, v37, v12
	ds_read2_b32 v[12:13], v32 offset0:113 offset1:114
	v_fma_f32 v25, -v76, v34, v25
	v_fma_f32 v25, -v77, v29, v25
	;; [unrolled: 1-line block ×4, first 2 shown]
	s_waitcnt lgkmcnt(0)
	v_fma_f32 v12, -v78, v12, v25
	v_fma_f32 v12, -v79, v53, v12
	;; [unrolled: 1-line block ×5, first 2 shown]
	ds_read2_b32 v[18:19], v32 offset0:115 offset1:116
	ds_read2_b32 v[68:69], v32 offset0:117 offset1:118
	;; [unrolled: 1-line block ×5, first 2 shown]
	v_fma_f32 v37, -v83, v26, v24
	v_fma_f32 v41, -v83, v27, v12
	ds_read2_b64 v[24:27], v32 offset0:27 offset1:28
	ds_read_b64 v[58:59], v32 offset:872
	v_fma_f32 v12, -v11, v43, v34
	s_waitcnt lgkmcnt(4)
	v_mul_f32_e32 v70, v28, v36
	v_fma_f32 v50, -v70, v29, v37
	s_waitcnt lgkmcnt(1)
	v_fma_f32 v12, -v75, v24, v12
	v_fma_f32 v12, -v76, v35, v12
	ds_read2_b64 v[34:37], v32 offset0:67 offset1:68
	v_fma_f32 v12, -v77, v30, v12
	v_fma_f32 v24, -v78, v13, v12
	ds_read_b64 v[12:13], v32 offset:232
	ds_write2_b32 v33, v83, v70 offset0:88 offset1:108
	s_waitcnt lgkmcnt(2)
	v_fma_f32 v24, -v79, v34, v24
	v_fma_f32 v34, -v80, v73, v24
	;; [unrolled: 1-line block ×6, first 2 shown]
	ds_read2_b32 v[24:25], v32 offset0:155 offset1:156
	ds_read_b128 v[28:31], v32 offset:1008
	v_fma_f32 v18, -v78, v18, v40
	v_fma_f32 v18, -v79, v35, v18
	;; [unrolled: 1-line block ×3, first 2 shown]
	s_waitcnt lgkmcnt(1)
	v_fma_f32 v18, -v80, v24, v18
	s_waitcnt lgkmcnt(0)
	v_mul_f32_e32 v64, v28, v50
	v_fma_f32 v24, -v70, v38, v41
	v_mov_b32_e32 v28, 0x444
	v_fma_f32 v2, -v10, v2, v16
	ds_read_b64 v[34:35], v32 offset:552
	ds_read2_b32 v[42:43], v32 offset0:237 offset1:238
	v_fma_f32 v24, -v64, v29, v24
	v_fma_f32 v38, -v82, v51, v54
	ds_read2_b32 v[28:29], v28 offset1:1
	v_fma_f32 v2, -v11, v55, v2
	v_fma_f32 v38, -v83, v46, v38
	;; [unrolled: 1-line block ×5, first 2 shown]
	v_mov_b32_e32 v39, 0x44c
	ds_read2_b32 v[50:51], v39 offset1:1
	v_fma_f32 v2, -v76, v65, v2
	v_fma_f32 v18, -v82, v56, v18
	v_fma_f32 v2, -v77, v20, v2
	v_fma_f32 v18, -v83, v47, v18
	v_fma_f32 v2, -v78, v19, v2
	v_fma_f32 v30, -v64, v30, v38
	v_fma_f32 v18, -v70, v52, v18
	s_waitcnt lgkmcnt(1)
	v_mul_f32_e32 v54, v28, v24
	v_fma_f32 v2, -v79, v36, v2
	v_fma_f32 v18, -v64, v31, v18
	ds_read_b64 v[46:47], v32 offset:1512
	ds_read_b32 v52, v32 offset:1596
	v_fma_f32 v24, -v54, v29, v30
	ds_read2_b64 v[28:31], v32 offset0:147 offset1:148
	ds_read_b128 v[38:41], v32 offset:1024
	v_fma_f32 v2, -v80, v25, v2
	v_fma_f32 v2, -v81, v6, v2
	v_mov_b32_e32 v6, 0x4ec
	s_waitcnt lgkmcnt(4)
	v_fma_f32 v16, -v54, v50, v18
	v_fma_f32 v2, -v82, v57, v2
	ds_read2_b32 v[18:19], v6 offset1:1
	v_fma_f32 v2, -v83, v48, v2
	v_fma_f32 v2, -v70, v53, v2
	s_waitcnt lgkmcnt(2)
	v_mul_f32_e32 v20, v28, v24
	s_waitcnt lgkmcnt(1)
	v_fma_f32 v2, -v64, v38, v2
	v_fma_f32 v16, -v20, v29, v16
	v_mov_b32_e32 v24, 0x454
	ds_read2_b32 v[24:25], v24 offset1:1
	v_fma_f32 v2, -v54, v51, v2
	ds_read2_b32 v[60:61], v32 offset0:157 offset1:158
	s_waitcnt lgkmcnt(2)
	v_mul_f32_e32 v36, v18, v16
	v_fma_f32 v2, -v20, v30, v2
	v_fma_f32 v30, -v36, v19, v2
	;; [unrolled: 1-line block ×7, first 2 shown]
	ds_write2_b32 v33, v64, v54 offset0:128 offset1:148
	v_mov_b32_e32 v26, 0x4f4
	v_mov_b32_e32 v6, 0x594
	v_fma_f32 v2, -v78, v68, v2
	v_fma_f32 v4, -v10, v4, v14
	ds_read2_b32 v[28:29], v26 offset1:1
	ds_read2_b32 v[50:51], v6 offset1:1
	v_fma_f32 v6, -v79, v37, v2
	v_fma_f32 v4, -v11, v63, v4
	s_waitcnt lgkmcnt(3)
	v_fma_f32 v6, -v80, v60, v6
	v_fma_f32 v4, -v75, v12, v4
	;; [unrolled: 1-line block ×6, first 2 shown]
	ds_read_b128 v[16:19], v32 offset:1344
	ds_read_b64 v[2:3], v32 offset:1192
	v_fma_f32 v6, -v83, v49, v6
	v_fma_f32 v4, -v78, v69, v4
	;; [unrolled: 1-line block ×10, first 2 shown]
	s_waitcnt lgkmcnt(1)
	v_mul_f32_e32 v16, v16, v30
	v_fma_f32 v6, -v36, v28, v6
	v_fma_f32 v4, -v83, v58, v4
	;; [unrolled: 1-line block ×4, first 2 shown]
	v_mul_f32_e32 v17, v50, v6
	v_fma_f32 v4, -v64, v40, v4
	ds_read2_b32 v[6:7], v32 offset0:79 offset1:119
	v_fma_f32 v4, -v54, v25, v4
	s_waitcnt lgkmcnt(1)
	v_fma_f32 v2, -v20, v2, v4
	v_fma_f32 v4, -v10, v5, v15
	;; [unrolled: 1-line block ×4, first 2 shown]
	ds_read2_b32 v[4:5], v32 offset0:159 offset1:199
	s_waitcnt lgkmcnt(1)
	v_fma_f32 v6, -v76, v6, v8
	v_fma_f32 v6, -v77, v23, v6
	;; [unrolled: 1-line block ×4, first 2 shown]
	s_movk_i32 s14, 0x200
	s_waitcnt lgkmcnt(0)
	v_fma_f32 v4, -v80, v4, v6
	v_add_u32_e64 v6, s14, 0
	ds_read2_b32 v[6:7], v6 offset0:111 offset1:151
	v_fma_f32 v4, -v81, v9, v4
	s_movk_i32 s6, 0x400
	v_fma_f32 v4, -v82, v5, v4
	v_fma_f32 v8, -v83, v59, v4
	v_add_u32_e64 v4, s6, 0
	ds_read2_b32 v[4:5], v4 offset0:63 offset1:103
	s_waitcnt lgkmcnt(1)
	v_fma_f32 v6, -v70, v6, v8
	v_fma_f32 v6, -v64, v41, v6
	;; [unrolled: 1-line block ×6, first 2 shown]
	s_waitcnt lgkmcnt(0)
	v_fma_f32 v3, -v36, v4, v3
	v_fma_f32 v2, -v17, v51, v2
	;; [unrolled: 1-line block ×3, first 2 shown]
	v_mul_f32_e32 v2, v46, v2
	v_fma_f32 v3, -v17, v5, v3
	v_fma_f32 v3, -v2, v47, v3
	v_mul_f32_e32 v3, v52, v3
	s_mov_b32 s6, 20
	ds_write2_b32 v33, v20, v36 offset0:168 offset1:188
	ds_write2_b32 v33, v16, v17 offset0:208 offset1:228
	;; [unrolled: 1-line block ×3, first 2 shown]
.LBB23_53:
	s_cmp_lt_i32 s6, s26
	s_cbranch_scc0 .LBB23_75
; %bb.54:
	s_add_i32 s14, s6, 15
	s_cmp_ge_u32 s14, s26
	s_cbranch_scc1 .LBB23_64
; %bb.55:
	s_mul_i32 s15, s6, 20
	v_add_lshl_u32 v1, s15, v0, 2
	v_add_u32_e32 v4, 0x400, v1
	ds_read2_b32 v[2:3], v4 offset0:144 offset1:164
	ds_read2_b32 v[22:23], v4 offset0:184 offset1:204
	;; [unrolled: 1-line block ×3, first 2 shown]
	v_add_u32_e32 v4, 0x800, v1
	ds_read2_b32 v[18:19], v4 offset0:8 offset1:28
	ds_read2_b32 v[16:17], v4 offset0:48 offset1:68
	;; [unrolled: 1-line block ×5, first 2 shown]
	s_andn2_b64 vcc, exec, s[8:9]
	s_cbranch_vccnz .LBB23_63
; %bb.56:
	s_max_u32 s8, s6, 1
	s_cmp_eq_u32 s8, 1
	s_cbranch_scc1 .LBB23_60
; %bb.57:
	v_mov_b32_e32 v4, 0x640
	s_and_b32 s9, s8, 20
	s_lshl_b32 s18, s6, 2
	v_lshl_add_u32 v4, v0, 2, v4
	s_mov_b32 s19, 0
.LBB23_58:                              ; =>This Inner Loop Header: Depth=1
	ds_read2_b32 v[52:53], v4 offset1:20
	v_mov_b32_e32 v5, s18
	ds_read_b128 v[6:9], v5
	ds_read_b128 v[24:27], v5 offset:16
	ds_read_b128 v[28:31], v5 offset:32
	ds_read_b128 v[32:35], v5 offset:48
	ds_read_b128 v[36:39], v5 offset:80
	ds_read_b128 v[40:43], v5 offset:96
	ds_read_b128 v[44:47], v5 offset:112
	ds_read_b128 v[48:51], v5 offset:128
	s_add_i32 s19, s19, 2
	s_addk_i32 s18, 0xa0
	s_waitcnt lgkmcnt(8)
	v_mov_b32_e32 v54, v53
	s_waitcnt lgkmcnt(7)
	v_pk_fma_f32 v[2:3], v[52:53], v[6:7], v[2:3] op_sel_hi:[0,1,1] neg_lo:[1,0,0] neg_hi:[1,0,0]
	v_pk_fma_f32 v[6:7], v[52:53], v[8:9], v[22:23] op_sel_hi:[0,1,1] neg_lo:[1,0,0] neg_hi:[1,0,0]
	s_waitcnt lgkmcnt(6)
	v_pk_fma_f32 v[8:9], v[52:53], v[24:25], v[20:21] op_sel_hi:[0,1,1] neg_lo:[1,0,0] neg_hi:[1,0,0]
	v_pk_fma_f32 v[18:19], v[52:53], v[26:27], v[18:19] op_sel_hi:[0,1,1] neg_lo:[1,0,0] neg_hi:[1,0,0]
	s_waitcnt lgkmcnt(5)
	v_pk_fma_f32 v[16:17], v[52:53], v[28:29], v[16:17] op_sel_hi:[0,1,1] neg_lo:[1,0,0] neg_hi:[1,0,0]
	v_pk_fma_f32 v[14:15], v[52:53], v[30:31], v[14:15] op_sel_hi:[0,1,1] neg_lo:[1,0,0] neg_hi:[1,0,0]
	s_waitcnt lgkmcnt(4)
	v_pk_fma_f32 v[12:13], v[52:53], v[32:33], v[12:13] op_sel_hi:[0,1,1] neg_lo:[1,0,0] neg_hi:[1,0,0]
	v_pk_fma_f32 v[10:11], v[52:53], v[34:35], v[10:11] op_sel_hi:[0,1,1] neg_lo:[1,0,0] neg_hi:[1,0,0]
	v_add_u32_e32 v4, 0xa0, v4
	s_cmp_lg_u32 s9, s19
	s_waitcnt lgkmcnt(3)
	v_pk_fma_f32 v[2:3], v[54:55], v[36:37], v[2:3] op_sel_hi:[0,1,1] neg_lo:[1,0,0] neg_hi:[1,0,0]
	v_pk_fma_f32 v[22:23], v[54:55], v[38:39], v[6:7] op_sel_hi:[0,1,1] neg_lo:[1,0,0] neg_hi:[1,0,0]
	s_waitcnt lgkmcnt(2)
	v_pk_fma_f32 v[20:21], v[54:55], v[40:41], v[8:9] op_sel_hi:[0,1,1] neg_lo:[1,0,0] neg_hi:[1,0,0]
	v_pk_fma_f32 v[18:19], v[54:55], v[42:43], v[18:19] op_sel_hi:[0,1,1] neg_lo:[1,0,0] neg_hi:[1,0,0]
	;; [unrolled: 3-line block ×4, first 2 shown]
	s_cbranch_scc1 .LBB23_58
; %bb.59:
	s_mul_i32 s9, s9, 20
	s_branch .LBB23_61
.LBB23_60:
	s_mov_b32 s9, 0
.LBB23_61:
	s_bitcmp0_b32 s8, 0
	s_cbranch_scc1 .LBB23_63
; %bb.62:
	s_add_i32 s8, s9, s6
	v_add_lshl_u32 v4, s9, v0, 2
	s_lshl_b32 s8, s8, 2
	v_mov_b32_e32 v9, s8
	ds_read_b32 v8, v4 offset:1600
	ds_read_b128 v[4:7], v9
	ds_read_b128 v[24:27], v9 offset:16
	ds_read_b128 v[28:31], v9 offset:32
	;; [unrolled: 1-line block ×3, first 2 shown]
	s_waitcnt lgkmcnt(3)
	v_pk_fma_f32 v[2:3], v[8:9], v[4:5], v[2:3] op_sel_hi:[0,1,1] neg_lo:[1,0,0] neg_hi:[1,0,0]
	v_pk_fma_f32 v[22:23], v[8:9], v[6:7], v[22:23] op_sel_hi:[0,1,1] neg_lo:[1,0,0] neg_hi:[1,0,0]
	s_waitcnt lgkmcnt(2)
	v_pk_fma_f32 v[20:21], v[8:9], v[24:25], v[20:21] op_sel_hi:[0,1,1] neg_lo:[1,0,0] neg_hi:[1,0,0]
	v_pk_fma_f32 v[18:19], v[8:9], v[26:27], v[18:19] op_sel_hi:[0,1,1] neg_lo:[1,0,0] neg_hi:[1,0,0]
	;; [unrolled: 3-line block ×4, first 2 shown]
.LBB23_63:
	s_mul_i32 s9, s6, 0x54
	v_mov_b32_e32 v62, s9
	ds_read_b128 v[24:27], v62
	ds_read2_b32 v[32:33], v62 offset0:21 offset1:22
	v_add_u32_e32 v4, 0x640, v1
	s_add_i32 s18, s15, 20
	ds_read_b128 v[6:9], v62 offset:16
	s_waitcnt lgkmcnt(2)
	v_mul_f32_e32 v1, v24, v2
	ds_write_b32 v4, v1
	v_fma_f32 v24, -v1, v25, v3
	ds_read_b128 v[2:5], v62 offset:32
	ds_read2_b64 v[28:31], v62 offset0:21 offset1:22
	s_waitcnt lgkmcnt(4)
	v_mul_f32_e32 v63, v32, v24
	v_add_lshl_u32 v24, s18, v0, 2
	v_fma_f32 v22, -v1, v26, v22
	s_add_i32 s18, s6, s18
	s_lshl_b32 s18, s18, 2
	v_fma_f32 v22, -v63, v33, v22
	s_waitcnt lgkmcnt(0)
	v_mul_f32_e32 v64, v28, v22
	v_mov_b32_e32 v28, s18
	ds_write_b32 v24, v63 offset:1600
	ds_read2_b32 v[24:25], v28 offset0:3 offset1:4
	ds_read2_b32 v[32:33], v62 offset0:63 offset1:64
	v_fma_f32 v26, -v1, v27, v23
	s_add_i32 s19, s15, 40
	v_add_lshl_u32 v22, s19, v0, 2
	s_waitcnt lgkmcnt(1)
	v_fma_f32 v24, -v63, v24, v26
	s_add_i32 s18, s6, s19
	v_fma_f32 v24, -v64, v29, v24
	s_add_i32 s19, s15, 60
	ds_write_b32 v22, v64 offset:1600
	s_waitcnt lgkmcnt(1)
	v_mul_f32_e32 v65, v32, v24
	v_add_lshl_u32 v24, s19, v0, 2
	v_fma_f32 v6, -v1, v6, v20
	ds_read2_b32 v[34:35], v28 offset0:5 offset1:6
	ds_read2_b32 v[36:37], v28 offset0:7 offset1:8
	;; [unrolled: 1-line block ×3, first 2 shown]
	ds_write_b32 v24, v65 offset:1600
	v_fma_f32 v6, -v63, v25, v6
	ds_read_b128 v[24:27], v62 offset:336
	v_fma_f32 v6, -v64, v30, v6
	v_fma_f32 v6, -v65, v33, v6
	s_add_i32 s20, s15, 0x50
	s_add_i32 s19, s6, s19
	s_waitcnt lgkmcnt(0)
	v_mul_f32_e32 v66, v24, v6
	v_add_lshl_u32 v6, s20, v0, 2
	s_lshl_b32 s19, s19, 2
	ds_write_b32 v6, v66 offset:1600
	v_fma_f32 v6, -v1, v7, v21
	v_fma_f32 v6, -v63, v34, v6
	v_mov_b32_e32 v34, s19
	ds_read2_b32 v[32:33], v62 offset0:105 offset1:106
	ds_read2_b32 v[38:39], v34 offset0:5 offset1:6
	s_lshl_b32 s18, s18, 2
	v_mov_b32_e32 v69, s18
	v_fma_f32 v24, -v64, v31, v6
	ds_read2_b32 v[6:7], v28 offset0:11 offset1:12
	ds_read2_b32 v[20:21], v28 offset0:13 offset1:14
	ds_read_b32 v67, v28 offset:60
	ds_read2_b64 v[28:31], v69 offset0:3 offset1:4
	s_waitcnt lgkmcnt(4)
	v_fma_f32 v24, -v65, v38, v24
	s_add_i32 s19, s6, s20
	v_fma_f32 v24, -v66, v25, v24
	s_add_i32 s20, s15, 0x64
	v_mul_f32_e32 v68, v32, v24
	v_add_lshl_u32 v24, s20, v0, 2
	v_fma_f32 v8, -v1, v8, v18
	ds_write_b32 v24, v68 offset:1600
	v_fma_f32 v8, -v63, v35, v8
	ds_read2_b32 v[24:25], v62 offset0:126 offset1:147
	s_waitcnt lgkmcnt(2)
	v_fma_f32 v8, -v64, v28, v8
	v_fma_f32 v8, -v65, v39, v8
	;; [unrolled: 1-line block ×3, first 2 shown]
	s_add_i32 s18, s6, s20
	v_fma_f32 v8, -v68, v33, v8
	s_add_i32 s20, s15, 0x78
	s_waitcnt lgkmcnt(0)
	v_mul_f32_e32 v71, v24, v8
	v_add_lshl_u32 v8, s20, v0, 2
	ds_write_b32 v8, v71 offset:1600
	v_fma_f32 v8, -v1, v9, v19
	ds_read_b32 v70, v34 offset:60
	v_fma_f32 v18, -v63, v36, v8
	ds_read2_b32 v[8:9], v34 offset0:7 offset1:8
	s_lshl_b32 s18, s18, 2
	v_mov_b32_e32 v24, s18
	s_add_i32 s18, s6, s20
	v_fma_f32 v18, -v64, v29, v18
	s_lshl_b32 s18, s18, 2
	ds_read2_b32 v[28:29], v34 offset0:9 offset1:10
	ds_read2_b32 v[48:49], v34 offset0:11 offset1:12
	;; [unrolled: 1-line block ×3, first 2 shown]
	s_waitcnt lgkmcnt(3)
	v_fma_f32 v8, -v65, v8, v18
	v_mov_b32_e32 v72, s18
	ds_read2_b32 v[18:19], v24 offset0:7 offset1:8
	ds_read2_b32 v[52:53], v24 offset0:9 offset1:10
	ds_read2_b32 v[54:55], v24 offset0:11 offset1:12
	ds_read2_b32 v[56:57], v24 offset0:13 offset1:14
	ds_read2_b32 v[40:41], v72 offset0:7 offset1:8
	v_fma_f32 v8, -v66, v27, v8
	s_waitcnt lgkmcnt(4)
	v_fma_f32 v8, -v68, v18, v8
	s_add_i32 s18, s15, 0x8c
	s_lshl_b32 s19, s19, 2
	s_waitcnt lgkmcnt(0)
	v_fma_f32 v8, -v71, v40, v8
	v_mul_f32_e32 v74, v25, v8
	v_add_lshl_u32 v8, s18, v0, 2
	ds_read2_b32 v[58:59], v72 offset0:9 offset1:10
	ds_read2_b32 v[60:61], v72 offset0:11 offset1:12
	ds_read_b32 v73, v24 offset:60
	ds_write_b32 v8, v74 offset:1600
	v_mov_b32_e32 v8, s19
	ds_read_b128 v[24:27], v8 offset:32
	v_fma_f32 v2, -v1, v2, v16
	v_fma_f32 v2, -v63, v37, v2
	;; [unrolled: 1-line block ×3, first 2 shown]
	s_or_b32 s20, s6, 8
	v_fma_f32 v2, -v65, v9, v2
	s_add_i32 s18, s6, s18
	s_lshl_b32 s18, s18, 2
	s_waitcnt lgkmcnt(0)
	v_fma_f32 v2, -v66, v24, v2
	s_mul_i32 s19, s20, 0x54
	v_mov_b32_e32 v9, s18
	ds_read_b128 v[32:35], v8 offset:48
	ds_read_b128 v[36:39], v9 offset:32
	v_fma_f32 v2, -v68, v19, v2
	v_mov_b32_e32 v8, s19
	v_fma_f32 v2, -v71, v41, v2
	ds_read_b128 v[40:43], v9 offset:48
	ds_read_b128 v[44:47], v8
	s_waitcnt lgkmcnt(2)
	v_fma_f32 v2, -v74, v36, v2
	s_mul_i32 s18, s20, 20
	s_or_b32 s19, s6, 9
	s_mul_i32 s20, s19, 0x54
	s_waitcnt lgkmcnt(0)
	v_mul_f32_e32 v36, v44, v2
	v_add_lshl_u32 v2, s18, v0, 2
	ds_write_b32 v2, v36 offset:1600
	v_fma_f32 v2, -v1, v3, v17
	v_fma_f32 v2, -v63, v22, v2
	;; [unrolled: 1-line block ×3, first 2 shown]
	v_mov_b32_e32 v8, s20
	v_fma_f32 v2, -v65, v28, v2
	ds_read2_b32 v[8:9], v8 offset1:1
	v_fma_f32 v2, -v66, v25, v2
	v_fma_f32 v2, -v68, v52, v2
	;; [unrolled: 1-line block ×4, first 2 shown]
	ds_read2_b64 v[16:19], v69 offset0:5 offset1:6
	v_fma_f32 v2, -v36, v45, v2
	s_mul_i32 s19, s19, 20
	s_waitcnt lgkmcnt(1)
	v_mul_f32_e32 v28, v8, v2
	v_add_lshl_u32 v2, s19, v0, 2
	s_or_b32 s21, s6, 10
	ds_write_b32 v2, v28 offset:1600
	v_fma_f32 v2, -v1, v4, v14
	s_mul_i32 s23, s21, 0x54
	v_fma_f32 v2, -v63, v23, v2
	v_mov_b32_e32 v3, s23
	ds_read2_b64 v[22:25], v3 offset1:1
	s_waitcnt lgkmcnt(2)
	v_fma_f32 v2, -v64, v16, v2
	v_fma_f32 v2, -v65, v29, v2
	;; [unrolled: 1-line block ×8, first 2 shown]
	s_mul_i32 s21, s21, 20
	s_waitcnt lgkmcnt(0)
	v_mul_f32_e32 v29, v22, v2
	v_add_lshl_u32 v2, s21, v0, 2
	ds_write_b32 v2, v29 offset:1600
	v_fma_f32 v2, -v1, v5, v15
	s_add_i32 s19, s6, s19
	v_fma_f32 v2, -v63, v6, v2
	s_lshl_b32 s19, s19, 2
	v_fma_f32 v2, -v64, v17, v2
	v_mov_b32_e32 v3, s19
	s_or_b32 s19, s6, 11
	v_fma_f32 v2, -v65, v48, v2
	ds_read2_b32 v[8:9], v3 offset0:11 offset1:12
	v_fma_f32 v2, -v66, v27, v2
	s_mul_i32 s23, s19, 0x54
	v_fma_f32 v2, -v68, v54, v2
	v_mov_b32_e32 v4, s23
	ds_read2_b32 v[26:27], v4 offset1:1
	ds_read_b64 v[30:31], v69 offset:56
	v_fma_f32 v2, -v71, v60, v2
	v_fma_f32 v2, -v74, v39, v2
	;; [unrolled: 1-line block ×3, first 2 shown]
	s_add_i32 s20, s6, s15
	s_waitcnt lgkmcnt(2)
	v_fma_f32 v2, -v28, v8, v2
	s_lshl_b32 s20, s20, 2
	v_fma_f32 v2, -v29, v23, v2
	s_waitcnt lgkmcnt(1)
	v_mul_f32_e32 v38, v26, v2
	v_mov_b32_e32 v2, s20
	ds_read2_b32 v[22:23], v3 offset0:13 offset1:14
	ds_read_b32 v37, v3 offset:60
	ds_read_b128 v[2:5], v2 offset:48
	s_add_i32 s18, s6, s18
	s_mul_i32 s19, s19, 20
	s_lshl_b32 s18, s18, 2
	v_add_lshl_u32 v6, s19, v0, 2
	ds_write_b32 v6, v38 offset:1600
	v_mov_b32_e32 v6, s18
	ds_read_b128 v[14:17], v6 offset:48
	s_waitcnt lgkmcnt(2)
	v_fma_f32 v2, -v1, v2, v12
	v_fma_f32 v2, -v63, v7, v2
	;; [unrolled: 1-line block ×8, first 2 shown]
	s_waitcnt lgkmcnt(0)
	v_fma_f32 v2, -v36, v14, v2
	v_fma_f32 v2, -v28, v9, v2
	ds_read_b128 v[6:9], v62 offset:1008
	v_fma_f32 v2, -v29, v24, v2
	s_add_i32 s18, s6, s19
	v_fma_f32 v2, -v38, v27, v2
	s_add_i32 s19, s15, 0xf0
	s_waitcnt lgkmcnt(0)
	v_mul_f32_e32 v6, v6, v2
	v_add_lshl_u32 v2, s19, v0, 2
	ds_write_b32 v2, v6 offset:1600
	v_fma_f32 v2, -v1, v3, v13
	v_fma_f32 v2, -v63, v20, v2
	ds_read_b64 v[26:27], v62 offset:1176
	v_fma_f32 v12, -v64, v19, v2
	ds_read2_b32 v[2:3], v72 offset0:13 offset1:14
	ds_read_b32 v20, v72 offset:60
	v_fma_f32 v12, -v65, v50, v12
	v_fma_f32 v12, -v66, v33, v12
	;; [unrolled: 1-line block ×4, first 2 shown]
	s_waitcnt lgkmcnt(1)
	v_fma_f32 v2, -v71, v2, v12
	v_fma_f32 v4, -v63, v21, v4
	v_fma_f32 v2, -v74, v41, v2
	v_fma_f32 v4, -v64, v30, v4
	s_lshl_b32 s18, s18, 2
	v_fma_f32 v2, -v36, v15, v2
	v_fma_f32 v4, -v65, v51, v4
	s_add_i32 s21, s6, s21
	v_fma_f32 v2, -v28, v22, v2
	v_mov_b32_e32 v22, s18
	v_fma_f32 v4, -v66, v34, v4
	s_lshl_b32 s21, s21, 2
	ds_read2_b32 v[12:13], v22 offset0:13 offset1:14
	s_addk_i32 s9, 0x444
	v_fma_f32 v4, -v68, v57, v4
	v_mov_b32_e32 v18, s9
	v_mov_b32_e32 v14, s21
	v_fma_f32 v3, -v71, v3, v4
	ds_read_b64 v[14:15], v14 offset:56
	ds_read2_b32 v[18:19], v18 offset1:1
	ds_read_b32 v22, v22 offset:60
	v_fma_f32 v3, -v74, v42, v3
	v_fma_f32 v3, -v36, v16, v3
	;; [unrolled: 1-line block ×6, first 2 shown]
	s_waitcnt lgkmcnt(3)
	v_fma_f32 v2, -v38, v12, v2
	s_waitcnt lgkmcnt(2)
	v_fma_f32 v3, -v29, v14, v3
	v_fma_f32 v1, -v64, v31, v1
	;; [unrolled: 1-line block ×5, first 2 shown]
	s_add_i32 s9, s15, 0x104
	s_waitcnt lgkmcnt(1)
	v_mul_f32_e32 v2, v18, v2
	v_fma_f32 v3, -v6, v8, v3
	v_fma_f32 v1, -v66, v35, v1
	s_add_i32 s8, s6, 16
	s_add_i32 s6, s6, s9
	v_fma_f32 v3, -v2, v19, v3
	s_addk_i32 s15, 0x118
	v_fma_f32 v1, -v68, v73, v1
	s_lshl_b32 s6, s6, 2
	v_mul_f32_e32 v3, v26, v3
	v_add_lshl_u32 v4, s15, v0, 2
	v_fma_f32 v1, -v71, v20, v1
	ds_write_b32 v4, v3 offset:1600
	v_fma_f32 v1, -v74, v43, v1
	v_mov_b32_e32 v4, s6
	v_fma_f32 v1, -v36, v17, v1
	ds_read_b32 v4, v4 offset:60
	s_mul_i32 s6, s14, 0x54
	v_fma_f32 v1, -v28, v37, v1
	v_mov_b32_e32 v5, s6
	ds_read_b32 v5, v5
	v_fma_f32 v1, -v29, v15, v1
	s_waitcnt lgkmcnt(3)
	v_fma_f32 v1, -v38, v22, v1
	v_fma_f32 v1, -v6, v9, v1
	s_waitcnt lgkmcnt(1)
	v_fma_f32 v1, -v2, v4, v1
	v_add_lshl_u32 v7, s9, v0, 2
	v_fma_f32 v1, -v3, v27, v1
	s_mul_i32 s14, s14, 20
	ds_write_b32 v7, v2 offset:1600
	s_waitcnt lgkmcnt(1)
	v_mul_f32_e32 v1, v5, v1
	v_add_lshl_u32 v2, s14, v0, 2
	s_mov_b32 s6, s8
	ds_write_b32 v2, v1 offset:1600
.LBB23_64:
	s_cmp_ge_i32 s6, s26
	s_cbranch_scc1 .LBB23_75
; %bb.65:
	v_mov_b32_e32 v1, 0x640
	s_add_i32 s8, s6, -1
	s_lshl_b32 s9, s6, 2
	v_lshl_add_u32 v1, v0, 2, v1
	s_mov_b32 s14, 0
	s_mov_b32 s15, s6
	s_branch .LBB23_67
.LBB23_66:                              ;   in Loop: Header=BB23_67 Depth=1
	s_mul_i32 s18, s6, 0x54
	v_mov_b32_e32 v4, s18
	ds_read_b32 v4, v4
	s_add_i32 s6, s6, 1
	s_add_i32 s14, s14, 1
	;; [unrolled: 1-line block ×3, first 2 shown]
	v_add_u16_e64 v5, s15, 1
	v_add_u32_e32 v3, 0x640, v3
	s_waitcnt lgkmcnt(0)
	v_mul_f32_e32 v2, v4, v2
	s_cmp_ge_i32 s6, s26
	v_readfirstlane_b32 s15, v5
	ds_write_b32 v3, v2
	s_cbranch_scc1 .LBB23_75
.LBB23_67:                              ; =>This Loop Header: Depth=1
                                        ;     Child Loop BB23_70 Depth 2
                                        ;     Child Loop BB23_74 Depth 2
	s_mul_i32 s18, s6, 20
	v_add_lshl_u32 v3, s18, v0, 2
	ds_read_b32 v2, v3 offset:1600
	s_cmp_eq_u32 s6, 0
	s_cbranch_scc1 .LBB23_66
; %bb.68:                               ;   in Loop: Header=BB23_67 Depth=1
	s_add_i32 s18, s8, s14
	s_cmp_lt_u32 s18, 7
	s_cbranch_scc1 .LBB23_72
; %bb.69:                               ;   in Loop: Header=BB23_67 Depth=1
	s_and_b32 s18, s6, -8
	s_mov_b32 s19, 0
	v_mov_b32_e32 v4, v1
	s_mov_b32 s20, s9
.LBB23_70:                              ;   Parent Loop BB23_67 Depth=1
                                        ; =>  This Inner Loop Header: Depth=2
	ds_read2_b32 v[6:7], v4 offset1:20
	v_mov_b32_e32 v5, s20
	ds_read2_b32 v[8:9], v4 offset0:40 offset1:60
	ds_read2_b32 v[10:11], v4 offset0:80 offset1:100
	;; [unrolled: 1-line block ×3, first 2 shown]
	ds_read2_b32 v[14:15], v5 offset1:20
	ds_read2_b32 v[16:17], v5 offset0:40 offset1:60
	ds_read2_b32 v[18:19], v5 offset0:80 offset1:100
	;; [unrolled: 1-line block ×3, first 2 shown]
	s_add_i32 s19, s19, 8
	s_waitcnt lgkmcnt(3)
	v_fma_f32 v2, -v6, v14, v2
	v_fma_f32 v2, -v7, v15, v2
	s_waitcnt lgkmcnt(2)
	v_fma_f32 v2, -v8, v16, v2
	v_fma_f32 v2, -v9, v17, v2
	;; [unrolled: 3-line block ×3, first 2 shown]
	s_addk_i32 s20, 0x280
	s_waitcnt lgkmcnt(0)
	v_fma_f32 v2, -v12, v20, v2
	v_add_u32_e32 v4, 0x280, v4
	s_cmp_lg_u32 s18, s19
	v_fma_f32 v2, -v13, v21, v2
	s_cbranch_scc1 .LBB23_70
; %bb.71:                               ;   in Loop: Header=BB23_67 Depth=1
	s_and_b32 s19, s6, 7
	s_cmp_eq_u32 s19, 0
	s_cbranch_scc0 .LBB23_73
	s_branch .LBB23_66
.LBB23_72:                              ;   in Loop: Header=BB23_67 Depth=1
	s_mov_b32 s18, 0
	s_and_b32 s19, s6, 7
	s_cmp_eq_u32 s19, 0
	s_cbranch_scc1 .LBB23_66
.LBB23_73:                              ;   in Loop: Header=BB23_67 Depth=1
	s_and_b32 s19, s15, 7
	s_mulk_i32 s18, 0x50
.LBB23_74:                              ;   Parent Loop BB23_67 Depth=1
                                        ; =>  This Inner Loop Header: Depth=2
	s_add_i32 s20, s9, s18
	v_add_u32_e32 v4, s18, v1
	v_mov_b32_e32 v5, s20
	ds_read_b32 v4, v4
	ds_read_b32 v5, v5
	s_addk_i32 s18, 0x50
	s_add_i32 s19, s19, -1
	s_cmp_lg_u32 s19, 0
	s_waitcnt lgkmcnt(0)
	v_fma_f32 v2, -v4, v5, v2
	s_cbranch_scc1 .LBB23_74
	s_branch .LBB23_66
.LBB23_75:
	s_waitcnt lgkmcnt(0)
	; wave barrier
	s_waitcnt lgkmcnt(0)
	s_and_saveexec_b64 s[8:9], s[12:13]
	s_cbranch_execz .LBB23_87
; %bb.76:
	s_cmp_lt_i32 s10, 2
	s_cbranch_scc1 .LBB23_84
; %bb.77:
	s_add_i32 s8, s26, -2
	s_lshr_b32 s9, s8, 1
	s_add_i32 s9, s9, 1
	s_mov_b32 s10, 0
	s_mov_b32 s6, 1
	s_cmp_lt_u32 s8, 14
	s_mov_b32 s8, s10
	s_cbranch_scc1 .LBB23_80
; %bb.78:
	s_mul_i32 s8, s1, s7
	s_mul_hi_u32 s10, s0, s7
	s_add_i32 s15, s10, s8
	s_mul_i32 s14, s0, s7
	s_lshl_b64 s[18:19], s[4:5], 2
	v_lshlrev_b32_e32 v1, 2, v0
	s_and_b32 s12, s9, -8
	s_lshl_b64 s[14:15], s[14:15], 2
	v_mov_b32_e32 v2, s19
	v_add_co_u32_e32 v1, vcc, s18, v1
	s_lshl_b64 s[18:19], s[16:17], 2
	s_add_u32 s8, s2, s18
	s_addc_u32 s10, s3, s19
	s_add_u32 s14, s8, s14
	s_addc_u32 s15, s10, s15
	v_addc_co_u32_e32 v4, vcc, 0, v2, vcc
	v_pk_mov_b32 v[2:3], s[14:15], s[14:15] op_sel:[0,1]
	v_mad_u64_u32 v[2:3], s[14:15], v1, s22, v[2:3]
	v_mul_lo_u32 v1, v1, s11
	v_mul_lo_u32 v4, v4, s22
	v_add3_u32 v1, v4, v3, v1
	v_add_co_u32_e32 v2, vcc, 56, v2
	v_addc_co_u32_e32 v3, vcc, 0, v1, vcc
	s_mov_b32 s8, 0
	s_mov_b32 s10, 0
.LBB23_79:                              ; =>This Inner Loop Header: Depth=1
	s_mul_i32 s13, s6, 20
	s_mul_i32 s14, s10, 20
	v_add_lshl_u32 v1, s14, v0, 2
	v_add_lshl_u32 v5, s13, v0, 2
	s_add_i32 s15, s13, 40
	s_add_i32 s18, s14, 40
	s_add_i32 s19, s13, 0x50
	s_add_i32 s20, s14, 0x50
	s_add_i32 s21, s13, 0x78
	s_add_i32 s23, s14, 0x78
	s_add_i32 s24, s13, 0xa0
	s_add_i32 s25, s14, 0xa0
	s_add_i32 s27, s13, 0xc8
	s_add_i32 s28, s14, 0xc8
	s_add_i32 s29, s13, 0xf0
	s_add_i32 s30, s14, 0xf0
	s_addk_i32 s13, 0x118
	s_addk_i32 s14, 0x118
	v_add_lshl_u32 v6, s18, v0, 2
	v_add_lshl_u32 v7, s15, v0, 2
	;; [unrolled: 1-line block ×14, first 2 shown]
	ds_read_b32 v4, v1 offset:1600
	ds_read_b32 v5, v5 offset:1600
	;; [unrolled: 1-line block ×16, first 2 shown]
	s_add_i32 s8, s8, 16
	s_add_i32 s6, s6, 16
	;; [unrolled: 1-line block ×3, first 2 shown]
	s_add_i32 s12, s12, -8
	s_waitcnt lgkmcnt(12)
	global_store_dwordx4 v[2:3], v[4:7], off offset:-56
	s_waitcnt lgkmcnt(8)
	global_store_dwordx4 v[2:3], v[8:11], off offset:-40
	;; [unrolled: 2-line block ×4, first 2 shown]
	v_add_co_u32_e32 v2, vcc, 64, v2
	s_cmp_lg_u32 s12, 0
	v_addc_co_u32_e32 v3, vcc, 0, v3, vcc
	s_cbranch_scc1 .LBB23_79
.LBB23_80:
	s_and_b32 s12, s9, 7
	s_cmp_eq_u32 s12, 0
	s_mov_b32 s9, 0
	s_cbranch_scc1 .LBB23_83
; %bb.81:
	s_mul_i32 s13, s1, s7
	s_mul_hi_u32 s14, s0, s7
	s_add_i32 s15, s14, s13
	s_mul_i32 s14, s0, s7
	s_lshl_b64 s[18:19], s[4:5], 2
	v_lshlrev_b32_e32 v1, 2, v0
	s_lshl_b64 s[14:15], s[14:15], 2
	v_mov_b32_e32 v2, s19
	v_add_co_u32_e32 v1, vcc, s18, v1
	s_lshl_b64 s[18:19], s[16:17], 2
	s_lshl_b64 s[8:9], s[8:9], 2
	s_add_u32 s8, s2, s8
	s_addc_u32 s9, s3, s9
	s_add_u32 s8, s8, s18
	s_addc_u32 s9, s9, s19
	;; [unrolled: 2-line block ×3, first 2 shown]
	v_addc_co_u32_e32 v4, vcc, 0, v2, vcc
	v_pk_mov_b32 v[2:3], s[8:9], s[8:9] op_sel:[0,1]
	v_mad_u64_u32 v[2:3], s[8:9], v1, s22, v[2:3]
	v_mul_lo_u32 v1, v1, s11
	v_mul_lo_u32 v4, v4, s22
	v_add3_u32 v3, v4, v3, v1
	s_lshl_b32 s8, s12, 3
.LBB23_82:                              ; =>This Inner Loop Header: Depth=1
	s_mul_i32 s9, s6, 20
	s_mul_i32 s12, s10, 20
	v_add_lshl_u32 v1, s12, v0, 2
	v_add_lshl_u32 v5, s9, v0, 2
	ds_read_b32 v4, v1 offset:1600
	ds_read_b32 v5, v5 offset:1600
	s_add_i32 s6, s6, 2
	s_add_i32 s10, s10, 2
	s_add_i32 s8, s8, -8
	s_cmp_lg_u32 s8, 0
	s_waitcnt lgkmcnt(0)
	global_store_dwordx2 v[2:3], v[4:5], off
	v_add_co_u32_e32 v2, vcc, 8, v2
	v_addc_co_u32_e32 v3, vcc, 0, v3, vcc
	s_cbranch_scc1 .LBB23_82
.LBB23_83:
	s_and_b32 s10, s26, 30
	s_cmp_lg_u32 s26, s10
	s_cselect_b64 s[8:9], -1, 0
	s_and_b64 vcc, exec, s[8:9]
	s_cbranch_vccnz .LBB23_85
	s_branch .LBB23_87
.LBB23_84:
	s_mov_b32 s10, 0
	s_cbranch_execz .LBB23_87
.LBB23_85:
	s_mul_i32 s8, s10, 0x50
	v_lshl_add_u32 v1, v0, 2, s8
	s_mul_i32 s1, s1, s7
	s_mul_hi_u32 s8, s0, s7
	s_add_i32 s1, s8, s1
	s_mul_i32 s0, s0, s7
	s_lshl_b64 s[4:5], s[4:5], 2
	v_lshlrev_b32_e32 v0, 2, v0
	s_sub_i32 s6, s26, s10
	v_add_u32_e32 v2, 0x640, v1
	s_lshl_b64 s[0:1], s[0:1], 2
	v_mov_b32_e32 v1, s5
	v_add_co_u32_e32 v3, vcc, s4, v0
	s_lshl_b64 s[4:5], s[16:17], 2
	s_lshl_b32 s7, s10, 2
	s_add_u32 s2, s2, s7
	s_addc_u32 s3, s3, 0
	s_add_u32 s2, s2, s4
	s_addc_u32 s3, s3, s5
	s_add_u32 s0, s2, s0
	s_addc_u32 s1, s3, s1
	v_addc_co_u32_e32 v4, vcc, 0, v1, vcc
	v_pk_mov_b32 v[0:1], s[0:1], s[0:1] op_sel:[0,1]
	v_mad_u64_u32 v[0:1], s[0:1], v3, s22, v[0:1]
	v_mul_lo_u32 v3, v3, s11
	v_mul_lo_u32 v4, v4, s22
	v_add3_u32 v1, v4, v1, v3
.LBB23_86:                              ; =>This Inner Loop Header: Depth=1
	ds_read_b32 v3, v2
	s_add_i32 s6, s6, -1
	v_add_u32_e32 v2, 0x50, v2
	s_cmp_lg_u32 s6, 0
	s_waitcnt lgkmcnt(0)
	global_store_dword v[0:1], v3, off
	v_add_co_u32_e32 v0, vcc, 4, v0
	v_addc_co_u32_e32 v1, vcc, 0, v1, vcc
	s_cbranch_scc1 .LBB23_86
.LBB23_87:
	s_endpgm
	.section	.rodata,"a",@progbits
	.p2align	6, 0x0
	.amdhsa_kernel _ZL38rocblas_trsm_small_left_device_sharedBILi20ELi20ELb1EffPKfPfEv13rocblas_fill_18rocblas_operation_17rocblas_diagonal_iiT3_T4_lilT5_lili
		.amdhsa_group_segment_fixed_size 3200
		.amdhsa_private_segment_fixed_size 0
		.amdhsa_kernarg_size 352
		.amdhsa_user_sgpr_count 6
		.amdhsa_user_sgpr_private_segment_buffer 1
		.amdhsa_user_sgpr_dispatch_ptr 0
		.amdhsa_user_sgpr_queue_ptr 0
		.amdhsa_user_sgpr_kernarg_segment_ptr 1
		.amdhsa_user_sgpr_dispatch_id 0
		.amdhsa_user_sgpr_flat_scratch_init 0
		.amdhsa_user_sgpr_kernarg_preload_length 0
		.amdhsa_user_sgpr_kernarg_preload_offset 0
		.amdhsa_user_sgpr_private_segment_size 0
		.amdhsa_uses_dynamic_stack 0
		.amdhsa_system_sgpr_private_segment_wavefront_offset 0
		.amdhsa_system_sgpr_workgroup_id_x 1
		.amdhsa_system_sgpr_workgroup_id_y 0
		.amdhsa_system_sgpr_workgroup_id_z 1
		.amdhsa_system_sgpr_workgroup_info 0
		.amdhsa_system_vgpr_workitem_id 0
		.amdhsa_next_free_vgpr 84
		.amdhsa_next_free_sgpr 43
		.amdhsa_accum_offset 84
		.amdhsa_reserve_vcc 1
		.amdhsa_reserve_flat_scratch 0
		.amdhsa_float_round_mode_32 0
		.amdhsa_float_round_mode_16_64 0
		.amdhsa_float_denorm_mode_32 3
		.amdhsa_float_denorm_mode_16_64 3
		.amdhsa_dx10_clamp 1
		.amdhsa_ieee_mode 1
		.amdhsa_fp16_overflow 0
		.amdhsa_tg_split 0
		.amdhsa_exception_fp_ieee_invalid_op 0
		.amdhsa_exception_fp_denorm_src 0
		.amdhsa_exception_fp_ieee_div_zero 0
		.amdhsa_exception_fp_ieee_overflow 0
		.amdhsa_exception_fp_ieee_underflow 0
		.amdhsa_exception_fp_ieee_inexact 0
		.amdhsa_exception_int_div_zero 0
	.end_amdhsa_kernel
	.section	.text._ZL38rocblas_trsm_small_left_device_sharedBILi20ELi20ELb1EffPKfPfEv13rocblas_fill_18rocblas_operation_17rocblas_diagonal_iiT3_T4_lilT5_lili,"axG",@progbits,_ZL38rocblas_trsm_small_left_device_sharedBILi20ELi20ELb1EffPKfPfEv13rocblas_fill_18rocblas_operation_17rocblas_diagonal_iiT3_T4_lilT5_lili,comdat
.Lfunc_end23:
	.size	_ZL38rocblas_trsm_small_left_device_sharedBILi20ELi20ELb1EffPKfPfEv13rocblas_fill_18rocblas_operation_17rocblas_diagonal_iiT3_T4_lilT5_lili, .Lfunc_end23-_ZL38rocblas_trsm_small_left_device_sharedBILi20ELi20ELb1EffPKfPfEv13rocblas_fill_18rocblas_operation_17rocblas_diagonal_iiT3_T4_lilT5_lili
                                        ; -- End function
	.section	.AMDGPU.csdata,"",@progbits
; Kernel info:
; codeLenInByte = 18216
; NumSgprs: 47
; NumVgprs: 84
; NumAgprs: 0
; TotalNumVgprs: 84
; ScratchSize: 0
; MemoryBound: 0
; FloatMode: 240
; IeeeMode: 1
; LDSByteSize: 3200 bytes/workgroup (compile time only)
; SGPRBlocks: 5
; VGPRBlocks: 10
; NumSGPRsForWavesPerEU: 47
; NumVGPRsForWavesPerEU: 84
; AccumOffset: 84
; Occupancy: 5
; WaveLimiterHint : 0
; COMPUTE_PGM_RSRC2:SCRATCH_EN: 0
; COMPUTE_PGM_RSRC2:USER_SGPR: 6
; COMPUTE_PGM_RSRC2:TRAP_HANDLER: 0
; COMPUTE_PGM_RSRC2:TGID_X_EN: 1
; COMPUTE_PGM_RSRC2:TGID_Y_EN: 0
; COMPUTE_PGM_RSRC2:TGID_Z_EN: 1
; COMPUTE_PGM_RSRC2:TIDIG_COMP_CNT: 0
; COMPUTE_PGM_RSRC3_GFX90A:ACCUM_OFFSET: 20
; COMPUTE_PGM_RSRC3_GFX90A:TG_SPLIT: 0
	.section	.text._ZL30rocblas_trsm_small_left_deviceILi20ELi20ELb1EffPKfPfEv13rocblas_fill_18rocblas_operation_17rocblas_diagonal_iiT3_T4_lilT5_lili,"axG",@progbits,_ZL30rocblas_trsm_small_left_deviceILi20ELi20ELb1EffPKfPfEv13rocblas_fill_18rocblas_operation_17rocblas_diagonal_iiT3_T4_lilT5_lili,comdat
	.globl	_ZL30rocblas_trsm_small_left_deviceILi20ELi20ELb1EffPKfPfEv13rocblas_fill_18rocblas_operation_17rocblas_diagonal_iiT3_T4_lilT5_lili ; -- Begin function _ZL30rocblas_trsm_small_left_deviceILi20ELi20ELb1EffPKfPfEv13rocblas_fill_18rocblas_operation_17rocblas_diagonal_iiT3_T4_lilT5_lili
	.p2align	8
	.type	_ZL30rocblas_trsm_small_left_deviceILi20ELi20ELb1EffPKfPfEv13rocblas_fill_18rocblas_operation_17rocblas_diagonal_iiT3_T4_lilT5_lili,@function
_ZL30rocblas_trsm_small_left_deviceILi20ELi20ELb1EffPKfPfEv13rocblas_fill_18rocblas_operation_17rocblas_diagonal_iiT3_T4_lilT5_lili: ; @_ZL30rocblas_trsm_small_left_deviceILi20ELi20ELb1EffPKfPfEv13rocblas_fill_18rocblas_operation_17rocblas_diagonal_iiT3_T4_lilT5_lili
; %bb.0:
	s_load_dwordx4 s[8:11], s[4:5], 0x4
	s_load_dword s16, s[4:5], 0x14
	s_load_dwordx4 s[0:3], s[4:5], 0x30
	s_load_dwordx2 s[20:21], s[4:5], 0x40
	s_mov_b32 s19, 0
	s_waitcnt lgkmcnt(0)
	s_min_i32 s18, s10, 20
	v_cmp_gt_i32_e32 vcc, s18, v0
	s_and_saveexec_b64 s[22:23], vcc
	s_cbranch_execz .LBB24_15
; %bb.1:
	s_load_dword s24, s[4:5], 0x28
	s_load_dwordx4 s[12:15], s[4:5], 0x18
	s_cmp_gt_u32 s18, 1
	s_cselect_b64 s[26:27], -1, 0
	s_mov_b32 s17, 1
	s_waitcnt lgkmcnt(0)
	s_cmp_eq_u32 s24, 1
	s_cselect_b64 s[28:29], -1, 0
	s_and_b64 s[28:29], s[26:27], s[28:29]
	s_mov_b64 s[26:27], -1
	s_and_b64 vcc, exec, s[28:29]
	s_cbranch_vccz .LBB24_9
; %bb.2:
	s_add_i32 s26, s18, -2
	s_lshr_b32 s25, s26, 1
	s_add_i32 s25, s25, 1
	s_cmp_lt_u32 s26, 14
	s_mov_b32 s26, s19
	s_cbranch_scc1 .LBB24_5
; %bb.3:
	s_mul_i32 s17, s1, s7
	s_mul_hi_u32 s19, s0, s7
	s_add_i32 s29, s19, s17
	s_mul_i32 s28, s0, s7
	s_and_b32 s27, s25, -8
	s_lshl_b64 s[28:29], s[28:29], 2
	s_lshl_b64 s[30:31], s[14:15], 2
	s_add_u32 s17, s28, s30
	s_addc_u32 s19, s29, s31
	s_add_u32 s17, s12, s17
	v_lshlrev_b32_e32 v1, 2, v0
	s_addc_u32 s19, s13, s19
	v_mov_b32_e32 v2, s19
	v_add_co_u32_e32 v1, vcc, s17, v1
	v_addc_co_u32_e32 v3, vcc, 0, v2, vcc
	v_add_co_u32_e32 v2, vcc, 56, v1
	v_addc_co_u32_e32 v3, vcc, 0, v3, vcc
	s_mov_b32 s17, 1
	s_mov_b32 s26, 0
	;; [unrolled: 1-line block ×3, first 2 shown]
.LBB24_4:                               ; =>This Inner Loop Header: Depth=1
	global_load_dwordx4 v[4:7], v[2:3], off offset:-56
	global_load_dwordx4 v[8:11], v[2:3], off offset:-40
	;; [unrolled: 1-line block ×4, first 2 shown]
	s_mul_i32 s28, s17, 20
	s_mul_i32 s29, s19, 20
	s_add_i32 s26, s26, 16
	s_add_i32 s17, s17, 16
	;; [unrolled: 1-line block ×3, first 2 shown]
	s_add_i32 s27, s27, -8
	v_add_co_u32_e32 v2, vcc, 64, v2
	v_add_lshl_u32 v1, s29, v0, 2
	v_add_lshl_u32 v20, s28, v0, 2
	s_add_i32 s30, s28, 40
	s_add_i32 s31, s29, 40
	;; [unrolled: 1-line block ×12, first 2 shown]
	s_addk_i32 s28, 0x118
	s_addk_i32 s29, 0x118
	v_addc_co_u32_e32 v3, vcc, 0, v3, vcc
	s_cmp_lg_u32 s27, 0
	v_add_lshl_u32 v21, s31, v0, 2
	v_add_lshl_u32 v22, s30, v0, 2
	;; [unrolled: 1-line block ×14, first 2 shown]
	s_waitcnt vmcnt(3)
	ds_write_b32 v1, v4
	ds_write_b32 v20, v5
	ds_write_b32 v21, v6
	ds_write_b32 v22, v7
	s_waitcnt vmcnt(2)
	ds_write_b32 v23, v8
	ds_write_b32 v24, v9
	ds_write_b32 v25, v10
	ds_write_b32 v26, v11
	;; [unrolled: 5-line block ×4, first 2 shown]
	s_cbranch_scc1 .LBB24_4
.LBB24_5:
	s_and_b32 s25, s25, 7
	s_cmp_eq_u32 s25, 0
	s_mov_b32 s27, 0
	s_cbranch_scc1 .LBB24_8
; %bb.6:
	s_mul_i32 s28, s1, s7
	s_mul_hi_u32 s29, s0, s7
	s_add_i32 s29, s29, s28
	s_mul_i32 s28, s0, s7
	s_lshl_b64 s[28:29], s[28:29], 2
	s_lshl_b64 s[30:31], s[14:15], 2
	s_add_u32 s28, s28, s30
	s_addc_u32 s29, s29, s31
	s_lshl_b64 s[26:27], s[26:27], 2
	s_add_u32 s26, s12, s26
	s_addc_u32 s27, s13, s27
	s_add_u32 s26, s26, s28
	v_lshlrev_b32_e32 v1, 2, v0
	s_addc_u32 s27, s27, s29
	v_mov_b32_e32 v3, s27
	v_add_co_u32_e32 v2, vcc, s26, v1
	v_addc_co_u32_e32 v3, vcc, 0, v3, vcc
	s_lshl_b32 s25, s25, 3
.LBB24_7:                               ; =>This Inner Loop Header: Depth=1
	global_load_dwordx2 v[4:5], v[2:3], off
	s_mul_i32 s26, s17, 20
	s_mul_i32 s27, s19, 20
	s_add_i32 s17, s17, 2
	s_add_i32 s19, s19, 2
	v_add_co_u32_e32 v2, vcc, 8, v2
	s_add_i32 s25, s25, -8
	v_addc_co_u32_e32 v3, vcc, 0, v3, vcc
	v_add_lshl_u32 v1, s27, v0, 2
	s_cmp_lg_u32 s25, 0
	v_add_lshl_u32 v6, s26, v0, 2
	s_waitcnt vmcnt(0)
	ds_write_b32 v1, v4
	ds_write_b32 v6, v5
	s_cbranch_scc1 .LBB24_7
.LBB24_8:
	s_and_b32 s19, s18, -2
	s_cmp_lg_u32 s18, s19
	s_cselect_b64 s[26:27], -1, 0
.LBB24_9:
	s_and_b64 vcc, exec, s[26:27]
	s_cbranch_vccz .LBB24_12
; %bb.10:
	s_ashr_i32 s25, s24, 31
	s_mul_i32 s1, s1, s7
	s_mul_hi_u32 s17, s0, s7
	s_add_i32 s1, s17, s1
	s_mul_hi_u32 s17, s24, s19
	s_mul_i32 s26, s25, s19
	s_mul_i32 s0, s0, s7
	s_add_i32 s27, s17, s26
	s_mul_i32 s26, s24, s19
	s_lshl_b64 s[0:1], s[0:1], 2
	s_lshl_b64 s[26:27], s[26:27], 2
	s_add_u32 s17, s0, s26
	s_addc_u32 s26, s1, s27
	s_lshl_b64 s[0:1], s[14:15], 2
	s_add_u32 s0, s17, s0
	s_addc_u32 s1, s26, s1
	s_add_u32 s0, s12, s0
	v_lshlrev_b32_e32 v1, 2, v0
	s_addc_u32 s1, s13, s1
	v_mov_b32_e32 v3, s1
	v_add_co_u32_e32 v2, vcc, s0, v1
	s_lshl_b64 s[0:1], s[24:25], 2
	s_mul_i32 s13, s19, 0x50
	v_addc_co_u32_e32 v3, vcc, 0, v3, vcc
	s_sub_i32 s12, s18, s19
	v_lshl_add_u32 v1, v0, 2, s13
	v_mov_b32_e32 v4, s1
.LBB24_11:                              ; =>This Inner Loop Header: Depth=1
	global_load_dword v5, v[2:3], off
	v_add_co_u32_e32 v2, vcc, s0, v2
	s_add_i32 s12, s12, -1
	v_addc_co_u32_e32 v3, vcc, v3, v4, vcc
	s_cmp_eq_u32 s12, 0
	s_waitcnt vmcnt(0)
	ds_write_b32 v1, v5
	v_add_u32_e32 v1, 0x50, v1
	s_cbranch_scc0 .LBB24_11
.LBB24_12:
	v_mul_u32_u24_e32 v1, 21, v0
	s_cmpk_lg_i32 s9, 0x84
	v_lshlrev_b32_e32 v1, 2, v1
	v_mov_b32_e32 v2, 1.0
	s_cbranch_scc0 .LBB24_14
; %bb.13:
	ds_read_b32 v2, v1
	s_waitcnt lgkmcnt(0)
	v_div_scale_f32 v3, s[0:1], v2, v2, 1.0
	v_rcp_f32_e32 v4, v3
	v_div_scale_f32 v5, vcc, 1.0, v2, 1.0
	v_fma_f32 v6, -v3, v4, 1.0
	v_fmac_f32_e32 v4, v6, v4
	v_mul_f32_e32 v6, v5, v4
	v_fma_f32 v7, -v3, v6, v5
	v_fmac_f32_e32 v6, v7, v4
	v_fma_f32 v3, -v3, v6, v5
	v_div_fmas_f32 v3, v3, v4, v6
	v_div_fixup_f32 v2, v3, v2, 1.0
.LBB24_14:
	ds_write_b32 v1, v2
.LBB24_15:
	s_or_b64 exec, exec, s[22:23]
	s_load_dword s0, s[4:5], 0x60
	s_mul_i32 s1, s6, 0xffffffec
	s_add_i32 s1, s1, s11
	s_waitcnt lgkmcnt(0)
	; wave barrier
	s_waitcnt lgkmcnt(0)
	s_add_i32 s0, s0, -1
	s_cmp_ge_u32 s6, s0
	s_cselect_b32 s0, s1, 20
	v_cmp_gt_i32_e32 vcc, s0, v0
	s_and_saveexec_b64 s[0:1], vcc
	s_cbranch_execz .LBB24_62
; %bb.16:
	s_load_dwordx2 s[0:1], s[4:5], 0x50
	s_load_dword s9, s[4:5], 0x48
	s_waitcnt lgkmcnt(0)
	s_mul_i32 s1, s7, s1
	s_mul_hi_u32 s4, s7, s0
	s_mul_i32 s0, s7, s0
	s_add_i32 s1, s4, s1
	s_lshl_b64 s[0:1], s[0:1], 2
	s_add_u32 s7, s2, s0
	s_addc_u32 s11, s3, s1
	s_lshl_b64 s[4:5], s[20:21], 2
	s_add_u32 s12, s7, s4
	v_mad_u64_u32 v[0:1], s[6:7], s6, 20, v[0:1]
	v_mad_i64_i32 v[0:1], s[6:7], s9, v0, 0
	s_addc_u32 s11, s11, s5
	v_lshlrev_b64 v[46:47], 2, v[0:1]
	v_mov_b32_e32 v0, s11
	v_add_co_u32_e32 v44, vcc, s12, v46
	v_addc_co_u32_e32 v45, vcc, v0, v47, vcc
	s_cmpk_eq_i32 s8, 0x6f
	s_mov_b64 s[6:7], -1
	s_cbranch_scc1 .LBB24_39
; %bb.17:
	s_add_i32 s6, s18, -1
	s_cmp_gt_i32 s10, 19
	s_mov_b32 s8, s6
	s_cbranch_scc0 .LBB24_19
; %bb.18:
	s_ashr_i32 s19, s18, 31
	s_lshl_b64 s[8:9], s[18:19], 2
	v_mov_b32_e32 v0, s9
	v_add_co_u32_e32 v20, vcc, s8, v44
	v_addc_co_u32_e32 v21, vcc, v45, v0, vcc
	global_load_dword v7, v[20:21], off offset:-4
	s_mov_b32 s19, 0
	s_lshl_b64 s[8:9], s[18:19], 2
	v_mov_b32_e32 v0, s9
	v_add_co_u32_e32 v22, vcc, s8, v44
	v_addc_co_u32_e32 v23, vcc, v45, v0, vcc
	global_load_dwordx3 v[4:6], v[22:23], off offset:-16
	global_load_dwordx4 v[8:11], v[22:23], off offset:-32
	global_load_dwordx4 v[0:3], v[22:23], off offset:-80
	;; [unrolled: 1-line block ×4, first 2 shown]
	s_mul_i32 s7, s18, 20
	s_mul_i32 s8, s6, 0x54
	s_add_i32 s7, s7, s6
	s_add_i32 s9, s8, 0xffffffac
	;; [unrolled: 1-line block ×6, first 2 shown]
	s_lshl_b32 s7, s7, 2
	v_mov_b32_e32 v25, s9
	v_mov_b32_e32 v26, s11
	;; [unrolled: 1-line block ×5, first 2 shown]
	s_add_i32 s9, s7, 0xffffff10
	s_add_i32 s11, s7, 0xfffffebc
	;; [unrolled: 1-line block ×7, first 2 shown]
	v_mov_b32_e32 v24, s8
	v_mov_b32_e32 v27, s9
	;; [unrolled: 1-line block ×8, first 2 shown]
	ds_read_b32 v43, v24
	ds_read2_b32 v[22:23], v25 offset1:1
	ds_read_b32 v48, v27
	ds_read2_b32 v[24:25], v26 offset1:1
	ds_read2_b32 v[26:27], v29 offset1:1
	;; [unrolled: 1-line block ×3, first 2 shown]
	ds_read_b32 v49, v30
	ds_read2_b32 v[30:31], v31 offset1:1
	ds_read2_b32 v[32:33], v32 offset1:1
	;; [unrolled: 1-line block ×5, first 2 shown]
	ds_read_b32 v40, v40
	s_add_i32 s19, s7, 0xfffffdcc
	s_add_i32 s20, s7, 0xfffffdc4
	v_mov_b32_e32 v41, s19
	v_mov_b32_e32 v42, s20
	s_add_i32 s9, s7, 0xfffffdbc
	s_waitcnt vmcnt(5)
	v_mul_f32_e32 v7, s16, v7
	s_waitcnt lgkmcnt(12)
	v_mul_f32_e32 v7, v43, v7
	s_waitcnt lgkmcnt(11)
	v_mul_f32_e32 v23, v7, v23
	s_waitcnt lgkmcnt(10)
	v_mul_f32_e32 v43, v7, v48
	s_waitcnt lgkmcnt(8)
	v_mul_f32_e32 v27, v7, v27
	s_waitcnt lgkmcnt(0)
	v_mul_f32_e32 v40, v7, v40
	v_mul_f32_e32 v48, v7, v49
	s_waitcnt vmcnt(4)
	v_fma_f32 v6, v6, s16, -v23
	v_fma_f32 v5, v5, s16, -v43
	v_mul_f32_e32 v6, v22, v6
	v_fma_f32 v4, v4, s16, -v27
	v_fma_f32 v5, -v6, v25, v5
	v_fma_f32 v4, -v6, v26, v4
	v_mul_f32_e32 v5, v24, v5
	v_fma_f32 v4, -v5, v29, v4
	v_mul_f32_e32 v4, v28, v4
	global_store_dwordx4 v[20:21], v[4:7], off offset:-16
	ds_read_b32 v26, v41
	ds_read2_b32 v[22:23], v42 offset1:1
	s_waitcnt vmcnt(4)
	v_fma_f32 v9, v9, s16, -v40
	v_mov_b32_e32 v24, s9
	s_add_i32 s9, s8, 0xfffffe08
	s_waitcnt lgkmcnt(1)
	v_fma_f32 v9, -v6, v26, v9
	s_waitcnt lgkmcnt(0)
	v_fma_f32 v9, -v5, v23, v9
	v_mov_b32_e32 v23, s9
	s_add_i32 s9, s7, 0xfffffd80
	v_mul_f32_e32 v35, v7, v35
	v_fma_f32 v11, v11, s16, -v48
	v_mov_b32_e32 v26, s9
	v_fma_f32 v10, v10, s16, -v35
	v_fma_f32 v11, -v6, v31, v11
	ds_read2_b32 v[24:25], v24 offset1:1
	ds_read_b32 v26, v26
	v_fma_f32 v10, -v6, v34, v10
	v_fma_f32 v11, -v5, v30, v11
	;; [unrolled: 1-line block ×4, first 2 shown]
	ds_read_b32 v23, v23
	v_fma_f32 v10, -v4, v36, v10
	v_mul_f32_e32 v11, v32, v11
	v_fma_f32 v10, -v11, v39, v10
	v_fma_f32 v9, -v4, v22, v9
	v_mul_f32_e32 v10, v38, v10
	s_waitcnt lgkmcnt(2)
	v_fma_f32 v9, -v11, v25, v9
	s_waitcnt lgkmcnt(1)
	v_mul_f32_e32 v22, v7, v26
	s_add_i32 s9, s7, 0xfffffd78
	v_fma_f32 v9, -v10, v24, v9
	v_fma_f32 v8, v8, s16, -v22
	v_mov_b32_e32 v22, s9
	s_waitcnt lgkmcnt(0)
	v_mul_f32_e32 v9, v23, v9
	ds_read2_b32 v[22:23], v22 offset1:1
	s_add_i32 s9, s7, 0xfffffd70
	v_mov_b32_e32 v24, s9
	ds_read2_b32 v[24:25], v24 offset1:1
	s_add_i32 s9, s7, 0xfffffd68
	v_mov_b32_e32 v26, s9
	s_waitcnt lgkmcnt(1)
	v_fma_f32 v8, -v6, v23, v8
	s_add_i32 s9, s8, 0xfffffdb4
	ds_read2_b32 v[26:27], v26 offset1:1
	v_fma_f32 v8, -v5, v22, v8
	v_mov_b32_e32 v22, s9
	s_add_i32 s9, s7, 0xfffffd30
	v_mov_b32_e32 v23, s9
	ds_read_b32 v23, v23
	ds_read_b32 v22, v22
	s_waitcnt lgkmcnt(3)
	v_fma_f32 v8, -v4, v25, v8
	v_fma_f32 v8, -v11, v24, v8
	s_waitcnt lgkmcnt(2)
	v_fma_f32 v8, -v10, v27, v8
	v_fma_f32 v8, -v9, v26, v8
	s_waitcnt lgkmcnt(0)
	v_mul_f32_e32 v8, v22, v8
	v_mul_f32_e32 v22, v7, v23
	s_add_i32 s9, s7, 0xfffffd2c
	s_waitcnt vmcnt(1)
	v_fma_f32 v15, v15, s16, -v22
	v_mov_b32_e32 v22, s9
	s_add_i32 s9, s7, 0xfffffd24
	global_store_dwordx4 v[20:21], v[8:11], off offset:-32
	v_mov_b32_e32 v23, s9
	ds_read_b32 v28, v22
	ds_read2_b32 v[22:23], v23 offset1:1
	s_add_i32 s9, s7, 0xfffffd1c
	v_mov_b32_e32 v24, s9
	s_add_i32 s9, s7, 0xfffffd14
	v_mov_b32_e32 v26, s9
	s_waitcnt lgkmcnt(1)
	v_fma_f32 v15, -v6, v28, v15
	ds_read2_b32 v[24:25], v24 offset1:1
	ds_read2_b32 v[26:27], v26 offset1:1
	s_waitcnt lgkmcnt(2)
	v_fma_f32 v15, -v5, v23, v15
	s_add_i32 s9, s8, 0xfffffd60
	v_fma_f32 v15, -v4, v22, v15
	v_mov_b32_e32 v22, s9
	s_add_i32 s9, s7, 0xfffffce0
	v_mov_b32_e32 v23, s9
	ds_read_b32 v22, v22
	ds_read_b32 v23, v23
	s_waitcnt lgkmcnt(3)
	v_fma_f32 v15, -v11, v25, v15
	v_fma_f32 v15, -v10, v24, v15
	s_waitcnt lgkmcnt(2)
	v_fma_f32 v15, -v9, v27, v15
	v_fma_f32 v15, -v8, v26, v15
	s_waitcnt lgkmcnt(1)
	v_mul_f32_e32 v15, v22, v15
	s_waitcnt lgkmcnt(0)
	v_mul_f32_e32 v22, v7, v23
	s_add_i32 s9, s7, 0xfffffcd8
	v_fma_f32 v14, v14, s16, -v22
	v_mov_b32_e32 v22, s9
	s_add_i32 s9, s7, 0xfffffcd0
	ds_read2_b32 v[22:23], v22 offset1:1
	v_mov_b32_e32 v24, s9
	s_add_i32 s9, s7, 0xfffffcc8
	v_mov_b32_e32 v26, s9
	s_add_i32 s9, s7, 0xfffffcc0
	v_mov_b32_e32 v28, s9
	ds_read2_b32 v[24:25], v24 offset1:1
	ds_read2_b32 v[26:27], v26 offset1:1
	;; [unrolled: 1-line block ×3, first 2 shown]
	s_waitcnt lgkmcnt(3)
	v_fma_f32 v14, -v6, v23, v14
	s_addk_i32 s8, 0xfd0c
	v_fma_f32 v14, -v5, v22, v14
	v_mov_b32_e32 v22, s8
	s_add_i32 s8, s7, 0xfffffc90
	s_waitcnt lgkmcnt(2)
	v_fma_f32 v14, -v4, v25, v14
	v_mov_b32_e32 v23, s8
	v_fma_f32 v14, -v11, v24, v14
	ds_read_b32 v22, v22
	ds_read_b32 v23, v23
	s_waitcnt lgkmcnt(3)
	v_fma_f32 v14, -v10, v27, v14
	v_fma_f32 v14, -v9, v26, v14
	s_waitcnt lgkmcnt(2)
	v_fma_f32 v14, -v8, v29, v14
	v_fma_f32 v14, -v15, v28, v14
	s_waitcnt lgkmcnt(1)
	v_mul_f32_e32 v14, v22, v14
	s_waitcnt lgkmcnt(0)
	v_mul_f32_e32 v22, v7, v23
	s_add_i32 s8, s7, 0xfffffc8c
	v_fma_f32 v13, v13, s16, -v22
	v_mov_b32_e32 v22, s8
	s_add_i32 s8, s7, 0xfffffc84
	v_mov_b32_e32 v23, s8
	ds_read_b32 v28, v22
	ds_read2_b32 v[22:23], v23 offset1:1
	s_add_i32 s8, s7, 0xfffffc7c
	v_mov_b32_e32 v24, s8
	s_add_i32 s8, s7, 0xfffffc74
	v_mov_b32_e32 v26, s8
	ds_read2_b32 v[24:25], v24 offset1:1
	ds_read2_b32 v[26:27], v26 offset1:1
	s_waitcnt lgkmcnt(3)
	v_fma_f32 v13, -v6, v28, v13
	s_waitcnt lgkmcnt(2)
	v_fma_f32 v13, -v5, v23, v13
	s_add_i32 s8, s7, 0xfffffc6c
	v_fma_f32 v13, -v4, v22, v13
	v_mov_b32_e32 v22, s8
	ds_read2_b32 v[22:23], v22 offset1:1
	s_waitcnt lgkmcnt(2)
	v_fma_f32 v13, -v11, v25, v13
	v_fma_f32 v13, -v10, v24, v13
	s_waitcnt lgkmcnt(1)
	v_fma_f32 v13, -v9, v27, v13
	v_fma_f32 v13, -v8, v26, v13
	s_mul_i32 s8, s18, 0x54
	s_waitcnt lgkmcnt(0)
	v_fma_f32 v13, -v15, v23, v13
	s_add_i32 s9, s8, 0xfffffc64
	v_fma_f32 v13, -v14, v22, v13
	v_mov_b32_e32 v22, s9
	s_add_i32 s9, s7, 0xfffffc3c
	v_mov_b32_e32 v23, s9
	ds_read_b32 v28, v22
	ds_read2_b32 v[22:23], v23 offset1:1
	s_add_i32 s9, s7, 0xfffffc34
	v_mov_b32_e32 v24, s9
	s_add_i32 s9, s7, 0xfffffc2c
	v_mov_b32_e32 v26, s9
	ds_read2_b32 v[24:25], v24 offset1:1
	ds_read2_b32 v[26:27], v26 offset1:1
	s_waitcnt lgkmcnt(2)
	v_mul_f32_e32 v23, v7, v23
	v_fma_f32 v12, v12, s16, -v23
	v_fma_f32 v12, -v6, v22, v12
	s_waitcnt lgkmcnt(1)
	v_fma_f32 v12, -v5, v25, v12
	s_add_i32 s9, s7, 0xfffffc24
	v_fma_f32 v12, -v4, v24, v12
	v_mov_b32_e32 v22, s9
	s_add_i32 s9, s7, 0xfffffc1c
	s_waitcnt lgkmcnt(0)
	v_fma_f32 v12, -v11, v27, v12
	v_mov_b32_e32 v24, s9
	s_add_i32 s9, s8, 0xfffffc10
	v_fma_f32 v12, -v10, v26, v12
	v_mov_b32_e32 v26, s9
	s_add_i32 s9, s7, 0xfffffbf0
	v_mul_f32_e32 v13, v28, v13
	ds_read2_b32 v[22:23], v22 offset1:1
	v_mov_b32_e32 v28, s9
	ds_read2_b32 v[24:25], v24 offset1:1
	ds_read2_b32 v[26:27], v26 offset1:1
	ds_read_b32 v28, v28
	s_add_i32 s9, s7, 0xfffffbe8
	s_waitcnt lgkmcnt(3)
	v_fma_f32 v12, -v9, v23, v12
	v_fma_f32 v12, -v8, v22, v12
	s_waitcnt lgkmcnt(0)
	v_mul_f32_e32 v22, v7, v28
	v_fma_f32 v12, -v15, v25, v12
	v_fma_f32 v19, v19, s16, -v22
	v_mov_b32_e32 v22, s9
	v_fma_f32 v12, -v14, v24, v12
	s_add_i32 s9, s7, 0xfffffbe0
	ds_read2_b32 v[22:23], v22 offset1:1
	v_fma_f32 v12, -v13, v27, v12
	v_mov_b32_e32 v24, s9
	s_add_i32 s9, s7, 0xfffffbd8
	v_mul_f32_e32 v12, v26, v12
	v_mov_b32_e32 v26, s9
	s_add_i32 s9, s7, 0xfffffbd0
	global_store_dwordx4 v[20:21], v[12:15], off offset:-48
	v_mov_b32_e32 v28, s9
	ds_read2_b32 v[24:25], v24 offset1:1
	ds_read2_b32 v[26:27], v26 offset1:1
	ds_read2_b32 v[28:29], v28 offset1:1
	s_waitcnt lgkmcnt(3)
	v_fma_f32 v19, -v6, v23, v19
	v_fma_f32 v19, -v5, v22, v19
	s_waitcnt lgkmcnt(2)
	v_fma_f32 v19, -v4, v25, v19
	v_fma_f32 v19, -v11, v24, v19
	s_add_i32 s9, s7, 0xfffffbc8
	s_waitcnt lgkmcnt(1)
	v_fma_f32 v19, -v10, v27, v19
	v_mov_b32_e32 v22, s9
	s_add_i32 s9, s8, 0xfffffbbc
	v_fma_f32 v19, -v9, v26, v19
	v_mov_b32_e32 v24, s9
	s_add_i32 s9, s7, 0xfffffb9c
	s_waitcnt lgkmcnt(0)
	v_fma_f32 v19, -v8, v29, v19
	v_mov_b32_e32 v26, s9
	s_add_i32 s9, s7, 0xfffffb94
	ds_read2_b32 v[22:23], v22 offset1:1
	v_fma_f32 v19, -v15, v28, v19
	v_mov_b32_e32 v28, s9
	ds_read2_b32 v[24:25], v24 offset1:1
	ds_read2_b32 v[26:27], v26 offset1:1
	;; [unrolled: 1-line block ×3, first 2 shown]
	s_add_i32 s9, s7, 0xfffffb8c
	s_waitcnt lgkmcnt(3)
	v_fma_f32 v19, -v14, v23, v19
	v_fma_f32 v19, -v13, v22, v19
	s_waitcnt lgkmcnt(1)
	v_mul_f32_e32 v22, v7, v27
	v_fma_f32 v18, v18, s16, -v22
	v_mov_b32_e32 v22, s9
	v_fma_f32 v19, -v12, v25, v19
	s_add_i32 s9, s7, 0xfffffb84
	ds_read2_b32 v[22:23], v22 offset1:1
	v_mul_f32_e32 v19, v24, v19
	v_fma_f32 v18, -v6, v26, v18
	v_mov_b32_e32 v24, s9
	s_add_i32 s9, s7, 0xfffffb7c
	s_waitcnt lgkmcnt(1)
	v_fma_f32 v18, -v5, v29, v18
	v_mov_b32_e32 v26, s9
	s_add_i32 s9, s7, 0xfffffb74
	v_fma_f32 v18, -v4, v28, v18
	v_mov_b32_e32 v28, s9
	ds_read2_b32 v[24:25], v24 offset1:1
	ds_read2_b32 v[26:27], v26 offset1:1
	;; [unrolled: 1-line block ×3, first 2 shown]
	s_waitcnt lgkmcnt(3)
	v_fma_f32 v18, -v11, v23, v18
	v_fma_f32 v18, -v10, v22, v18
	s_waitcnt lgkmcnt(2)
	v_fma_f32 v18, -v9, v25, v18
	s_add_i32 s9, s8, 0xfffffb68
	v_fma_f32 v18, -v8, v24, v18
	v_mov_b32_e32 v22, s9
	s_add_i32 s9, s7, 0xfffffb50
	s_waitcnt lgkmcnt(1)
	v_fma_f32 v18, -v15, v27, v18
	v_mov_b32_e32 v24, s9
	s_add_i32 s9, s7, 0xfffffb48
	ds_read2_b32 v[22:23], v22 offset1:1
	v_fma_f32 v18, -v14, v26, v18
	v_mov_b32_e32 v25, s9
	s_add_i32 s9, s7, 0xfffffb40
	s_waitcnt lgkmcnt(1)
	v_fma_f32 v18, -v13, v29, v18
	v_mov_b32_e32 v26, s9
	v_fma_f32 v18, -v12, v28, v18
	ds_read_b32 v28, v24
	ds_read2_b32 v[24:25], v25 offset1:1
	ds_read2_b32 v[26:27], v26 offset1:1
	s_waitcnt lgkmcnt(3)
	v_fma_f32 v18, -v19, v23, v18
	v_mul_f32_e32 v18, v22, v18
	s_waitcnt lgkmcnt(2)
	v_mul_f32_e32 v22, v7, v28
	v_fma_f32 v17, v17, s16, -v22
	s_add_i32 s9, s7, 0xfffffb38
	s_waitcnt lgkmcnt(1)
	v_fma_f32 v17, -v6, v25, v17
	v_mov_b32_e32 v22, s9
	v_fma_f32 v17, -v5, v24, v17
	s_add_i32 s9, s7, 0xfffffb30
	ds_read2_b32 v[22:23], v22 offset1:1
	s_waitcnt lgkmcnt(1)
	v_fma_f32 v17, -v4, v27, v17
	v_mov_b32_e32 v24, s9
	s_add_i32 s9, s7, 0xfffffb28
	v_fma_f32 v17, -v11, v26, v17
	v_mov_b32_e32 v26, s9
	s_add_i32 s9, s7, 0xfffffb20
	v_mov_b32_e32 v28, s9
	ds_read2_b32 v[24:25], v24 offset1:1
	ds_read2_b32 v[26:27], v26 offset1:1
	ds_read2_b32 v[28:29], v28 offset1:1
	s_waitcnt lgkmcnt(3)
	v_fma_f32 v17, -v10, v23, v17
	v_fma_f32 v17, -v9, v22, v17
	s_waitcnt lgkmcnt(2)
	v_fma_f32 v17, -v8, v25, v17
	v_fma_f32 v17, -v15, v24, v17
	s_add_i32 s9, s8, 0xfffffb14
	s_waitcnt lgkmcnt(1)
	v_fma_f32 v17, -v14, v27, v17
	v_mov_b32_e32 v22, s9
	s_add_i32 s9, s7, 0xfffffafc
	v_fma_f32 v17, -v13, v26, v17
	v_mov_b32_e32 v24, s9
	s_add_i32 s9, s7, 0xfffffaf4
	ds_read2_b32 v[22:23], v22 offset1:1
	s_waitcnt lgkmcnt(1)
	v_fma_f32 v17, -v12, v29, v17
	v_mov_b32_e32 v26, s9
	s_add_i32 s9, s7, 0xfffffaec
	v_fma_f32 v17, -v19, v28, v17
	v_mov_b32_e32 v28, s9
	ds_read2_b32 v[24:25], v24 offset1:1
	ds_read2_b32 v[26:27], v26 offset1:1
	;; [unrolled: 1-line block ×3, first 2 shown]
	s_waitcnt lgkmcnt(3)
	v_fma_f32 v17, -v18, v23, v17
	v_mul_f32_e32 v17, v22, v17
	s_waitcnt lgkmcnt(2)
	v_mul_f32_e32 v22, v7, v25
	v_fma_f32 v16, v16, s16, -v22
	s_add_i32 s9, s7, 0xfffffae4
	v_fma_f32 v16, -v6, v24, v16
	v_mov_b32_e32 v22, s9
	s_waitcnt lgkmcnt(1)
	v_fma_f32 v16, -v5, v27, v16
	s_add_i32 s9, s7, 0xfffffadc
	ds_read2_b32 v[22:23], v22 offset1:1
	v_fma_f32 v16, -v4, v26, v16
	v_mov_b32_e32 v24, s9
	s_add_i32 s9, s7, 0xfffffad4
	s_waitcnt lgkmcnt(1)
	v_fma_f32 v16, -v11, v29, v16
	v_mov_b32_e32 v26, s9
	s_add_i32 s9, s7, 0xfffffacc
	v_fma_f32 v16, -v10, v28, v16
	v_mov_b32_e32 v28, s9
	ds_read2_b32 v[24:25], v24 offset1:1
	ds_read2_b32 v[26:27], v26 offset1:1
	;; [unrolled: 1-line block ×3, first 2 shown]
	s_waitcnt lgkmcnt(3)
	v_fma_f32 v16, -v9, v23, v16
	v_fma_f32 v16, -v8, v22, v16
	s_waitcnt lgkmcnt(2)
	v_fma_f32 v16, -v15, v25, v16
	s_add_i32 s9, s8, 0xfffffac0
	v_fma_f32 v16, -v14, v24, v16
	v_mov_b32_e32 v22, s9
	s_add_i32 s9, s7, 0xfffffab0
	s_waitcnt lgkmcnt(1)
	v_fma_f32 v16, -v13, v27, v16
	v_mov_b32_e32 v24, s9
	s_add_i32 s9, s7, 0xfffffaa8
	ds_read2_b32 v[22:23], v22 offset1:1
	v_fma_f32 v16, -v12, v26, v16
	v_mov_b32_e32 v25, s9
	s_add_i32 s9, s7, 0xfffffaa0
	s_waitcnt lgkmcnt(1)
	v_fma_f32 v16, -v19, v29, v16
	v_mov_b32_e32 v26, s9
	v_fma_f32 v16, -v18, v28, v16
	ds_read_b32 v28, v24
	ds_read2_b32 v[24:25], v25 offset1:1
	ds_read2_b32 v[26:27], v26 offset1:1
	s_waitcnt lgkmcnt(3)
	v_fma_f32 v16, -v17, v23, v16
	v_mul_f32_e32 v16, v22, v16
	s_waitcnt lgkmcnt(2)
	v_mul_f32_e32 v22, v7, v28
	v_fma_f32 v3, v3, s16, -v22
	s_add_i32 s9, s7, 0xfffffa98
	s_waitcnt lgkmcnt(1)
	v_fma_f32 v3, -v6, v25, v3
	v_mov_b32_e32 v22, s9
	v_fma_f32 v3, -v5, v24, v3
	s_add_i32 s9, s7, 0xfffffa90
	ds_read2_b32 v[22:23], v22 offset1:1
	s_waitcnt lgkmcnt(1)
	v_fma_f32 v3, -v4, v27, v3
	v_mov_b32_e32 v24, s9
	s_add_i32 s9, s7, 0xfffffa88
	v_fma_f32 v3, -v11, v26, v3
	v_mov_b32_e32 v26, s9
	s_add_i32 s9, s7, 0xfffffa80
	global_store_dwordx4 v[20:21], v[16:19], off offset:-64
	v_mov_b32_e32 v28, s9
	ds_read2_b32 v[24:25], v24 offset1:1
	ds_read2_b32 v[26:27], v26 offset1:1
	;; [unrolled: 1-line block ×3, first 2 shown]
	s_waitcnt lgkmcnt(3)
	v_fma_f32 v3, -v10, v23, v3
	v_fma_f32 v3, -v9, v22, v3
	s_waitcnt lgkmcnt(2)
	v_fma_f32 v3, -v8, v25, v3
	v_fma_f32 v3, -v15, v24, v3
	s_add_i32 s9, s7, 0xfffffa78
	s_waitcnt lgkmcnt(1)
	v_fma_f32 v3, -v14, v27, v3
	v_mov_b32_e32 v22, s9
	s_add_i32 s9, s8, 0xfffffa6c
	v_fma_f32 v3, -v13, v26, v3
	v_mov_b32_e32 v24, s9
	s_add_i32 s9, s7, 0xfffffa5c
	s_waitcnt lgkmcnt(0)
	v_fma_f32 v3, -v12, v29, v3
	v_mov_b32_e32 v26, s9
	s_add_i32 s9, s7, 0xfffffa54
	ds_read2_b32 v[22:23], v22 offset1:1
	v_fma_f32 v3, -v19, v28, v3
	v_mov_b32_e32 v28, s9
	ds_read2_b32 v[24:25], v24 offset1:1
	ds_read2_b32 v[26:27], v26 offset1:1
	;; [unrolled: 1-line block ×3, first 2 shown]
	s_add_i32 s9, s7, 0xfffffa4c
	s_waitcnt lgkmcnt(3)
	v_fma_f32 v3, -v18, v23, v3
	v_fma_f32 v3, -v17, v22, v3
	s_waitcnt lgkmcnt(1)
	v_mul_f32_e32 v22, v7, v27
	v_fma_f32 v2, v2, s16, -v22
	v_mov_b32_e32 v22, s9
	v_fma_f32 v3, -v16, v25, v3
	s_add_i32 s9, s7, 0xfffffa44
	ds_read2_b32 v[22:23], v22 offset1:1
	v_mul_f32_e32 v3, v24, v3
	v_fma_f32 v2, -v6, v26, v2
	v_mov_b32_e32 v24, s9
	s_add_i32 s9, s7, 0xfffffa3c
	s_waitcnt lgkmcnt(1)
	v_fma_f32 v2, -v5, v29, v2
	v_mov_b32_e32 v26, s9
	s_add_i32 s9, s7, 0xfffffa34
	v_fma_f32 v2, -v4, v28, v2
	v_mov_b32_e32 v28, s9
	ds_read2_b32 v[24:25], v24 offset1:1
	ds_read2_b32 v[26:27], v26 offset1:1
	;; [unrolled: 1-line block ×3, first 2 shown]
	s_waitcnt lgkmcnt(3)
	v_fma_f32 v2, -v11, v23, v2
	v_fma_f32 v2, -v10, v22, v2
	s_waitcnt lgkmcnt(2)
	v_fma_f32 v2, -v9, v25, v2
	v_fma_f32 v2, -v8, v24, v2
	s_add_i32 s9, s7, 0xfffffa2c
	s_waitcnt lgkmcnt(1)
	v_fma_f32 v2, -v15, v27, v2
	v_mov_b32_e32 v22, s9
	s_add_i32 s9, s7, 0xfffffa24
	v_fma_f32 v2, -v14, v26, v2
	v_mov_b32_e32 v24, s9
	s_add_i32 s9, s8, 0xfffffa18
	s_waitcnt lgkmcnt(0)
	v_fma_f32 v2, -v13, v29, v2
	v_mov_b32_e32 v26, s9
	s_add_i32 s9, s7, 0xfffffa10
	v_fma_f32 v2, -v12, v28, v2
	ds_read2_b32 v[22:23], v22 offset1:1
	v_mov_b32_e32 v28, s9
	ds_read2_b32 v[24:25], v24 offset1:1
	ds_read2_b32 v[26:27], v26 offset1:1
	ds_read_b32 v28, v28
	s_add_i32 s9, s7, 0xfffffa08
	s_waitcnt lgkmcnt(3)
	v_fma_f32 v2, -v19, v23, v2
	v_fma_f32 v2, -v18, v22, v2
	s_waitcnt lgkmcnt(0)
	v_mul_f32_e32 v22, v7, v28
	v_fma_f32 v2, -v17, v25, v2
	v_fma_f32 v1, v1, s16, -v22
	v_mov_b32_e32 v22, s9
	v_fma_f32 v2, -v16, v24, v2
	s_add_i32 s9, s7, 0xfffffa00
	ds_read2_b32 v[22:23], v22 offset1:1
	v_fma_f32 v2, -v3, v27, v2
	v_mov_b32_e32 v24, s9
	s_add_i32 s9, s7, 0xfffff9f8
	v_mul_f32_e32 v2, v26, v2
	v_mov_b32_e32 v26, s9
	s_add_i32 s9, s7, 0xfffff9f0
	v_mov_b32_e32 v28, s9
	ds_read2_b32 v[24:25], v24 offset1:1
	ds_read2_b32 v[26:27], v26 offset1:1
	;; [unrolled: 1-line block ×3, first 2 shown]
	s_waitcnt lgkmcnt(3)
	v_fma_f32 v1, -v6, v23, v1
	v_fma_f32 v1, -v5, v22, v1
	s_waitcnt lgkmcnt(2)
	v_fma_f32 v1, -v4, v25, v1
	s_add_i32 s9, s7, 0xfffff9e8
	v_fma_f32 v1, -v11, v24, v1
	v_mov_b32_e32 v22, s9
	s_waitcnt lgkmcnt(1)
	v_fma_f32 v1, -v10, v27, v1
	s_add_i32 s9, s7, 0xfffff9e0
	ds_read2_b32 v[22:23], v22 offset1:1
	v_fma_f32 v1, -v9, v26, v1
	v_mov_b32_e32 v24, s9
	s_add_i32 s9, s7, 0xfffff9d8
	s_waitcnt lgkmcnt(1)
	v_fma_f32 v1, -v8, v29, v1
	v_mov_b32_e32 v26, s9
	s_add_i32 s9, s7, 0xfffff9d0
	v_fma_f32 v1, -v15, v28, v1
	v_mov_b32_e32 v28, s9
	ds_read2_b32 v[24:25], v24 offset1:1
	ds_read2_b32 v[26:27], v26 offset1:1
	;; [unrolled: 1-line block ×3, first 2 shown]
	s_waitcnt lgkmcnt(3)
	v_fma_f32 v1, -v14, v23, v1
	v_fma_f32 v1, -v13, v22, v1
	s_waitcnt lgkmcnt(2)
	v_fma_f32 v1, -v12, v25, v1
	v_fma_f32 v1, -v19, v24, v1
	s_add_i32 s9, s8, 0xfffff9c4
	s_waitcnt lgkmcnt(1)
	v_fma_f32 v1, -v18, v27, v1
	v_mov_b32_e32 v22, s9
	s_add_i32 s9, s7, 0xfffff9bc
	v_fma_f32 v1, -v17, v26, v1
	v_mov_b32_e32 v24, s9
	s_add_i32 s9, s7, 0xfffff9b4
	s_waitcnt lgkmcnt(0)
	v_fma_f32 v1, -v16, v29, v1
	v_mov_b32_e32 v26, s9
	s_add_i32 s9, s7, 0xfffff9ac
	v_fma_f32 v1, -v3, v28, v1
	v_mov_b32_e32 v28, s9
	ds_read2_b32 v[22:23], v22 offset1:1
	ds_read2_b32 v[24:25], v24 offset1:1
	;; [unrolled: 1-line block ×4, first 2 shown]
	s_add_i32 s9, s7, 0xfffff9a4
	s_waitcnt lgkmcnt(2)
	v_mul_f32_e32 v7, v7, v25
	v_fma_f32 v0, v0, s16, -v7
	v_fma_f32 v0, -v6, v24, v0
	s_waitcnt lgkmcnt(1)
	v_fma_f32 v0, -v5, v27, v0
	v_fma_f32 v0, -v4, v26, v0
	v_mov_b32_e32 v4, s9
	s_add_i32 s9, s7, 0xfffff99c
	ds_read2_b32 v[4:5], v4 offset1:1
	s_waitcnt lgkmcnt(1)
	v_fma_f32 v0, -v11, v29, v0
	v_mov_b32_e32 v6, s9
	s_add_i32 s9, s7, 0xfffff994
	v_fma_f32 v1, -v2, v23, v1
	v_fma_f32 v0, -v10, v28, v0
	v_mov_b32_e32 v10, s9
	s_add_i32 s9, s7, 0xfffff98c
	v_mul_f32_e32 v1, v22, v1
	v_mov_b32_e32 v22, s9
	ds_read2_b32 v[6:7], v6 offset1:1
	ds_read2_b32 v[10:11], v10 offset1:1
	;; [unrolled: 1-line block ×3, first 2 shown]
	s_waitcnt lgkmcnt(3)
	v_fma_f32 v0, -v9, v5, v0
	v_fma_f32 v0, -v8, v4, v0
	s_add_i32 s9, s7, 0xfffff984
	s_waitcnt lgkmcnt(2)
	v_fma_f32 v0, -v15, v7, v0
	v_mov_b32_e32 v4, s9
	v_fma_f32 v0, -v14, v6, v0
	s_addk_i32 s7, 0xf97c
	ds_read2_b32 v[4:5], v4 offset1:1
	s_waitcnt lgkmcnt(2)
	v_fma_f32 v0, -v13, v11, v0
	v_mov_b32_e32 v6, s7
	ds_read2_b32 v[6:7], v6 offset1:1
	v_fma_f32 v0, -v12, v10, v0
	s_add_i32 s7, s8, 0xfffff970
	s_waitcnt lgkmcnt(2)
	v_fma_f32 v0, -v19, v23, v0
	v_mov_b32_e32 v8, s7
	ds_read2_b32 v[8:9], v8 offset1:1
	v_fma_f32 v0, -v18, v22, v0
	s_waitcnt lgkmcnt(2)
	v_fma_f32 v0, -v17, v5, v0
	v_fma_f32 v0, -v16, v4, v0
	s_waitcnt lgkmcnt(1)
	v_fma_f32 v0, -v3, v7, v0
	;; [unrolled: 3-line block ×3, first 2 shown]
	v_mul_f32_e32 v0, v8, v0
	s_sub_i32 s8, s18, 21
	global_store_dwordx4 v[20:21], v[0:3], off offset:-80
.LBB24_19:
	s_cmp_gt_i32 s8, -1
	s_cbranch_scc0 .LBB24_38
; %bb.20:
	s_cmp_lt_u32 s8, 15
	s_cbranch_scc1 .LBB24_25
; %bb.21:
	s_mov_b32 s9, 0
	s_lshl_b64 s[12:13], s[8:9], 2
	v_mov_b32_e32 v0, s13
	v_add_co_u32_e32 v8, vcc, s12, v44
	v_addc_co_u32_e32 v9, vcc, v45, v0, vcc
	global_load_dwordx4 v[0:3], v[8:9], off offset:-12
	global_load_dwordx4 v[4:7], v[8:9], off offset:-28
	;; [unrolled: 1-line block ×4, first 2 shown]
	s_cmp_le_i32 s6, s8
	s_waitcnt vmcnt(3)
	v_pk_mul_f32 v[10:11], v[2:3], s[16:17] op_sel_hi:[1,0]
	v_pk_mul_f32 v[18:19], v[0:1], s[16:17] op_sel_hi:[1,0]
	s_waitcnt vmcnt(2)
	v_pk_mul_f32 v[2:3], v[6:7], s[16:17] op_sel_hi:[1,0]
	v_pk_mul_f32 v[0:1], v[4:5], s[16:17] op_sel_hi:[1,0]
	;; [unrolled: 3-line block ×4, first 2 shown]
	s_cbranch_scc1 .LBB24_24
; %bb.22:
	s_mul_i32 s7, s8, 0x50
	s_lshl_b32 s9, s18, 2
	s_add_i32 s7, s7, s9
	s_add_i32 s9, s7, 0xfffffb4c
	s_ashr_i32 s7, s6, 31
	s_lshl_b64 s[12:13], s[6:7], 2
	s_add_u32 s7, s2, s12
	s_addc_u32 s11, s3, s13
	s_add_u32 s7, s7, s4
	s_addc_u32 s11, s11, s5
	;; [unrolled: 2-line block ×3, first 2 shown]
	v_mov_b32_e32 v17, s11
	v_add_co_u32_e32 v16, vcc, s7, v46
	v_addc_co_u32_e32 v17, vcc, v17, v47, vcc
	s_mov_b32 s7, s6
.LBB24_23:                              ; =>This Inner Loop Header: Depth=1
	global_load_dword v20, v[16:17], off
	v_mov_b32_e32 v21, s9
	v_add_u32_e32 v34, 0x400, v21
	v_add_u32_e32 v36, 0x200, v21
	ds_read2_b32 v[22:23], v21 offset0:200 offset1:220
	ds_read2_b32 v[24:25], v21 offset0:160 offset1:180
	;; [unrolled: 1-line block ×5, first 2 shown]
	ds_read2_b32 v[32:33], v21 offset1:20
	ds_read2_b32 v[34:35], v34 offset0:24 offset1:44
	ds_read2_b32 v[36:37], v36 offset0:112 offset1:132
	s_add_i32 s7, s7, -1
	s_add_i32 s9, s9, -4
	v_add_co_u32_e32 v16, vcc, -4, v16
	v_addc_co_u32_e32 v17, vcc, -1, v17, vcc
	s_cmp_gt_i32 s7, s8
	s_waitcnt vmcnt(0) lgkmcnt(1)
	v_pk_fma_f32 v[10:11], v[20:21], v[34:35], v[10:11] op_sel_hi:[0,1,1] neg_lo:[1,0,0] neg_hi:[1,0,0]
	s_waitcnt lgkmcnt(0)
	v_pk_fma_f32 v[18:19], v[20:21], v[36:37], v[18:19] op_sel_hi:[0,1,1] neg_lo:[1,0,0] neg_hi:[1,0,0]
	v_pk_fma_f32 v[2:3], v[20:21], v[22:23], v[2:3] op_sel_hi:[0,1,1] neg_lo:[1,0,0] neg_hi:[1,0,0]
	;; [unrolled: 1-line block ×7, first 2 shown]
	s_cbranch_scc1 .LBB24_23
.LBB24_24:
	s_mul_i32 s7, s8, 0x54
	v_mov_b32_e32 v16, s7
	s_add_i32 s9, s7, 0xffffffac
	v_mov_b32_e32 v17, s9
	s_add_i32 s9, s7, 0xffffff60
	ds_read_b32 v22, v16
	v_mov_b32_e32 v20, s9
	s_add_i32 s9, s7, 0xffffff58
	v_mov_b32_e32 v21, s9
	ds_read2_b32 v[16:17], v17 offset1:1
	ds_read_b32 v23, v20
	ds_read2_b32 v[20:21], v21 offset1:1
	s_waitcnt lgkmcnt(3)
	v_mul_f32_e32 v11, v22, v11
	s_ashr_i32 s9, s8, 31
	global_store_dword v[8:9], v11, off
	s_waitcnt lgkmcnt(2)
	v_fma_f32 v8, -v11, v17, v10
	s_lshl_b64 s[12:13], s[8:9], 2
	v_mul_f32_e32 v10, v16, v8
	v_mov_b32_e32 v8, s13
	v_add_co_u32_e32 v16, vcc, s12, v44
	v_addc_co_u32_e32 v17, vcc, v45, v8, vcc
	s_waitcnt lgkmcnt(1)
	v_fma_f32 v8, -v11, v23, v19
	s_waitcnt lgkmcnt(0)
	v_fma_f32 v8, -v10, v21, v8
	s_add_i32 s9, s7, 0xffffff0c
	v_mul_f32_e32 v9, v20, v8
	v_mov_b32_e32 v8, s9
	s_add_i32 s9, s7, 0xffffff04
	v_mov_b32_e32 v19, s9
	s_add_i32 s9, s7, 0xfffffec0
	ds_read2_b32 v[20:21], v8 offset1:1
	v_mov_b32_e32 v24, s9
	s_add_i32 s9, s7, 0xfffffeb8
	v_mov_b32_e32 v8, s9
	ds_read2_b32 v[22:23], v19 offset1:1
	ds_read_b32 v19, v24
	ds_read2_b32 v[24:25], v8 offset1:1
	s_add_i32 s9, s7, 0xfffffeb0
	s_waitcnt lgkmcnt(3)
	v_fma_f32 v8, -v11, v21, v18
	v_mov_b32_e32 v18, s9
	s_waitcnt lgkmcnt(1)
	v_fma_f32 v3, -v11, v19, v3
	ds_read2_b32 v[18:19], v18 offset1:1
	v_fma_f32 v8, -v10, v20, v8
	s_add_i32 s9, s7, 0xfffffe6c
	v_fma_f32 v8, -v9, v23, v8
	s_waitcnt lgkmcnt(1)
	v_fma_f32 v3, -v10, v25, v3
	v_mov_b32_e32 v20, s9
	s_add_i32 s9, s7, 0xfffffe64
	v_mul_f32_e32 v8, v22, v8
	v_fma_f32 v3, -v9, v24, v3
	v_mov_b32_e32 v22, s9
	s_add_i32 s9, s7, 0xfffffe5c
	v_mov_b32_e32 v24, s9
	s_waitcnt lgkmcnt(0)
	v_fma_f32 v3, -v8, v19, v3
	s_add_i32 s9, s7, 0xfffffe20
	global_store_dwordx3 v[16:17], v[8:10], off offset:-12
	v_mul_f32_e32 v3, v18, v3
	v_mov_b32_e32 v18, s9
	ds_read2_b32 v[20:21], v20 offset1:1
	ds_read2_b32 v[22:23], v22 offset1:1
	;; [unrolled: 1-line block ×3, first 2 shown]
	ds_read_b32 v18, v18
	s_add_i32 s9, s7, 0xfffffe1c
	s_waitcnt lgkmcnt(3)
	v_fma_f32 v2, -v11, v21, v2
	v_fma_f32 v2, -v10, v20, v2
	s_waitcnt lgkmcnt(2)
	v_fma_f32 v2, -v9, v23, v2
	s_waitcnt lgkmcnt(0)
	v_fma_f32 v1, -v11, v18, v1
	v_mov_b32_e32 v18, s9
	s_add_i32 s9, s7, 0xfffffe14
	v_mov_b32_e32 v19, s9
	v_fma_f32 v2, -v8, v22, v2
	ds_read_b32 v22, v18
	ds_read2_b32 v[18:19], v19 offset1:1
	s_add_i32 s9, s7, 0xfffffe0c
	v_mov_b32_e32 v20, s9
	ds_read2_b32 v[20:21], v20 offset1:1
	s_waitcnt lgkmcnt(2)
	v_fma_f32 v1, -v10, v22, v1
	s_add_i32 s9, s7, 0xfffffe08
	s_waitcnt lgkmcnt(1)
	v_fma_f32 v1, -v9, v19, v1
	v_mov_b32_e32 v19, s9
	ds_read_b32 v19, v19
	s_add_i32 s9, s7, 0xfffffdd0
	v_fma_f32 v2, -v3, v25, v2
	v_mov_b32_e32 v22, s9
	ds_read_b32 v22, v22
	v_fma_f32 v1, -v8, v18, v1
	v_mul_f32_e32 v2, v24, v2
	s_waitcnt lgkmcnt(2)
	v_fma_f32 v1, -v3, v21, v1
	s_add_i32 s9, s7, 0xfffffdc8
	v_fma_f32 v1, -v2, v20, v1
	v_mov_b32_e32 v18, s9
	s_waitcnt lgkmcnt(1)
	v_mul_f32_e32 v1, v19, v1
	ds_read2_b32 v[18:19], v18 offset1:1
	s_add_i32 s9, s7, 0xfffffdc0
	v_mov_b32_e32 v20, s9
	ds_read2_b32 v[20:21], v20 offset1:1
	s_add_i32 s9, s7, 0xfffffdb8
	s_waitcnt lgkmcnt(2)
	v_fma_f32 v0, -v11, v22, v0
	v_mov_b32_e32 v22, s9
	ds_read2_b32 v[22:23], v22 offset1:1
	s_waitcnt lgkmcnt(2)
	v_fma_f32 v0, -v10, v19, v0
	s_add_i32 s9, s7, 0xfffffdb4
	v_fma_f32 v0, -v9, v18, v0
	v_mov_b32_e32 v18, s9
	s_add_i32 s9, s7, 0xfffffd80
	ds_read_b32 v18, v18
	v_mov_b32_e32 v19, s9
	ds_read_b32 v19, v19
	s_waitcnt lgkmcnt(3)
	v_fma_f32 v0, -v8, v21, v0
	v_fma_f32 v0, -v3, v20, v0
	s_waitcnt lgkmcnt(2)
	v_fma_f32 v0, -v2, v23, v0
	v_fma_f32 v0, -v1, v22, v0
	s_add_i32 s9, s7, 0xfffffd7c
	s_waitcnt lgkmcnt(1)
	v_mul_f32_e32 v0, v18, v0
	v_mov_b32_e32 v18, s9
	s_add_i32 s9, s7, 0xfffffd74
	global_store_dwordx4 v[16:17], v[0:3], off offset:-28
	s_waitcnt lgkmcnt(0)
	v_fma_f32 v7, -v11, v19, v7
	v_mov_b32_e32 v19, s9
	ds_read_b32 v24, v18
	ds_read2_b32 v[18:19], v19 offset1:1
	s_add_i32 s9, s7, 0xfffffd6c
	v_mov_b32_e32 v20, s9
	s_add_i32 s9, s7, 0xfffffd64
	v_mov_b32_e32 v22, s9
	ds_read2_b32 v[20:21], v20 offset1:1
	ds_read2_b32 v[22:23], v22 offset1:1
	s_waitcnt lgkmcnt(3)
	v_fma_f32 v7, -v10, v24, v7
	s_waitcnt lgkmcnt(2)
	v_fma_f32 v7, -v9, v19, v7
	s_add_i32 s9, s7, 0xfffffd60
	v_fma_f32 v7, -v8, v18, v7
	v_mov_b32_e32 v18, s9
	s_add_i32 s9, s7, 0xfffffd30
	ds_read_b32 v18, v18
	v_mov_b32_e32 v19, s9
	s_waitcnt lgkmcnt(2)
	v_fma_f32 v7, -v3, v21, v7
	ds_read_b32 v19, v19
	v_fma_f32 v7, -v2, v20, v7
	s_waitcnt lgkmcnt(2)
	v_fma_f32 v7, -v1, v23, v7
	v_fma_f32 v7, -v0, v22, v7
	s_add_i32 s9, s7, 0xfffffd28
	s_waitcnt lgkmcnt(1)
	v_mul_f32_e32 v7, v18, v7
	v_mov_b32_e32 v18, s9
	s_waitcnt lgkmcnt(0)
	v_fma_f32 v6, -v11, v19, v6
	s_add_i32 s9, s7, 0xfffffd20
	ds_read2_b32 v[18:19], v18 offset1:1
	v_mov_b32_e32 v20, s9
	s_add_i32 s9, s7, 0xfffffd18
	v_mov_b32_e32 v22, s9
	s_add_i32 s9, s7, 0xfffffd10
	v_mov_b32_e32 v24, s9
	ds_read2_b32 v[20:21], v20 offset1:1
	ds_read2_b32 v[22:23], v22 offset1:1
	;; [unrolled: 1-line block ×3, first 2 shown]
	s_waitcnt lgkmcnt(3)
	v_fma_f32 v6, -v10, v19, v6
	v_fma_f32 v6, -v9, v18, v6
	s_add_i32 s9, s7, 0xfffffd0c
	s_waitcnt lgkmcnt(2)
	v_fma_f32 v6, -v8, v21, v6
	v_mov_b32_e32 v18, s9
	s_add_i32 s9, s7, 0xfffffce0
	v_fma_f32 v6, -v3, v20, v6
	ds_read_b32 v18, v18
	v_mov_b32_e32 v19, s9
	s_waitcnt lgkmcnt(2)
	v_fma_f32 v6, -v2, v23, v6
	ds_read_b32 v19, v19
	v_fma_f32 v6, -v1, v22, v6
	s_waitcnt lgkmcnt(2)
	v_fma_f32 v6, -v0, v25, v6
	v_fma_f32 v6, -v7, v24, v6
	s_add_i32 s9, s7, 0xfffffcdc
	s_waitcnt lgkmcnt(1)
	v_mul_f32_e32 v6, v18, v6
	v_mov_b32_e32 v18, s9
	s_add_i32 s9, s7, 0xfffffcd4
	s_waitcnt lgkmcnt(0)
	v_fma_f32 v5, -v11, v19, v5
	v_mov_b32_e32 v19, s9
	ds_read_b32 v24, v18
	ds_read2_b32 v[18:19], v19 offset1:1
	s_add_i32 s9, s7, 0xfffffccc
	v_mov_b32_e32 v20, s9
	s_add_i32 s9, s7, 0xfffffcc4
	v_mov_b32_e32 v22, s9
	ds_read2_b32 v[20:21], v20 offset1:1
	ds_read2_b32 v[22:23], v22 offset1:1
	s_waitcnt lgkmcnt(3)
	v_fma_f32 v5, -v10, v24, v5
	s_waitcnt lgkmcnt(2)
	v_fma_f32 v5, -v9, v19, v5
	s_add_i32 s9, s7, 0xfffffcbc
	v_fma_f32 v5, -v8, v18, v5
	v_mov_b32_e32 v18, s9
	ds_read2_b32 v[18:19], v18 offset1:1
	s_waitcnt lgkmcnt(2)
	v_fma_f32 v5, -v3, v21, v5
	v_fma_f32 v5, -v2, v20, v5
	s_waitcnt lgkmcnt(1)
	v_fma_f32 v5, -v1, v23, v5
	v_fma_f32 v5, -v0, v22, v5
	s_waitcnt lgkmcnt(0)
	v_fma_f32 v5, -v7, v19, v5
	s_add_i32 s9, s7, 0xfffffcb8
	v_fma_f32 v5, -v6, v18, v5
	v_mov_b32_e32 v18, s9
	s_add_i32 s9, s7, 0xfffffc8c
	v_mov_b32_e32 v19, s9
	s_add_i32 s9, s7, 0xfffffc84
	ds_read_b32 v24, v18
	ds_read2_b32 v[18:19], v19 offset1:1
	v_mov_b32_e32 v20, s9
	s_add_i32 s9, s7, 0xfffffc7c
	v_mov_b32_e32 v22, s9
	ds_read2_b32 v[20:21], v20 offset1:1
	ds_read2_b32 v[22:23], v22 offset1:1
	s_waitcnt lgkmcnt(2)
	v_fma_f32 v4, -v11, v19, v4
	v_fma_f32 v4, -v10, v18, v4
	s_add_i32 s9, s7, 0xfffffc74
	s_waitcnt lgkmcnt(1)
	v_fma_f32 v4, -v9, v21, v4
	v_mov_b32_e32 v18, s9
	v_fma_f32 v4, -v8, v20, v4
	s_add_i32 s9, s7, 0xfffffc6c
	ds_read2_b32 v[18:19], v18 offset1:1
	s_waitcnt lgkmcnt(1)
	v_fma_f32 v4, -v3, v23, v4
	v_mov_b32_e32 v20, s9
	s_add_i32 s9, s7, 0xfffffc64
	v_fma_f32 v4, -v2, v22, v4
	v_mov_b32_e32 v22, s9
	s_add_i32 s9, s7, 0xfffffc40
	v_mul_f32_e32 v5, v24, v5
	v_mov_b32_e32 v24, s9
	ds_read2_b32 v[20:21], v20 offset1:1
	ds_read2_b32 v[22:23], v22 offset1:1
	ds_read_b32 v24, v24
	s_waitcnt lgkmcnt(3)
	v_fma_f32 v4, -v1, v19, v4
	v_fma_f32 v4, -v0, v18, v4
	s_add_i32 s9, s7, 0xfffffc38
	s_waitcnt lgkmcnt(2)
	v_fma_f32 v4, -v7, v21, v4
	v_mov_b32_e32 v18, s9
	v_fma_f32 v4, -v6, v20, v4
	s_add_i32 s9, s7, 0xfffffc30
	ds_read2_b32 v[18:19], v18 offset1:1
	s_waitcnt lgkmcnt(2)
	v_fma_f32 v4, -v5, v23, v4
	v_mov_b32_e32 v20, s9
	s_add_i32 s9, s7, 0xfffffc28
	v_mul_f32_e32 v4, v22, v4
	v_mov_b32_e32 v22, s9
	s_add_i32 s9, s7, 0xfffffc20
	global_store_dwordx4 v[16:17], v[4:7], off offset:-44
	s_waitcnt lgkmcnt(1)
	v_fma_f32 v15, -v11, v24, v15
	v_mov_b32_e32 v24, s9
	ds_read2_b32 v[20:21], v20 offset1:1
	ds_read2_b32 v[22:23], v22 offset1:1
	;; [unrolled: 1-line block ×3, first 2 shown]
	s_waitcnt lgkmcnt(3)
	v_fma_f32 v15, -v10, v19, v15
	v_fma_f32 v15, -v9, v18, v15
	s_waitcnt lgkmcnt(2)
	v_fma_f32 v15, -v8, v21, v15
	v_fma_f32 v15, -v3, v20, v15
	s_add_i32 s9, s7, 0xfffffc18
	s_waitcnt lgkmcnt(1)
	v_fma_f32 v15, -v2, v23, v15
	v_mov_b32_e32 v18, s9
	s_add_i32 s9, s7, 0xfffffc10
	v_fma_f32 v15, -v1, v22, v15
	v_mov_b32_e32 v20, s9
	s_add_i32 s9, s7, 0xfffffbec
	ds_read2_b32 v[18:19], v18 offset1:1
	s_waitcnt lgkmcnt(1)
	v_fma_f32 v15, -v0, v25, v15
	v_mov_b32_e32 v22, s9
	s_add_i32 s9, s7, 0xfffffbe4
	v_fma_f32 v15, -v7, v24, v15
	v_mov_b32_e32 v24, s9
	ds_read2_b32 v[20:21], v20 offset1:1
	ds_read2_b32 v[22:23], v22 offset1:1
	ds_read2_b32 v[24:25], v24 offset1:1
	s_waitcnt lgkmcnt(3)
	v_fma_f32 v15, -v6, v19, v15
	s_add_i32 s9, s7, 0xfffffbdc
	v_fma_f32 v15, -v5, v18, v15
	v_mov_b32_e32 v18, s9
	s_waitcnt lgkmcnt(2)
	v_fma_f32 v15, -v4, v21, v15
	s_waitcnt lgkmcnt(1)
	v_fma_f32 v14, -v11, v23, v14
	s_add_i32 s9, s7, 0xfffffbd4
	ds_read2_b32 v[18:19], v18 offset1:1
	v_mul_f32_e32 v15, v20, v15
	v_fma_f32 v14, -v10, v22, v14
	v_mov_b32_e32 v20, s9
	s_add_i32 s9, s7, 0xfffffbcc
	s_waitcnt lgkmcnt(1)
	v_fma_f32 v14, -v9, v25, v14
	v_mov_b32_e32 v22, s9
	s_add_i32 s9, s7, 0xfffffbc4
	v_fma_f32 v14, -v8, v24, v14
	v_mov_b32_e32 v24, s9
	ds_read2_b32 v[20:21], v20 offset1:1
	ds_read2_b32 v[22:23], v22 offset1:1
	;; [unrolled: 1-line block ×3, first 2 shown]
	s_waitcnt lgkmcnt(3)
	v_fma_f32 v14, -v3, v19, v14
	v_fma_f32 v14, -v2, v18, v14
	s_waitcnt lgkmcnt(2)
	v_fma_f32 v14, -v1, v21, v14
	s_add_i32 s9, s7, 0xfffffbbc
	v_fma_f32 v14, -v0, v20, v14
	v_mov_b32_e32 v18, s9
	s_add_i32 s9, s7, 0xfffffba0
	s_waitcnt lgkmcnt(1)
	v_fma_f32 v14, -v7, v23, v14
	v_mov_b32_e32 v20, s9
	s_add_i32 s9, s7, 0xfffffb98
	v_fma_f32 v14, -v6, v22, v14
	v_mov_b32_e32 v21, s9
	s_add_i32 s9, s7, 0xfffffb90
	ds_read2_b32 v[18:19], v18 offset1:1
	s_waitcnt lgkmcnt(1)
	v_fma_f32 v14, -v5, v25, v14
	v_mov_b32_e32 v22, s9
	v_fma_f32 v14, -v4, v24, v14
	ds_read_b32 v24, v20
	ds_read2_b32 v[20:21], v21 offset1:1
	ds_read2_b32 v[22:23], v22 offset1:1
	s_waitcnt lgkmcnt(3)
	v_fma_f32 v14, -v15, v19, v14
	s_add_i32 s9, s7, 0xfffffb88
	s_waitcnt lgkmcnt(2)
	v_fma_f32 v13, -v11, v24, v13
	v_mul_f32_e32 v14, v18, v14
	s_waitcnt lgkmcnt(1)
	v_fma_f32 v13, -v10, v21, v13
	v_mov_b32_e32 v18, s9
	v_fma_f32 v13, -v9, v20, v13
	s_add_i32 s9, s7, 0xfffffb80
	ds_read2_b32 v[18:19], v18 offset1:1
	s_waitcnt lgkmcnt(1)
	v_fma_f32 v13, -v8, v23, v13
	v_mov_b32_e32 v20, s9
	s_add_i32 s9, s7, 0xfffffb78
	v_fma_f32 v13, -v3, v22, v13
	v_mov_b32_e32 v22, s9
	s_add_i32 s9, s7, 0xfffffb70
	v_mov_b32_e32 v24, s9
	ds_read2_b32 v[20:21], v20 offset1:1
	ds_read2_b32 v[22:23], v22 offset1:1
	;; [unrolled: 1-line block ×3, first 2 shown]
	s_waitcnt lgkmcnt(3)
	v_fma_f32 v13, -v2, v19, v13
	v_fma_f32 v13, -v1, v18, v13
	s_waitcnt lgkmcnt(2)
	v_fma_f32 v13, -v0, v21, v13
	v_fma_f32 v13, -v7, v20, v13
	s_add_i32 s9, s7, 0xfffffb68
	s_waitcnt lgkmcnt(1)
	v_fma_f32 v13, -v6, v23, v13
	v_mov_b32_e32 v18, s9
	s_add_i32 s9, s7, 0xfffffb4c
	v_fma_f32 v13, -v5, v22, v13
	v_mov_b32_e32 v20, s9
	s_add_i32 s9, s7, 0xfffffb44
	s_waitcnt lgkmcnt(0)
	v_fma_f32 v13, -v4, v25, v13
	v_mov_b32_e32 v22, s9
	s_add_i32 s9, s7, 0xfffffb3c
	v_fma_f32 v13, -v15, v24, v13
	v_mov_b32_e32 v24, s9
	ds_read2_b32 v[18:19], v18 offset1:1
	ds_read2_b32 v[20:21], v20 offset1:1
	;; [unrolled: 1-line block ×4, first 2 shown]
	s_add_i32 s9, s7, 0xfffffb34
	s_add_i32 s8, s8, -16
	s_waitcnt lgkmcnt(2)
	v_fma_f32 v11, -v11, v21, v12
	v_fma_f32 v10, -v10, v20, v11
	s_waitcnt lgkmcnt(1)
	v_fma_f32 v9, -v9, v23, v10
	v_fma_f32 v8, -v8, v22, v9
	;; [unrolled: 3-line block ×3, first 2 shown]
	v_mov_b32_e32 v2, s9
	s_add_i32 s9, s7, 0xfffffb2c
	ds_read2_b32 v[2:3], v2 offset1:1
	v_mov_b32_e32 v8, s9
	s_add_i32 s9, s7, 0xfffffb24
	v_fma_f32 v13, -v14, v19, v13
	v_mov_b32_e32 v10, s9
	s_add_i32 s9, s7, 0xfffffb1c
	v_mul_f32_e32 v13, v18, v13
	v_mov_b32_e32 v18, s9
	ds_read2_b32 v[8:9], v8 offset1:1
	ds_read2_b32 v[10:11], v10 offset1:1
	;; [unrolled: 1-line block ×3, first 2 shown]
	s_waitcnt lgkmcnt(3)
	v_fma_f32 v1, -v1, v3, v12
	v_fma_f32 v0, -v0, v2, v1
	s_waitcnt lgkmcnt(2)
	v_fma_f32 v0, -v7, v9, v0
	s_addk_i32 s7, 0xfb14
	v_fma_f32 v2, -v6, v8, v0
	v_mov_b32_e32 v0, s7
	ds_read2_b32 v[0:1], v0 offset1:1
	s_waitcnt lgkmcnt(2)
	v_fma_f32 v2, -v5, v11, v2
	v_fma_f32 v2, -v4, v10, v2
	s_waitcnt lgkmcnt(1)
	v_fma_f32 v2, -v15, v19, v2
	v_fma_f32 v2, -v14, v18, v2
	s_waitcnt lgkmcnt(0)
	v_fma_f32 v1, -v13, v1, v2
	v_mul_f32_e32 v12, v0, v1
	global_store_dwordx4 v[16:17], v[12:15], off offset:-60
.LBB24_25:
	s_cmp_lt_i32 s8, 0
	s_cbranch_scc1 .LBB24_38
; %bb.26:
	s_bitcmp1_b32 s8, 0
	s_cselect_b64 s[12:13], -1, 0
	s_and_b64 vcc, exec, s[12:13]
	s_mov_b32 s12, s8
	s_cbranch_vccnz .LBB24_31
; %bb.27:
	s_mov_b32 s9, 0
	s_lshl_b64 s[12:13], s[8:9], 2
	v_mov_b32_e32 v1, s13
	v_add_co_u32_e32 v0, vcc, s12, v44
	v_addc_co_u32_e32 v1, vcc, v45, v1, vcc
	global_load_dword v2, v[0:1], off
	s_cmp_le_i32 s6, s8
	s_waitcnt vmcnt(0)
	v_mul_f32_e32 v4, s16, v2
	s_cbranch_scc1 .LBB24_30
; %bb.28:
	s_mul_i32 s7, s8, 0x50
	s_lshl_b32 s9, s18, 2
	s_add_i32 s7, s7, s9
	s_add_i32 s9, s7, -4
	s_ashr_i32 s7, s6, 31
	s_lshl_b64 s[12:13], s[6:7], 2
	s_add_u32 s7, s2, s12
	s_addc_u32 s11, s3, s13
	s_add_u32 s7, s7, s4
	s_addc_u32 s11, s11, s5
	;; [unrolled: 2-line block ×3, first 2 shown]
	v_mov_b32_e32 v3, s11
	v_add_co_u32_e32 v2, vcc, s7, v46
	v_addc_co_u32_e32 v3, vcc, v3, v47, vcc
	s_mov_b32 s7, s6
.LBB24_29:                              ; =>This Inner Loop Header: Depth=1
	global_load_dword v5, v[2:3], off
	v_mov_b32_e32 v6, s9
	ds_read_b32 v6, v6
	s_add_i32 s7, s7, -1
	s_add_i32 s9, s9, -4
	v_add_co_u32_e32 v2, vcc, -4, v2
	v_addc_co_u32_e32 v3, vcc, -1, v3, vcc
	s_cmp_gt_i32 s7, s8
	s_waitcnt vmcnt(0) lgkmcnt(0)
	v_fma_f32 v4, -v5, v6, v4
	s_cbranch_scc1 .LBB24_29
.LBB24_30:
	s_mul_i32 s7, s8, 0x54
	v_mov_b32_e32 v2, s7
	ds_read_b32 v2, v2
	s_add_i32 s12, s8, -1
	s_waitcnt lgkmcnt(0)
	v_mul_f32_e32 v2, v2, v4
	global_store_dword v[0:1], v2, off
.LBB24_31:
	s_cmp_eq_u32 s8, 0
	s_mov_b32 s13, 0
	s_cbranch_scc1 .LBB24_38
; %bb.32:
	s_mul_i32 s7, s12, 0x50
	s_lshl_b32 s8, s18, 2
	s_add_i32 s9, s7, s8
	s_add_i32 s8, s9, -4
	s_add_u32 s7, s4, s0
	s_addc_u32 s11, s5, s1
	v_add_co_u32_e32 v2, vcc, s7, v46
	s_ashr_i32 s7, s6, 31
	s_lshl_b64 s[14:15], s[6:7], 2
	s_add_u32 s7, s2, s14
	v_mov_b32_e32 v0, s11
	s_addc_u32 s11, s3, s15
	v_addc_co_u32_e32 v3, vcc, v0, v47, vcc
	v_mov_b32_e32 v1, s11
	s_ashr_i32 s11, s10, 31
	v_add_co_u32_e32 v0, vcc, s7, v2
	s_add_i32 s7, s9, 0xffffffac
	v_cmp_lt_i64_e64 s[14:15], s[10:11], 20
	s_and_b64 s[14:15], s[14:15], exec
	s_cselect_b32 s15, s11, 0
	s_cselect_b32 s14, s10, 20
	s_lshl_b64 s[14:15], s[14:15], 2
	s_add_u32 s9, s2, s14
	v_addc_co_u32_e32 v1, vcc, v1, v3, vcc
	s_addc_u32 s11, s3, s15
	v_mov_b32_e32 v4, s11
	v_add_co_u32_e32 v2, vcc, s9, v2
	v_addc_co_u32_e32 v3, vcc, v4, v3, vcc
	v_add_co_u32_e32 v2, vcc, -4, v2
	v_addc_co_u32_e32 v3, vcc, -1, v3, vcc
	s_branch .LBB24_34
.LBB24_33:                              ;   in Loop: Header=BB24_34 Depth=1
	s_addk_i32 s9, 0xffac
	v_mov_b32_e32 v6, s9
	ds_read_b32 v6, v6
	s_add_i32 s9, s12, -2
	s_addk_i32 s8, 0xff60
	s_addk_i32 s7, 0xff60
	s_cmp_lt_i32 s12, 2
	s_waitcnt lgkmcnt(0)
	v_mul_f32_e32 v6, v6, v8
	s_mov_b32 s12, s9
	global_store_dword v[4:5], v6, off offset:-4
	s_cbranch_scc1 .LBB24_38
.LBB24_34:                              ; =>This Loop Header: Depth=1
                                        ;     Child Loop BB24_35 Depth 2
                                        ;     Child Loop BB24_37 Depth 2
	s_lshl_b64 s[14:15], s[12:13], 2
	v_mov_b32_e32 v5, s15
	v_add_co_u32_e32 v4, vcc, s14, v44
	v_addc_co_u32_e32 v5, vcc, v45, v5, vcc
	global_load_dword v6, v[4:5], off
	v_pk_mov_b32 v[4:5], v[0:1], v[0:1] op_sel:[0,1]
	s_mov_b32 s9, s8
	s_cmp_le_i32 s6, s12
	s_mov_b32 s11, s6
	s_waitcnt vmcnt(0)
	v_mul_f32_e32 v8, s16, v6
	s_cbranch_scc1 .LBB24_36
.LBB24_35:                              ;   Parent Loop BB24_34 Depth=1
                                        ; =>  This Inner Loop Header: Depth=2
	global_load_dword v6, v[4:5], off
	v_mov_b32_e32 v7, s9
	ds_read_b32 v7, v7
	s_add_i32 s11, s11, -1
	s_add_i32 s9, s9, -4
	v_add_co_u32_e32 v4, vcc, -4, v4
	v_addc_co_u32_e32 v5, vcc, -1, v5, vcc
	s_cmp_gt_i32 s11, s12
	s_waitcnt vmcnt(0) lgkmcnt(0)
	v_fma_f32 v8, -v6, v7, v8
	s_cbranch_scc1 .LBB24_35
.LBB24_36:                              ;   in Loop: Header=BB24_34 Depth=1
	s_add_i32 s14, s12, -1
	s_mov_b32 s15, s13
	s_lshl_b64 s[14:15], s[14:15], 2
	v_mov_b32_e32 v5, s15
	v_add_co_u32_e32 v4, vcc, s14, v44
	v_addc_co_u32_e32 v5, vcc, v45, v5, vcc
	global_load_dword v9, v[4:5], off
	s_mul_i32 s9, s12, 0x54
	v_mov_b32_e32 v4, s9
	ds_read_b32 v10, v4
	s_ashr_i32 s15, s12, 31
	s_mov_b32 s14, s12
	s_lshl_b64 s[14:15], s[14:15], 2
	v_mov_b32_e32 v5, s15
	v_add_co_u32_e32 v4, vcc, s14, v44
	v_addc_co_u32_e32 v5, vcc, v45, v5, vcc
	s_waitcnt lgkmcnt(0)
	v_mul_f32_e32 v8, v10, v8
	v_pk_mov_b32 v[6:7], v[2:3], v[2:3] op_sel:[0,1]
	s_mov_b32 s11, s7
	s_cmp_le_i32 s18, s12
	global_store_dword v[4:5], v8, off
	s_mov_b32 s14, s18
	s_waitcnt vmcnt(1)
	v_mul_f32_e32 v8, s16, v9
	s_cbranch_scc1 .LBB24_33
.LBB24_37:                              ;   Parent Loop BB24_34 Depth=1
                                        ; =>  This Inner Loop Header: Depth=2
	global_load_dword v9, v[6:7], off
	v_mov_b32_e32 v10, s11
	ds_read_b32 v10, v10
	s_add_i32 s14, s14, -1
	s_add_i32 s11, s11, -4
	v_add_co_u32_e32 v6, vcc, -4, v6
	v_addc_co_u32_e32 v7, vcc, -1, v7, vcc
	s_cmp_gt_i32 s14, s12
	s_waitcnt vmcnt(0) lgkmcnt(0)
	v_fma_f32 v8, -v9, v10, v8
	s_cbranch_scc1 .LBB24_37
	s_branch .LBB24_33
.LBB24_38:
	s_mov_b64 s[6:7], 0
.LBB24_39:
	s_and_b64 vcc, exec, s[6:7]
	s_cbranch_vccz .LBB24_62
; %bb.40:
	s_cmp_gt_i32 s10, 19
	s_cselect_b64 s[6:7], -1, 0
	s_mov_b32 s8, 0
	s_and_b64 vcc, exec, s[6:7]
	s_cbranch_vccz .LBB24_42
; %bb.41:
	global_load_dwordx4 v[4:7], v[44:45], off
	global_load_dwordx4 v[16:19], v[44:45], off offset:16
	global_load_dwordx4 v[0:3], v[44:45], off offset:32
	;; [unrolled: 1-line block ×3, first 2 shown]
	v_mov_b32_e32 v62, 0
	ds_read_b128 v[8:11], v62
	ds_read_b128 v[36:39], v62 offset:16
	ds_read_b128 v[28:31], v62 offset:336
	;; [unrolled: 1-line block ×3, first 2 shown]
	ds_read2_b32 v[40:41], v62 offset0:23 offset1:24
	ds_read2_b32 v[60:61], v62 offset0:25 offset1:26
	;; [unrolled: 1-line block ×8, first 2 shown]
	ds_read2_b64 v[32:35], v62 offset0:23 offset1:24
	ds_read2_b64 v[20:23], v62 offset0:25 offset1:26
	s_movk_i32 s8, 0x200
	s_waitcnt vmcnt(3)
	v_mul_f32_e32 v4, s16, v4
	s_waitcnt lgkmcnt(13)
	v_mul_f32_e32 v4, v8, v4
	v_mul_f32_e32 v63, v4, v9
	;; [unrolled: 1-line block ×4, first 2 shown]
	ds_read2_b32 v[42:43], v62 offset0:21 offset1:22
	ds_read_b128 v[8:11], v62 offset:64
	s_waitcnt lgkmcnt(14)
	v_mul_f32_e32 v36, v4, v36
	v_fma_f32 v5, v5, s16, -v63
	v_mul_f32_e32 v37, v4, v37
	v_mul_f32_e32 v38, v4, v38
	;; [unrolled: 1-line block ×3, first 2 shown]
	v_fma_f32 v6, v6, s16, -v64
	v_fma_f32 v7, v7, s16, -v65
	s_waitcnt vmcnt(2)
	v_fma_f32 v63, v16, s16, -v36
	s_waitcnt lgkmcnt(1)
	v_mul_f32_e32 v5, v42, v5
	v_fma_f32 v64, v17, s16, -v37
	v_fma_f32 v65, v18, s16, -v38
	;; [unrolled: 1-line block ×3, first 2 shown]
	ds_read_b128 v[36:39], v62 offset:32
	ds_read_b128 v[16:19], v62 offset:48
	v_fma_f32 v6, -v5, v43, v6
	v_fma_f32 v7, -v5, v40, v7
	;; [unrolled: 1-line block ×3, first 2 shown]
	ds_read2_b64 v[40:43], v62 offset0:21 offset1:22
	ds_read_b32 v76, v62 offset:156
	s_waitcnt lgkmcnt(3)
	v_mul_f32_e32 v36, v4, v36
	v_mul_f32_e32 v37, v4, v37
	s_waitcnt vmcnt(1)
	v_fma_f32 v0, v0, s16, -v36
	s_waitcnt lgkmcnt(1)
	v_mul_f32_e32 v6, v40, v6
	v_fma_f32 v7, -v6, v41, v7
	v_fma_f32 v60, -v5, v60, v64
	;; [unrolled: 1-line block ×4, first 2 shown]
	v_mul_f32_e32 v0, v4, v38
	v_fma_f32 v1, v1, s16, -v37
	v_fma_f32 v40, -v6, v42, v63
	v_mul_f32_e32 v7, v54, v7
	v_fma_f32 v64, -v5, v58, v66
	v_fma_f32 v0, v2, s16, -v0
	v_fma_f32 v2, -v5, v56, v1
	v_fma_f32 v41, -v6, v43, v60
	;; [unrolled: 1-line block ×5, first 2 shown]
	ds_read2_b32 v[0:1], v62 offset0:105 offset1:106
	ds_read2_b32 v[36:37], v62 offset0:107 offset1:108
	ds_read2_b32 v[56:57], v62 offset0:109 offset1:110
	ds_read2_b32 v[58:59], v62 offset0:111 offset1:112
	v_fma_f32 v60, -v6, v33, v64
	v_fma_f32 v61, -v6, v34, v65
	;; [unrolled: 1-line block ×5, first 2 shown]
	ds_read2_b64 v[32:35], v62 offset0:63 offset1:64
	ds_read2_b64 v[40:43], v62 offset0:65 offset1:66
	v_mul_f32_e32 v28, v28, v54
	v_fma_f32 v29, -v28, v29, v52
	v_fma_f32 v50, -v7, v50, v60
	;; [unrolled: 1-line block ×3, first 2 shown]
	s_waitcnt lgkmcnt(5)
	v_mul_f32_e32 v29, v0, v29
	v_fma_f32 v31, -v28, v31, v50
	v_fma_f32 v0, -v29, v1, v30
	s_waitcnt lgkmcnt(4)
	v_fma_f32 v1, -v29, v36, v31
	s_waitcnt lgkmcnt(1)
	v_mul_f32_e32 v30, v32, v0
	v_fma_f32 v31, -v30, v33, v1
	ds_read2_b32 v[0:1], v62 offset0:147 offset1:148
	v_fma_f32 v51, -v7, v51, v61
	v_fma_f32 v24, -v28, v24, v51
	;; [unrolled: 1-line block ×5, first 2 shown]
	s_waitcnt lgkmcnt(0)
	v_mul_f32_e32 v31, v0, v31
	v_fma_f32 v0, -v6, v20, v38
	v_fma_f32 v2, -v28, v25, v2
	ds_read2_b32 v[24:25], v62 offset0:149 offset1:150
	ds_read2_b32 v[50:51], v62 offset0:151 offset1:152
	;; [unrolled: 1-line block ×3, first 2 shown]
	v_fma_f32 v37, -v31, v1, v32
	v_fma_f32 v0, -v7, v49, v0
	ds_read2_b32 v[32:33], v62 offset0:31 offset1:32
	v_fma_f32 v2, -v29, v56, v2
	v_fma_f32 v0, -v28, v26, v0
	;; [unrolled: 1-line block ×4, first 2 shown]
	ds_read2_b32 v[54:55], v62 offset0:33 offset1:34
	ds_read2_b32 v[56:57], v62 offset0:35 offset1:36
	;; [unrolled: 1-line block ×4, first 2 shown]
	v_mul_f32_e32 v0, v4, v39
	v_fma_f32 v0, v3, s16, -v0
	s_waitcnt lgkmcnt(4)
	v_fma_f32 v0, -v5, v32, v0
	v_fma_f32 v0, -v6, v21, v0
	s_waitcnt lgkmcnt(0)
	v_fma_f32 v0, -v7, v34, v0
	ds_read2_b32 v[64:65], v62 offset0:73 offset1:74
	ds_read2_b32 v[66:67], v62 offset0:75 offset1:76
	;; [unrolled: 1-line block ×3, first 2 shown]
	v_fma_f32 v21, -v28, v27, v0
	ds_read_b128 v[0:3], v62 offset:672
	v_fma_f32 v20, -v30, v40, v20
	v_fma_f32 v20, -v31, v25, v20
	;; [unrolled: 1-line block ×3, first 2 shown]
	ds_read_b128 v[24:27], v62 offset:688
	s_waitcnt lgkmcnt(1)
	v_mul_f32_e32 v0, v0, v37
	v_fma_f32 v40, -v0, v2, v20
	v_fma_f32 v2, -v29, v58, v21
	;; [unrolled: 1-line block ×5, first 2 shown]
	v_mul_f32_e32 v2, v4, v16
	v_mul_f32_e32 v3, v4, v17
	s_waitcnt vmcnt(0)
	v_fma_f32 v2, v12, s16, -v2
	v_fma_f32 v3, v13, s16, -v3
	v_fma_f32 v2, -v5, v33, v2
	v_fma_f32 v3, -v5, v54, v3
	;; [unrolled: 1-line block ×4, first 2 shown]
	ds_read_b128 v[20:23], v62 offset:368
	v_fma_f32 v2, -v7, v35, v2
	v_fma_f32 v1, -v0, v1, v32
	ds_read_b128 v[32:35], v62 offset:384
	v_fma_f32 v12, -v7, v64, v12
	s_waitcnt lgkmcnt(1)
	v_fma_f32 v2, -v28, v20, v2
	v_fma_f32 v2, -v29, v59, v2
	;; [unrolled: 1-line block ×3, first 2 shown]
	ds_read2_b32 v[2:3], v62 offset0:113 offset1:114
	v_fma_f32 v12, -v28, v21, v12
	ds_read2_b32 v[58:59], v62 offset0:115 offset1:116
	ds_read2_b32 v[70:71], v62 offset0:117 offset1:118
	v_fma_f32 v16, -v31, v51, v16
	v_fma_f32 v16, -v0, v24, v16
	s_waitcnt lgkmcnt(2)
	v_fma_f32 v2, -v29, v2, v12
	ds_read2_b32 v[12:13], v62 offset0:189 offset1:190
	ds_read_b128 v[36:39], v62 offset:704
	v_fma_f32 v17, -v30, v43, v2
	v_mul_f32_e32 v8, v4, v8
	v_mul_f32_e32 v9, v4, v9
	s_waitcnt lgkmcnt(1)
	v_mul_f32_e32 v1, v12, v1
	v_fma_f32 v2, -v1, v13, v40
	ds_read2_b32 v[12:13], v62 offset0:191 offset1:192
	ds_read2_b32 v[20:21], v62 offset0:193 offset1:194
	ds_read2_b32 v[72:73], v62 offset0:195 offset1:196
	ds_read2_b32 v[74:75], v62 offset0:197 offset1:198
	v_mul_f32_e32 v10, v4, v10
	s_waitcnt lgkmcnt(3)
	v_fma_f32 v12, -v1, v12, v41
	ds_read2_b64 v[40:43], v62 offset0:105 offset1:106
	ds_read2_b64 v[48:51], v62 offset0:107 offset1:108
	v_fma_f32 v13, -v1, v13, v16
	s_waitcnt lgkmcnt(1)
	v_mul_f32_e32 v2, v40, v2
	v_fma_f32 v54, -v2, v41, v12
	v_fma_f32 v12, -v31, v52, v17
	;; [unrolled: 1-line block ×5, first 2 shown]
	v_mul_f32_e32 v12, v4, v18
	v_fma_f32 v63, -v2, v42, v13
	v_mul_f32_e32 v13, v4, v19
	v_fma_f32 v12, v14, s16, -v12
	v_fma_f32 v16, v15, s16, -v13
	v_fma_f32 v17, -v5, v55, v12
	ds_read_b64 v[24:25], v62 offset:232
	ds_read2_b64 v[12:15], v62 offset0:27 offset1:28
	v_fma_f32 v16, -v5, v56, v16
	s_waitcnt lgkmcnt(0)
	v_fma_f32 v12, -v6, v12, v17
	v_fma_f32 v13, -v6, v13, v16
	ds_read_b64 v[40:41], v62 offset:552
	ds_read2_b64 v[16:19], v62 offset0:67 offset1:68
	v_fma_f32 v12, -v7, v65, v12
	v_fma_f32 v12, -v28, v22, v12
	;; [unrolled: 1-line block ×4, first 2 shown]
	s_waitcnt lgkmcnt(0)
	v_fma_f32 v3, -v30, v16, v3
	v_fma_f32 v13, -v28, v23, v13
	;; [unrolled: 1-line block ×5, first 2 shown]
	ds_read2_b32 v[12:13], v62 offset0:155 offset1:156
	ds_read2_b32 v[42:43], v62 offset0:157 offset1:158
	v_fma_f32 v3, -v30, v17, v3
	s_waitcnt lgkmcnt(1)
	v_fma_f32 v3, -v31, v12, v3
	v_fma_f32 v56, -v0, v27, v3
	ds_read2_b32 v[16:17], v62 offset0:231 offset1:232
	ds_read2_b32 v[22:23], v62 offset0:233 offset1:234
	;; [unrolled: 1-line block ×3, first 2 shown]
	ds_read_b64 v[52:53], v62 offset:872
	s_waitcnt lgkmcnt(3)
	v_mul_f32_e32 v3, v16, v54
	v_fma_f32 v16, -v1, v21, v55
	v_fma_f32 v16, -v2, v48, v16
	;; [unrolled: 1-line block ×3, first 2 shown]
	s_waitcnt lgkmcnt(2)
	v_fma_f32 v17, -v3, v22, v20
	v_fma_f32 v16, -v3, v23, v16
	ds_read2_b32 v[54:55], v62 offset0:237 offset1:238
	ds_read_b128 v[20:23], v62 offset:1008
	s_waitcnt lgkmcnt(0)
	v_mul_f32_e32 v12, v20, v12
	v_fma_f32 v20, -v1, v72, v56
	v_fma_f32 v20, -v2, v49, v20
	;; [unrolled: 1-line block ×6, first 2 shown]
	global_load_dwordx4 v[20:23], v[44:45], off offset:64
	s_waitcnt vmcnt(0)
	v_fma_f32 v8, v20, s16, -v8
	v_fma_f32 v8, -v5, v57, v8
	v_fma_f32 v8, -v6, v14, v8
	v_fma_f32 v9, v21, s16, -v9
	v_fma_f32 v8, -v7, v67, v8
	v_fma_f32 v9, -v5, v60, v9
	;; [unrolled: 1-line block ×16, first 2 shown]
	v_mov_b32_e32 v9, 0x444
	v_fma_f32 v13, -v1, v74, v8
	ds_read2_b32 v[8:9], v9 offset1:1
	v_fma_f32 v36, -v2, v51, v13
	v_mov_b32_e32 v13, 0x44c
	ds_read2_b32 v[32:33], v13 offset1:1
	ds_read_b32 v42, v62 offset:1596
	ds_read2_b64 v[18:21], v62 offset0:147 offset1:148
	s_waitcnt lgkmcnt(3)
	v_mul_f32_e32 v13, v8, v17
	v_fma_f32 v8, -v13, v9, v16
	v_fma_f32 v9, -v3, v27, v14
	ds_read_b128 v[14:17], v62 offset:1024
	v_fma_f32 v10, v22, s16, -v10
	v_fma_f32 v10, -v5, v61, v10
	s_waitcnt lgkmcnt(3)
	v_fma_f32 v26, -v13, v32, v26
	v_fma_f32 v10, -v6, v24, v10
	s_waitcnt lgkmcnt(0)
	v_fma_f32 v9, -v12, v14, v9
	v_fma_f32 v9, -v13, v33, v9
	v_mul_f32_e32 v14, v18, v8
	v_mov_b32_e32 v8, 0x454
	v_fma_f32 v37, -v14, v19, v26
	v_fma_f32 v20, -v14, v20, v9
	;; [unrolled: 1-line block ×3, first 2 shown]
	v_mov_b32_e32 v18, 0x4ec
	v_mov_b32_e32 v19, 0x4f4
	;; [unrolled: 1-line block ×3, first 2 shown]
	v_fma_f32 v10, -v7, v69, v10
	v_fma_f32 v15, -v12, v15, v9
	ds_read2_b32 v[8:9], v8 offset1:1
	ds_read2_b32 v[26:27], v19 offset1:1
	;; [unrolled: 1-line block ×4, first 2 shown]
	v_fma_f32 v10, -v28, v34, v10
	v_fma_f32 v10, -v29, v71, v10
	;; [unrolled: 1-line block ×5, first 2 shown]
	s_waitcnt lgkmcnt(3)
	v_fma_f32 v8, -v13, v8, v15
	s_waitcnt lgkmcnt(0)
	v_mul_f32_e32 v15, v18, v37
	v_fma_f32 v10, -v1, v75, v10
	ds_read_b64 v[36:37], v62 offset:1192
	v_fma_f32 v8, -v14, v21, v8
	v_fma_f32 v48, -v15, v19, v20
	ds_read_b128 v[18:21], v62 offset:1344
	v_fma_f32 v10, -v2, v52, v10
	v_fma_f32 v10, -v3, v55, v10
	;; [unrolled: 1-line block ×5, first 2 shown]
	s_waitcnt lgkmcnt(1)
	v_fma_f32 v8, -v14, v36, v9
	v_fma_f32 v16, -v15, v27, v8
	s_waitcnt lgkmcnt(0)
	v_mul_f32_e32 v8, v18, v48
	v_fma_f32 v9, -v8, v19, v10
	ds_read_b64 v[18:19], v62 offset:1512
	global_store_dwordx4 v[44:45], v[4:7], off
	global_store_dwordx4 v[44:45], v[28:31], off offset:16
	global_store_dwordx4 v[44:45], v[0:3], off offset:32
	;; [unrolled: 1-line block ×3, first 2 shown]
	ds_read2_b32 v[26:27], v62 offset0:79 offset1:119
	v_mul_f32_e32 v4, v4, v11
	v_fma_f32 v4, v23, s16, -v4
	v_fma_f32 v4, -v5, v76, v4
	v_fma_f32 v6, -v6, v25, v4
	ds_read2_b32 v[4:5], v62 offset0:159 offset1:199
	s_waitcnt lgkmcnt(1)
	v_fma_f32 v6, -v7, v26, v6
	v_fma_f32 v6, -v28, v35, v6
	;; [unrolled: 1-line block ×4, first 2 shown]
	s_waitcnt lgkmcnt(0)
	v_fma_f32 v4, -v31, v4, v6
	v_fma_f32 v0, -v0, v39, v4
	;; [unrolled: 1-line block ×3, first 2 shown]
	v_add_u32_e64 v0, s8, 0
	ds_read2_b32 v[0:1], v0 offset0:111 offset1:151
	s_movk_i32 s8, 0x400
	v_fma_f32 v2, -v2, v53, v4
	v_add_u32_e64 v4, s8, 0
	ds_read2_b32 v[4:5], v4 offset0:63 offset1:103
	s_waitcnt lgkmcnt(1)
	v_fma_f32 v0, -v3, v0, v2
	v_fma_f32 v0, -v12, v17, v0
	;; [unrolled: 1-line block ×4, first 2 shown]
	v_mul_f32_e32 v9, v32, v9
	v_fma_f32 v10, -v8, v20, v16
	s_waitcnt lgkmcnt(0)
	v_fma_f32 v0, -v15, v4, v0
	v_fma_f32 v10, -v9, v33, v10
	;; [unrolled: 1-line block ×3, first 2 shown]
	v_mul_f32_e32 v10, v18, v10
	v_fma_f32 v0, -v9, v5, v0
	v_fma_f32 v0, -v10, v19, v0
	v_mul_f32_e32 v11, v42, v0
	s_mov_b32 s8, 20
	global_store_dwordx4 v[44:45], v[8:11], off offset:64
.LBB24_42:
	s_cmp_lt_i32 s8, s18
	s_cbranch_scc0 .LBB24_62
; %bb.43:
	s_add_i32 s9, s8, 15
	s_cmp_ge_u32 s9, s18
	s_cbranch_scc1 .LBB24_51
; %bb.44:
	s_lshl_b32 s11, s8, 2
	v_add_co_u32_e32 v8, vcc, s11, v44
	v_addc_co_u32_e32 v9, vcc, 0, v45, vcc
	global_load_dwordx4 v[0:3], v[8:9], off
	global_load_dwordx4 v[4:7], v[8:9], off offset:16
	global_load_dwordx4 v[10:13], v[8:9], off offset:32
	;; [unrolled: 1-line block ×3, first 2 shown]
	s_mov_b32 s10, 0
	s_andn2_b64 vcc, exec, s[6:7]
	s_waitcnt vmcnt(3)
	v_pk_mul_f32 v[0:1], v[0:1], s[16:17] op_sel_hi:[1,0]
	v_pk_mul_f32 v[2:3], v[2:3], s[16:17] op_sel_hi:[1,0]
	s_waitcnt vmcnt(2)
	v_pk_mul_f32 v[4:5], v[4:5], s[16:17] op_sel_hi:[1,0]
	v_pk_mul_f32 v[6:7], v[6:7], s[16:17] op_sel_hi:[1,0]
	;; [unrolled: 3-line block ×4, first 2 shown]
	s_cbranch_vccnz .LBB24_50
; %bb.45:
	s_max_u32 s6, s8, 1
	s_cmp_eq_u32 s6, 1
	s_cbranch_scc1 .LBB24_48
; %bb.46:
	s_and_b32 s10, s6, 20
	s_add_u32 s7, s2, s4
	s_addc_u32 s12, s3, s5
	s_add_u32 s7, s7, s0
	s_addc_u32 s12, s12, s1
	v_mov_b32_e32 v18, s12
	v_add_co_u32_e32 v19, vcc, s7, v46
	v_addc_co_u32_e32 v20, vcc, v18, v47, vcc
	v_add_co_u32_e32 v18, vcc, 4, v19
	v_addc_co_u32_e32 v19, vcc, 0, v20, vcc
	s_mov_b32 s7, 0
.LBB24_47:                              ; =>This Inner Loop Header: Depth=1
	global_load_dwordx2 v[56:57], v[18:19], off offset:-4
	v_mov_b32_e32 v52, s11
	ds_read_b128 v[20:23], v52
	ds_read_b128 v[24:27], v52 offset:16
	ds_read_b128 v[28:31], v52 offset:32
	ds_read_b128 v[32:35], v52 offset:48
	ds_read_b128 v[36:39], v52 offset:80
	ds_read_b128 v[40:43], v52 offset:96
	ds_read_b128 v[48:51], v52 offset:112
	ds_read_b128 v[52:55], v52 offset:128
	s_add_i32 s7, s7, 2
	s_addk_i32 s11, 0xa0
	v_add_co_u32_e32 v18, vcc, 8, v18
	v_addc_co_u32_e32 v19, vcc, 0, v19, vcc
	s_cmp_lg_u32 s10, s7
	s_waitcnt vmcnt(0) lgkmcnt(7)
	v_pk_fma_f32 v[0:1], v[56:57], v[20:21], v[0:1] op_sel_hi:[0,1,1] neg_lo:[1,0,0] neg_hi:[1,0,0]
	v_pk_fma_f32 v[2:3], v[56:57], v[22:23], v[2:3] op_sel_hi:[0,1,1] neg_lo:[1,0,0] neg_hi:[1,0,0]
	s_waitcnt lgkmcnt(6)
	v_pk_fma_f32 v[4:5], v[56:57], v[24:25], v[4:5] op_sel_hi:[0,1,1] neg_lo:[1,0,0] neg_hi:[1,0,0]
	v_pk_fma_f32 v[6:7], v[56:57], v[26:27], v[6:7] op_sel_hi:[0,1,1] neg_lo:[1,0,0] neg_hi:[1,0,0]
	s_waitcnt lgkmcnt(5)
	;; [unrolled: 3-line block ×4, first 2 shown]
	v_pk_fma_f32 v[0:1], v[56:57], v[36:37], v[0:1] op_sel:[1,0,0] neg_lo:[1,0,0] neg_hi:[1,0,0]
	v_pk_fma_f32 v[2:3], v[56:57], v[38:39], v[2:3] op_sel:[1,0,0] neg_lo:[1,0,0] neg_hi:[1,0,0]
	s_waitcnt lgkmcnt(2)
	v_pk_fma_f32 v[4:5], v[56:57], v[40:41], v[4:5] op_sel:[1,0,0] neg_lo:[1,0,0] neg_hi:[1,0,0]
	v_pk_fma_f32 v[6:7], v[56:57], v[42:43], v[6:7] op_sel:[1,0,0] neg_lo:[1,0,0] neg_hi:[1,0,0]
	s_waitcnt lgkmcnt(1)
	;; [unrolled: 3-line block ×3, first 2 shown]
	v_pk_fma_f32 v[12:13], v[56:57], v[52:53], v[12:13] op_sel:[1,0,0] neg_lo:[1,0,0] neg_hi:[1,0,0]
	v_pk_fma_f32 v[10:11], v[56:57], v[54:55], v[10:11] op_sel:[1,0,0] neg_lo:[1,0,0] neg_hi:[1,0,0]
	s_cbranch_scc1 .LBB24_47
.LBB24_48:
	s_bitcmp0_b32 s6, 0
	s_cbranch_scc1 .LBB24_50
; %bb.49:
	s_lshl_b32 s6, s10, 2
	v_add_co_u32_e32 v18, vcc, s6, v44
	v_addc_co_u32_e32 v19, vcc, 0, v45, vcc
	global_load_dword v34, v[18:19], off
	s_mul_i32 s6, s10, 20
	s_add_i32 s6, s6, s8
	s_lshl_b32 s6, s6, 2
	v_mov_b32_e32 v30, s6
	ds_read_b128 v[18:21], v30
	ds_read_b128 v[22:25], v30 offset:16
	ds_read_b128 v[26:29], v30 offset:32
	;; [unrolled: 1-line block ×3, first 2 shown]
	s_waitcnt vmcnt(0) lgkmcnt(3)
	v_pk_fma_f32 v[0:1], v[34:35], v[18:19], v[0:1] op_sel_hi:[0,1,1] neg_lo:[1,0,0] neg_hi:[1,0,0]
	v_pk_fma_f32 v[2:3], v[34:35], v[20:21], v[2:3] op_sel_hi:[0,1,1] neg_lo:[1,0,0] neg_hi:[1,0,0]
	s_waitcnt lgkmcnt(2)
	v_pk_fma_f32 v[4:5], v[34:35], v[22:23], v[4:5] op_sel_hi:[0,1,1] neg_lo:[1,0,0] neg_hi:[1,0,0]
	v_pk_fma_f32 v[6:7], v[34:35], v[24:25], v[6:7] op_sel_hi:[0,1,1] neg_lo:[1,0,0] neg_hi:[1,0,0]
	s_waitcnt lgkmcnt(1)
	;; [unrolled: 3-line block ×3, first 2 shown]
	v_pk_fma_f32 v[12:13], v[34:35], v[30:31], v[12:13] op_sel_hi:[0,1,1] neg_lo:[1,0,0] neg_hi:[1,0,0]
	v_pk_fma_f32 v[10:11], v[34:35], v[32:33], v[10:11] op_sel_hi:[0,1,1] neg_lo:[1,0,0] neg_hi:[1,0,0]
.LBB24_50:
	s_mul_i32 s6, s8, 0x54
	v_mov_b32_e32 v64, s6
	ds_read_b128 v[18:21], v64
	ds_read_b128 v[22:25], v64 offset:16
	s_or_b32 s6, s8, 8
	s_mulk_i32 s6, 0x54
	s_waitcnt lgkmcnt(1)
	v_mul_f32_e32 v0, v18, v0
	v_fma_f32 v1, -v0, v19, v1
	ds_read2_b32 v[18:19], v64 offset0:21 offset1:22
	ds_read2_b32 v[38:39], v64 offset0:23 offset1:24
	;; [unrolled: 1-line block ×4, first 2 shown]
	ds_read2_b64 v[26:29], v64 offset0:21 offset1:22
	s_waitcnt lgkmcnt(4)
	v_mul_f32_e32 v1, v18, v1
	v_fma_f32 v2, -v0, v20, v2
	v_fma_f32 v2, -v1, v19, v2
	ds_read2_b64 v[30:33], v64 offset0:23 offset1:24
	ds_read2_b32 v[18:19], v64 offset0:63 offset1:64
	v_fma_f32 v3, -v0, v21, v3
	s_waitcnt lgkmcnt(2)
	v_mul_f32_e32 v2, v26, v2
	v_fma_f32 v3, -v1, v38, v3
	ds_read2_b32 v[48:49], v64 offset0:65 offset1:66
	ds_read2_b32 v[54:55], v64 offset0:67 offset1:68
	;; [unrolled: 1-line block ×3, first 2 shown]
	v_fma_f32 v4, -v0, v22, v4
	v_fma_f32 v5, -v0, v23, v5
	;; [unrolled: 1-line block ×4, first 2 shown]
	ds_read_b128 v[34:37], v64 offset:336
	v_fma_f32 v4, -v1, v39, v4
	ds_read_b128 v[38:41], v64 offset:352
	v_fma_f32 v5, -v1, v42, v5
	v_fma_f32 v6, -v1, v43, v6
	s_waitcnt lgkmcnt(5)
	v_mul_f32_e32 v3, v18, v3
	v_fma_f32 v4, -v2, v28, v4
	v_fma_f32 v5, -v2, v29, v5
	;; [unrolled: 1-line block ×4, first 2 shown]
	ds_read2_b32 v[18:19], v64 offset0:75 offset1:105
	s_waitcnt lgkmcnt(5)
	v_fma_f32 v5, -v3, v48, v5
	ds_read2_b64 v[26:29], v64 offset0:53 offset1:54
	ds_read2_b32 v[20:21], v64 offset0:126 offset1:135
	v_fma_f32 v6, -v3, v49, v6
	ds_read_b128 v[48:51], v64 offset:368
	v_fma_f32 v7, -v0, v25, v7
	ds_read_b128 v[22:25], v64 offset:32
	v_fma_f32 v7, -v1, v52, v7
	s_waitcnt lgkmcnt(6)
	v_mul_f32_e32 v4, v34, v4
	v_fma_f32 v7, -v2, v31, v7
	v_fma_f32 v5, -v4, v35, v5
	;; [unrolled: 1-line block ×3, first 2 shown]
	s_waitcnt lgkmcnt(4)
	v_mul_f32_e32 v5, v19, v5
	v_fma_f32 v6, -v4, v36, v6
	v_fma_f32 v7, -v4, v37, v7
	s_waitcnt lgkmcnt(0)
	v_fma_f32 v16, -v0, v22, v16
	v_fma_f32 v6, -v5, v26, v6
	;; [unrolled: 1-line block ×3, first 2 shown]
	ds_read2_b32 v[42:43], v64 offset0:147 offset1:175
	ds_read_b128 v[34:37], v64 offset:48
	v_fma_f32 v16, -v1, v53, v16
	ds_read2_b32 v[26:27], v64 offset0:29 offset1:30
	v_fma_f32 v16, -v2, v32, v16
	v_fma_f32 v16, -v3, v55, v16
	;; [unrolled: 1-line block ×5, first 2 shown]
	s_waitcnt lgkmcnt(0)
	v_fma_f32 v16, -v1, v26, v16
	v_fma_f32 v16, -v2, v33, v16
	;; [unrolled: 1-line block ×4, first 2 shown]
	v_mul_f32_e32 v6, v20, v6
	ds_read2_b32 v[52:53], v64 offset0:31 offset1:32
	ds_read2_b32 v[54:55], v64 offset0:33 offset1:34
	ds_read_b32 v20, v64 offset:140
	v_fma_f32 v26, -v5, v29, v16
	v_fma_f32 v22, -v0, v24, v14
	;; [unrolled: 1-line block ×3, first 2 shown]
	ds_read2_b32 v[28:29], v64 offset0:127 offset1:128
	ds_read2_b32 v[30:31], v64 offset0:129 offset1:130
	ds_read2_b32 v[38:39], v64 offset0:131 offset1:132
	ds_read2_b32 v[58:59], v64 offset0:133 offset1:134
	ds_read2_b64 v[14:17], v64 offset0:25 offset1:26
	v_fma_f32 v22, -v1, v27, v22
	ds_read_b64 v[60:61], v64 offset:216
	s_waitcnt lgkmcnt(5)
	v_fma_f32 v7, -v6, v28, v7
	ds_read2_b32 v[62:63], v64 offset0:73 offset1:74
	s_waitcnt lgkmcnt(2)
	v_fma_f32 v14, -v2, v14, v22
	v_fma_f32 v14, -v3, v57, v14
	ds_read2_b32 v[56:57], v64 offset0:71 offset1:72
	v_fma_f32 v22, -v1, v52, v23
	v_fma_f32 v15, -v2, v15, v22
	ds_read2_b64 v[22:25], v64 offset0:55 offset1:56
	v_mul_f32_e32 v7, v42, v7
	s_waitcnt lgkmcnt(1)
	v_fma_f32 v15, -v3, v56, v15
	v_fma_f32 v14, -v4, v40, v14
	;; [unrolled: 1-line block ×5, first 2 shown]
	ds_read_b128 v[26:29], v64 offset:592
	ds_read_b64 v[40:41], v64 offset:456
	s_waitcnt lgkmcnt(2)
	v_fma_f32 v14, -v5, v22, v14
	v_fma_f32 v14, -v6, v31, v14
	;; [unrolled: 1-line block ×3, first 2 shown]
	s_waitcnt lgkmcnt(1)
	v_fma_f32 v52, -v7, v28, v14
	v_fma_f32 v14, -v5, v23, v15
	;; [unrolled: 1-line block ×4, first 2 shown]
	v_mov_b32_e32 v14, s6
	s_or_b32 s6, s8, 9
	v_fma_f32 v12, -v1, v53, v12
	s_mulk_i32 s6, 0x54
	v_fma_f32 v13, -v0, v35, v13
	v_fma_f32 v12, -v2, v16, v12
	v_mov_b32_e32 v15, s6
	s_or_b32 s6, s8, 10
	v_fma_f32 v13, -v1, v54, v13
	s_mulk_i32 s6, 0x54
	v_fma_f32 v12, -v3, v57, v12
	v_fma_f32 v13, -v2, v17, v13
	;; [unrolled: 6-line block ×3, first 2 shown]
	v_mov_b32_e32 v17, s6
	v_fma_f32 v12, -v4, v49, v12
	s_mul_i32 s6, s9, 0x54
	ds_read_b128 v[30:33], v64 offset:608
	v_fma_f32 v49, -v5, v25, v12
	v_mov_b32_e32 v12, s6
	ds_read_b32 v13, v14
	ds_read_b32 v28, v15
	;; [unrolled: 1-line block ×5, first 2 shown]
	ds_read2_b32 v[22:23], v64 offset0:169 offset1:170
	v_fma_f32 v19, -v7, v26, v19
	v_fma_f32 v42, -v7, v27, v42
	ds_read2_b32 v[24:25], v64 offset0:171 offset1:172
	ds_read2_b32 v[26:27], v64 offset0:173 offset1:174
	ds_read2_b64 v[14:17], v64 offset0:95 offset1:96
	s_waitcnt lgkmcnt(8)
	v_mul_f32_e32 v12, v13, v19
	s_waitcnt lgkmcnt(3)
	v_fma_f32 v13, -v12, v22, v42
	v_mul_f32_e32 v13, v28, v13
	v_fma_f32 v19, -v12, v23, v52
	ds_read_b64 v[28:29], v64 offset:776
	ds_read2_b32 v[22:23], v64 offset0:211 offset1:212
	s_waitcnt lgkmcnt(2)
	v_fma_f32 v14, -v13, v14, v19
	v_fma_f32 v19, -v12, v24, v38
	v_fma_f32 v15, -v13, v15, v19
	v_fma_f32 v19, -v6, v39, v48
	v_fma_f32 v19, -v7, v30, v19
	v_fma_f32 v19, -v12, v25, v19
	v_fma_f32 v10, -v0, v36, v10
	v_mul_f32_e32 v14, v34, v14
	ds_read2_b32 v[34:35], v64 offset0:213 offset1:214
	v_fma_f32 v16, -v13, v16, v19
	v_fma_f32 v10, -v1, v55, v10
	s_waitcnt lgkmcnt(1)
	v_fma_f32 v15, -v14, v22, v15
	v_fma_f32 v19, -v14, v23, v16
	;; [unrolled: 1-line block ×3, first 2 shown]
	ds_read_b128 v[22:25], v64 offset:928
	v_fma_f32 v10, -v2, v60, v10
	v_fma_f32 v16, -v7, v31, v16
	;; [unrolled: 1-line block ×3, first 2 shown]
	ds_read2_b32 v[30:31], v64 offset0:215 offset1:252
	v_fma_f32 v16, -v12, v26, v16
	v_fma_f32 v10, -v4, v50, v10
	;; [unrolled: 1-line block ×3, first 2 shown]
	ds_read2_b32 v[16:17], v64 offset0:253 offset1:254
	global_store_dwordx4 v[8:9], v[0:3], off
	v_fma_f32 v10, -v5, v40, v10
	v_fma_f32 v0, -v0, v37, v11
	v_mul_f32_e32 v15, v53, v15
	v_fma_f32 v10, -v6, v59, v10
	v_fma_f32 v0, -v1, v20, v0
	s_waitcnt lgkmcnt(2)
	v_fma_f32 v19, -v15, v22, v19
	v_fma_f32 v10, -v7, v32, v10
	;; [unrolled: 1-line block ×4, first 2 shown]
	s_waitcnt lgkmcnt(1)
	v_mul_f32_e32 v22, v31, v19
	v_fma_f32 v19, -v14, v34, v26
	v_fma_f32 v0, -v3, v18, v0
	;; [unrolled: 1-line block ×5, first 2 shown]
	s_waitcnt lgkmcnt(0)
	v_fma_f32 v19, -v22, v16, v19
	v_add_u32_e32 v16, 0x200, v64
	v_fma_f32 v10, -v14, v35, v10
	v_fma_f32 v0, -v5, v41, v0
	ds_read2_b32 v[26:27], v16 offset0:127 offset1:145
	v_fma_f32 v10, -v15, v24, v10
	v_fma_f32 v0, -v6, v21, v0
	;; [unrolled: 1-line block ×3, first 2 shown]
	ds_read_b64 v[16:17], v64 offset:1096
	v_add_u32_e32 v23, 0x400, v64
	v_fma_f32 v0, -v7, v33, v0
	ds_read2_b32 v[34:35], v23 offset0:38 offset1:39
	v_fma_f32 v0, -v12, v43, v0
	v_fma_f32 v0, -v13, v29, v0
	;; [unrolled: 1-line block ×3, first 2 shown]
	s_waitcnt lgkmcnt(2)
	v_mul_f32_e32 v23, v27, v19
	v_fma_f32 v0, -v15, v25, v0
	s_waitcnt lgkmcnt(1)
	v_fma_f32 v10, -v23, v16, v10
	v_fma_f32 v0, -v22, v26, v0
	s_waitcnt lgkmcnt(0)
	v_mul_f32_e32 v24, v34, v10
	v_fma_f32 v0, -v23, v17, v0
	v_fma_f32 v0, -v24, v35, v0
	s_add_i32 s8, s8, 16
	v_mul_f32_e32 v25, v54, v0
	global_store_dwordx4 v[8:9], v[4:7], off offset:16
	global_store_dwordx4 v[8:9], v[12:15], off offset:32
	;; [unrolled: 1-line block ×3, first 2 shown]
.LBB24_51:
	s_cmp_ge_i32 s8, s18
	s_cbranch_scc1 .LBB24_62
; %bb.52:
	s_add_i32 s6, s8, -1
	s_lshl_b32 s7, s8, 2
	s_add_u32 s2, s2, s4
	s_addc_u32 s3, s3, s5
	s_add_u32 s0, s2, s0
	s_addc_u32 s1, s3, s1
	v_mov_b32_e32 v0, s1
	v_add_co_u32_e32 v6, vcc, s0, v46
	v_addc_co_u32_e32 v7, vcc, v0, v47, vcc
	v_add_co_u32_e32 v0, vcc, 28, v6
	v_addc_co_u32_e32 v1, vcc, 0, v7, vcc
	s_mov_b32 s1, 0
	s_mov_b32 s3, s8
	;; [unrolled: 1-line block ×3, first 2 shown]
	s_branch .LBB24_54
.LBB24_53:                              ;   in Loop: Header=BB24_54 Depth=1
	s_mul_i32 s0, s8, 0x54
	v_mov_b32_e32 v4, s0
	ds_read_b32 v4, v4
	s_add_i32 s8, s8, 1
	s_add_i32 s2, s2, 1
	;; [unrolled: 1-line block ×3, first 2 shown]
	v_add_u16_e64 v5, s3, 1
	s_waitcnt lgkmcnt(0)
	v_mul_f32_e32 v4, v4, v8
	s_cmp_ge_i32 s8, s18
	v_readfirstlane_b32 s3, v5
	global_store_dword v[2:3], v4, off
	s_cbranch_scc1 .LBB24_62
.LBB24_54:                              ; =>This Loop Header: Depth=1
                                        ;     Child Loop BB24_57 Depth 2
                                        ;     Child Loop BB24_61 Depth 2
	s_ashr_i32 s9, s8, 31
	s_lshl_b64 s[4:5], s[8:9], 2
	v_mov_b32_e32 v3, s5
	v_add_co_u32_e32 v2, vcc, s4, v44
	v_addc_co_u32_e32 v3, vcc, v45, v3, vcc
	global_load_dword v4, v[2:3], off
	s_cmp_eq_u32 s8, 0
	s_waitcnt vmcnt(0)
	v_mul_f32_e32 v8, s16, v4
	s_cbranch_scc1 .LBB24_53
; %bb.55:                               ;   in Loop: Header=BB24_54 Depth=1
	s_add_i32 s0, s6, s2
	s_cmp_lt_u32 s0, 7
	s_cbranch_scc1 .LBB24_59
; %bb.56:                               ;   in Loop: Header=BB24_54 Depth=1
	s_and_b32 s0, s8, -8
	s_mov_b32 s4, 0
	v_pk_mov_b32 v[4:5], v[0:1], v[0:1] op_sel:[0,1]
	s_mov_b32 s5, s7
.LBB24_57:                              ;   Parent Loop BB24_54 Depth=1
                                        ; =>  This Inner Loop Header: Depth=2
	global_load_dwordx4 v[10:13], v[4:5], off offset:-28
	global_load_dwordx4 v[14:17], v[4:5], off offset:-12
	v_mov_b32_e32 v9, s5
	ds_read2_b32 v[18:19], v9 offset1:20
	ds_read2_b32 v[20:21], v9 offset0:40 offset1:60
	ds_read2_b32 v[22:23], v9 offset0:80 offset1:100
	;; [unrolled: 1-line block ×3, first 2 shown]
	s_add_i32 s4, s4, 8
	s_addk_i32 s5, 0x280
	v_add_co_u32_e32 v4, vcc, 32, v4
	v_addc_co_u32_e32 v5, vcc, 0, v5, vcc
	s_cmp_lg_u32 s0, s4
	s_waitcnt vmcnt(1) lgkmcnt(3)
	v_fma_f32 v8, -v10, v18, v8
	v_fma_f32 v8, -v11, v19, v8
	s_waitcnt lgkmcnt(2)
	v_fma_f32 v8, -v12, v20, v8
	v_fma_f32 v8, -v13, v21, v8
	s_waitcnt vmcnt(0) lgkmcnt(1)
	v_fma_f32 v8, -v14, v22, v8
	v_fma_f32 v8, -v15, v23, v8
	s_waitcnt lgkmcnt(0)
	v_fma_f32 v8, -v16, v24, v8
	v_fma_f32 v8, -v17, v25, v8
	s_cbranch_scc1 .LBB24_57
; %bb.58:                               ;   in Loop: Header=BB24_54 Depth=1
	s_and_b32 s4, s8, 7
	s_cmp_eq_u32 s4, 0
	s_cbranch_scc0 .LBB24_60
	s_branch .LBB24_53
.LBB24_59:                              ;   in Loop: Header=BB24_54 Depth=1
	s_mov_b32 s0, 0
	s_and_b32 s4, s8, 7
	s_cmp_eq_u32 s4, 0
	s_cbranch_scc1 .LBB24_53
.LBB24_60:                              ;   in Loop: Header=BB24_54 Depth=1
	s_lshl_b64 s[10:11], s[0:1], 2
	v_mov_b32_e32 v5, s11
	v_add_co_u32_e32 v4, vcc, s10, v6
	s_and_b32 s4, s3, 7
	s_mul_i32 s5, s0, 0x50
	v_addc_co_u32_e32 v5, vcc, v7, v5, vcc
.LBB24_61:                              ;   Parent Loop BB24_54 Depth=1
                                        ; =>  This Inner Loop Header: Depth=2
	global_load_dword v9, v[4:5], off
	s_add_i32 s0, s7, s5
	v_mov_b32_e32 v10, s0
	ds_read_b32 v10, v10
	s_addk_i32 s5, 0x50
	v_add_co_u32_e32 v4, vcc, 4, v4
	s_add_i32 s4, s4, -1
	v_addc_co_u32_e32 v5, vcc, 0, v5, vcc
	s_cmp_lg_u32 s4, 0
	s_waitcnt vmcnt(0) lgkmcnt(0)
	v_fma_f32 v8, -v9, v10, v8
	s_cbranch_scc1 .LBB24_61
	s_branch .LBB24_53
.LBB24_62:
	s_endpgm
	.section	.rodata,"a",@progbits
	.p2align	6, 0x0
	.amdhsa_kernel _ZL30rocblas_trsm_small_left_deviceILi20ELi20ELb1EffPKfPfEv13rocblas_fill_18rocblas_operation_17rocblas_diagonal_iiT3_T4_lilT5_lili
		.amdhsa_group_segment_fixed_size 1600
		.amdhsa_private_segment_fixed_size 0
		.amdhsa_kernarg_size 352
		.amdhsa_user_sgpr_count 6
		.amdhsa_user_sgpr_private_segment_buffer 1
		.amdhsa_user_sgpr_dispatch_ptr 0
		.amdhsa_user_sgpr_queue_ptr 0
		.amdhsa_user_sgpr_kernarg_segment_ptr 1
		.amdhsa_user_sgpr_dispatch_id 0
		.amdhsa_user_sgpr_flat_scratch_init 0
		.amdhsa_user_sgpr_kernarg_preload_length 0
		.amdhsa_user_sgpr_kernarg_preload_offset 0
		.amdhsa_user_sgpr_private_segment_size 0
		.amdhsa_uses_dynamic_stack 0
		.amdhsa_system_sgpr_private_segment_wavefront_offset 0
		.amdhsa_system_sgpr_workgroup_id_x 1
		.amdhsa_system_sgpr_workgroup_id_y 0
		.amdhsa_system_sgpr_workgroup_id_z 1
		.amdhsa_system_sgpr_workgroup_info 0
		.amdhsa_system_vgpr_workitem_id 0
		.amdhsa_next_free_vgpr 77
		.amdhsa_next_free_sgpr 43
		.amdhsa_accum_offset 80
		.amdhsa_reserve_vcc 1
		.amdhsa_reserve_flat_scratch 0
		.amdhsa_float_round_mode_32 0
		.amdhsa_float_round_mode_16_64 0
		.amdhsa_float_denorm_mode_32 3
		.amdhsa_float_denorm_mode_16_64 3
		.amdhsa_dx10_clamp 1
		.amdhsa_ieee_mode 1
		.amdhsa_fp16_overflow 0
		.amdhsa_tg_split 0
		.amdhsa_exception_fp_ieee_invalid_op 0
		.amdhsa_exception_fp_denorm_src 0
		.amdhsa_exception_fp_ieee_div_zero 0
		.amdhsa_exception_fp_ieee_overflow 0
		.amdhsa_exception_fp_ieee_underflow 0
		.amdhsa_exception_fp_ieee_inexact 0
		.amdhsa_exception_int_div_zero 0
	.end_amdhsa_kernel
	.section	.text._ZL30rocblas_trsm_small_left_deviceILi20ELi20ELb1EffPKfPfEv13rocblas_fill_18rocblas_operation_17rocblas_diagonal_iiT3_T4_lilT5_lili,"axG",@progbits,_ZL30rocblas_trsm_small_left_deviceILi20ELi20ELb1EffPKfPfEv13rocblas_fill_18rocblas_operation_17rocblas_diagonal_iiT3_T4_lilT5_lili,comdat
.Lfunc_end24:
	.size	_ZL30rocblas_trsm_small_left_deviceILi20ELi20ELb1EffPKfPfEv13rocblas_fill_18rocblas_operation_17rocblas_diagonal_iiT3_T4_lilT5_lili, .Lfunc_end24-_ZL30rocblas_trsm_small_left_deviceILi20ELi20ELb1EffPKfPfEv13rocblas_fill_18rocblas_operation_17rocblas_diagonal_iiT3_T4_lilT5_lili
                                        ; -- End function
	.section	.AMDGPU.csdata,"",@progbits
; Kernel info:
; codeLenInByte = 15384
; NumSgprs: 47
; NumVgprs: 77
; NumAgprs: 0
; TotalNumVgprs: 77
; ScratchSize: 0
; MemoryBound: 1
; FloatMode: 240
; IeeeMode: 1
; LDSByteSize: 1600 bytes/workgroup (compile time only)
; SGPRBlocks: 5
; VGPRBlocks: 9
; NumSGPRsForWavesPerEU: 47
; NumVGPRsForWavesPerEU: 77
; AccumOffset: 80
; Occupancy: 6
; WaveLimiterHint : 0
; COMPUTE_PGM_RSRC2:SCRATCH_EN: 0
; COMPUTE_PGM_RSRC2:USER_SGPR: 6
; COMPUTE_PGM_RSRC2:TRAP_HANDLER: 0
; COMPUTE_PGM_RSRC2:TGID_X_EN: 1
; COMPUTE_PGM_RSRC2:TGID_Y_EN: 0
; COMPUTE_PGM_RSRC2:TGID_Z_EN: 1
; COMPUTE_PGM_RSRC2:TIDIG_COMP_CNT: 0
; COMPUTE_PGM_RSRC3_GFX90A:ACCUM_OFFSET: 19
; COMPUTE_PGM_RSRC3_GFX90A:TG_SPLIT: 0
	.section	.text._ZL31rocblas_trsm_small_right_deviceIffPKfPfLi20EEv13rocblas_fill_18rocblas_operation_17rocblas_diagonal_iiT0_T1_lilT2_lili,"axG",@progbits,_ZL31rocblas_trsm_small_right_deviceIffPKfPfLi20EEv13rocblas_fill_18rocblas_operation_17rocblas_diagonal_iiT0_T1_lilT2_lili,comdat
	.globl	_ZL31rocblas_trsm_small_right_deviceIffPKfPfLi20EEv13rocblas_fill_18rocblas_operation_17rocblas_diagonal_iiT0_T1_lilT2_lili ; -- Begin function _ZL31rocblas_trsm_small_right_deviceIffPKfPfLi20EEv13rocblas_fill_18rocblas_operation_17rocblas_diagonal_iiT0_T1_lilT2_lili
	.p2align	8
	.type	_ZL31rocblas_trsm_small_right_deviceIffPKfPfLi20EEv13rocblas_fill_18rocblas_operation_17rocblas_diagonal_iiT0_T1_lilT2_lili,@function
_ZL31rocblas_trsm_small_right_deviceIffPKfPfLi20EEv13rocblas_fill_18rocblas_operation_17rocblas_diagonal_iiT0_T1_lilT2_lili: ; @_ZL31rocblas_trsm_small_right_deviceIffPKfPfLi20EEv13rocblas_fill_18rocblas_operation_17rocblas_diagonal_iiT0_T1_lilT2_lili
; %bb.0:
	s_load_dwordx4 s[8:11], s[4:5], 0x0
	s_load_dwordx2 s[18:19], s[4:5], 0x10
	s_load_dwordx4 s[0:3], s[4:5], 0x30
	s_load_dwordx2 s[16:17], s[4:5], 0x40
	s_mov_b32 s27, 0
	s_waitcnt lgkmcnt(0)
	s_min_i32 s26, s18, 20
	v_cmp_gt_i32_e32 vcc, s26, v0
	s_and_saveexec_b64 s[20:21], vcc
	s_cbranch_execz .LBB25_14
; %bb.1:
	s_load_dword s22, s[4:5], 0x28
	s_load_dwordx4 s[12:15], s[4:5], 0x18
	s_cmp_gt_u32 s26, 1
	s_cselect_b64 s[24:25], -1, 0
	s_mov_b32 s23, 1
	s_waitcnt lgkmcnt(0)
	s_cmp_eq_u32 s22, 1
	s_cselect_b64 s[28:29], -1, 0
	s_and_b64 s[28:29], s[24:25], s[28:29]
	s_mov_b64 s[24:25], -1
	s_and_b64 vcc, exec, s[28:29]
	s_cbranch_vccz .LBB25_9
; %bb.2:
	s_add_i32 s24, s26, -2
	s_lshr_b32 s25, s24, 1
	s_add_i32 s25, s25, 1
	s_cmp_lt_u32 s24, 14
	s_mov_b32 s24, s27
	s_cbranch_scc1 .LBB25_5
; %bb.3:
	s_mul_i32 s23, s1, s7
	s_mul_hi_u32 s24, s0, s7
	s_add_i32 s31, s24, s23
	s_mul_i32 s30, s0, s7
	s_and_b32 s28, s25, -8
	s_lshl_b64 s[30:31], s[30:31], 2
	s_lshl_b64 s[34:35], s[14:15], 2
	s_add_u32 s23, s30, s34
	s_addc_u32 s24, s31, s35
	s_add_u32 s23, s12, s23
	v_lshlrev_b32_e32 v1, 2, v0
	s_addc_u32 s24, s13, s24
	v_mov_b32_e32 v2, s24
	v_add_co_u32_e32 v1, vcc, s23, v1
	v_addc_co_u32_e32 v3, vcc, 0, v2, vcc
	v_add_co_u32_e32 v2, vcc, 56, v1
	v_addc_co_u32_e32 v3, vcc, 0, v3, vcc
	s_mov_b32 s23, 1
	s_mov_b32 s24, 0
.LBB25_4:                               ; =>This Inner Loop Header: Depth=1
	global_load_dwordx4 v[4:7], v[2:3], off offset:-56
	global_load_dwordx4 v[8:11], v[2:3], off offset:-40
	;; [unrolled: 1-line block ×4, first 2 shown]
	s_mul_i32 s29, s23, 20
	s_mul_i32 s30, s27, 20
	s_add_i32 s24, s24, 16
	s_add_i32 s23, s23, 16
	;; [unrolled: 1-line block ×3, first 2 shown]
	s_add_i32 s28, s28, -8
	v_add_co_u32_e32 v2, vcc, 64, v2
	v_add_lshl_u32 v1, s30, v0, 2
	v_add_lshl_u32 v20, s29, v0, 2
	s_add_i32 s31, s29, 40
	s_add_i32 s33, s30, 40
	;; [unrolled: 1-line block ×12, first 2 shown]
	s_addk_i32 s29, 0x118
	s_addk_i32 s30, 0x118
	v_addc_co_u32_e32 v3, vcc, 0, v3, vcc
	s_cmp_lg_u32 s28, 0
	v_add_lshl_u32 v21, s33, v0, 2
	v_add_lshl_u32 v22, s31, v0, 2
	;; [unrolled: 1-line block ×14, first 2 shown]
	s_waitcnt vmcnt(3)
	ds_write_b32 v1, v4
	ds_write_b32 v20, v5
	ds_write_b32 v21, v6
	ds_write_b32 v22, v7
	s_waitcnt vmcnt(2)
	ds_write_b32 v23, v8
	ds_write_b32 v24, v9
	ds_write_b32 v25, v10
	ds_write_b32 v26, v11
	;; [unrolled: 5-line block ×4, first 2 shown]
	s_cbranch_scc1 .LBB25_4
.LBB25_5:
	s_and_b32 s28, s25, 7
	s_cmp_eq_u32 s28, 0
	s_mov_b32 s25, 0
	s_cbranch_scc1 .LBB25_8
; %bb.6:
	s_mul_i32 s29, s1, s7
	s_mul_hi_u32 s30, s0, s7
	s_add_i32 s31, s30, s29
	s_mul_i32 s30, s0, s7
	s_lshl_b64 s[30:31], s[30:31], 2
	s_lshl_b64 s[34:35], s[14:15], 2
	s_add_u32 s29, s30, s34
	s_addc_u32 s30, s31, s35
	s_lshl_b64 s[24:25], s[24:25], 2
	s_add_u32 s24, s12, s24
	s_addc_u32 s25, s13, s25
	s_add_u32 s24, s24, s29
	v_lshlrev_b32_e32 v1, 2, v0
	s_addc_u32 s25, s25, s30
	v_mov_b32_e32 v3, s25
	v_add_co_u32_e32 v2, vcc, s24, v1
	v_addc_co_u32_e32 v3, vcc, 0, v3, vcc
	s_lshl_b32 s24, s28, 3
.LBB25_7:                               ; =>This Inner Loop Header: Depth=1
	global_load_dwordx2 v[4:5], v[2:3], off
	s_mul_i32 s25, s23, 20
	s_mul_i32 s28, s27, 20
	s_add_i32 s23, s23, 2
	s_add_i32 s27, s27, 2
	v_add_co_u32_e32 v2, vcc, 8, v2
	s_add_i32 s24, s24, -8
	v_addc_co_u32_e32 v3, vcc, 0, v3, vcc
	v_add_lshl_u32 v1, s28, v0, 2
	s_cmp_lg_u32 s24, 0
	v_add_lshl_u32 v6, s25, v0, 2
	s_waitcnt vmcnt(0)
	ds_write_b32 v1, v4
	ds_write_b32 v6, v5
	s_cbranch_scc1 .LBB25_7
.LBB25_8:
	s_and_b32 s27, s26, -2
	s_cmp_lg_u32 s26, s27
	s_cselect_b64 s[24:25], -1, 0
.LBB25_9:
	s_and_b64 vcc, exec, s[24:25]
	s_cbranch_vccz .LBB25_12
; %bb.10:
	s_ashr_i32 s23, s22, 31
	s_mul_i32 s1, s1, s7
	s_mul_hi_u32 s24, s0, s7
	s_add_i32 s1, s24, s1
	s_mul_hi_u32 s24, s22, s27
	s_mul_i32 s25, s23, s27
	s_mul_i32 s0, s0, s7
	s_add_i32 s25, s24, s25
	s_mul_i32 s24, s22, s27
	s_lshl_b64 s[0:1], s[0:1], 2
	s_lshl_b64 s[24:25], s[24:25], 2
	s_add_u32 s24, s0, s24
	s_addc_u32 s25, s1, s25
	s_lshl_b64 s[0:1], s[14:15], 2
	s_add_u32 s0, s24, s0
	s_addc_u32 s1, s25, s1
	s_add_u32 s0, s12, s0
	v_lshlrev_b32_e32 v1, 2, v0
	s_addc_u32 s1, s13, s1
	v_mov_b32_e32 v3, s1
	v_add_co_u32_e32 v2, vcc, s0, v1
	s_lshl_b64 s[0:1], s[22:23], 2
	s_mul_i32 s13, s27, 0x50
	v_addc_co_u32_e32 v3, vcc, 0, v3, vcc
	s_sub_i32 s12, s26, s27
	v_lshl_add_u32 v1, v0, 2, s13
	v_mov_b32_e32 v4, s1
.LBB25_11:                              ; =>This Inner Loop Header: Depth=1
	global_load_dword v5, v[2:3], off
	v_add_co_u32_e32 v2, vcc, s0, v2
	s_add_i32 s12, s12, -1
	v_addc_co_u32_e32 v3, vcc, v3, v4, vcc
	s_cmp_eq_u32 s12, 0
	s_waitcnt vmcnt(0)
	ds_write_b32 v1, v5
	v_add_u32_e32 v1, 0x50, v1
	s_cbranch_scc0 .LBB25_11
.LBB25_12:
	s_cmpk_eq_i32 s10, 0x84
	s_cbranch_scc0 .LBB25_14
; %bb.13:
	v_mul_u32_u24_e32 v1, 21, v0
	v_lshlrev_b32_e32 v1, 2, v1
	v_mov_b32_e32 v2, 1.0
	ds_write_b32 v1, v2
.LBB25_14:
	s_or_b64 exec, exec, s[20:21]
	s_load_dword s1, s[4:5], 0x60
	s_load_dword s0, s[4:5], 0x48
	s_load_dwordx2 s[12:13], s[4:5], 0x50
	s_mul_i32 s4, s6, 0xffffffec
	s_add_i32 s4, s4, s11
	s_waitcnt lgkmcnt(0)
	s_add_i32 s1, s1, -1
	s_cmp_ge_u32 s6, s1
	s_cselect_b32 s1, s4, 20
	s_cmp_gt_i32 s18, 0
	v_cmp_gt_i32_e32 vcc, s1, v0
	s_cselect_b64 s[4:5], -1, 0
	s_mul_hi_i32 s22, s6, 0x50
	s_mulk_i32 s6, 0x50
	s_mov_b32 s21, 0
	s_and_b64 s[4:5], vcc, s[4:5]
	s_and_saveexec_b64 s[10:11], s[4:5]
	s_cbranch_execz .LBB25_26
; %bb.15:
	s_cmp_lt_u32 s18, 2
	s_cselect_b64 s[24:25], -1, 0
	s_cmp_lg_u32 s0, 1
	s_cselect_b64 s[28:29], -1, 0
	s_or_b64 s[24:25], s[24:25], s[28:29]
	s_mov_b32 s1, 1
	s_mov_b64 s[14:15], -1
	s_and_b64 vcc, exec, s[24:25]
	s_cbranch_vccnz .LBB25_23
; %bb.16:
	s_add_i32 s20, s18, -2
	s_lshr_b32 s21, s20, 1
	s_add_i32 s21, s21, 1
	s_mov_b32 s23, 0
	s_mov_b32 s14, s19
	;; [unrolled: 1-line block ×3, first 2 shown]
	s_cmp_lt_u32 s20, 14
	s_mov_b32 s20, s23
	s_cbranch_scc1 .LBB25_19
; %bb.17:
	s_mul_i32 s1, s13, s7
	s_mul_hi_u32 s20, s12, s7
	s_add_i32 s29, s20, s1
	s_mul_i32 s28, s12, s7
	s_and_b32 s24, s21, -8
	s_lshl_b64 s[28:29], s[28:29], 2
	s_add_u32 s1, s28, s6
	s_addc_u32 s20, s29, s22
	s_lshl_b64 s[28:29], s[16:17], 2
	s_add_u32 s1, s1, s28
	s_addc_u32 s20, s20, s29
	s_add_u32 s1, s2, s1
	v_lshlrev_b32_e32 v1, 2, v0
	s_addc_u32 s20, s3, s20
	v_mov_b32_e32 v2, s20
	v_add_co_u32_e32 v1, vcc, s1, v1
	v_addc_co_u32_e32 v3, vcc, 0, v2, vcc
	v_add_co_u32_e32 v2, vcc, 56, v1
	v_addc_co_u32_e32 v3, vcc, 0, v3, vcc
	s_mov_b32 s1, 1
	s_mov_b32 s20, 0
.LBB25_18:                              ; =>This Inner Loop Header: Depth=1
	global_load_dwordx4 v[4:7], v[2:3], off offset:-56
	global_load_dwordx4 v[8:11], v[2:3], off offset:-40
	;; [unrolled: 1-line block ×4, first 2 shown]
	s_mul_i32 s25, s1, 20
	s_mul_i32 s27, s23, 20
	s_add_i32 s20, s20, 16
	s_add_i32 s1, s1, 16
	;; [unrolled: 1-line block ×3, first 2 shown]
	s_add_i32 s24, s24, -8
	v_add_co_u32_e32 v2, vcc, 64, v2
	v_add_lshl_u32 v1, s27, v0, 2
	v_add_lshl_u32 v20, s25, v0, 2
	s_add_i32 s28, s25, 40
	s_add_i32 s29, s27, 40
	;; [unrolled: 1-line block ×12, first 2 shown]
	s_addk_i32 s25, 0x118
	s_addk_i32 s27, 0x118
	v_addc_co_u32_e32 v3, vcc, 0, v3, vcc
	s_cmp_lg_u32 s24, 0
	v_add_lshl_u32 v21, s29, v0, 2
	v_add_lshl_u32 v22, s28, v0, 2
	;; [unrolled: 1-line block ×14, first 2 shown]
	s_waitcnt vmcnt(3)
	v_pk_mul_f32 v[4:5], v[4:5], s[14:15]
	v_pk_mul_f32 v[6:7], v[6:7], s[14:15]
	s_waitcnt vmcnt(2)
	v_pk_mul_f32 v[8:9], v[8:9], s[14:15]
	v_pk_mul_f32 v[10:11], v[10:11], s[14:15]
	;; [unrolled: 3-line block ×4, first 2 shown]
	ds_write_b32 v1, v4 offset:1600
	ds_write_b32 v20, v5 offset:1600
	ds_write_b32 v21, v6 offset:1600
	ds_write_b32 v22, v7 offset:1600
	ds_write_b32 v23, v8 offset:1600
	ds_write_b32 v24, v9 offset:1600
	ds_write_b32 v25, v10 offset:1600
	ds_write_b32 v26, v11 offset:1600
	ds_write_b32 v27, v12 offset:1600
	ds_write_b32 v28, v13 offset:1600
	ds_write_b32 v29, v14 offset:1600
	ds_write_b32 v30, v15 offset:1600
	ds_write_b32 v31, v16 offset:1600
	ds_write_b32 v32, v17 offset:1600
	ds_write_b32 v33, v18 offset:1600
	ds_write_b32 v34, v19 offset:1600
	s_cbranch_scc1 .LBB25_18
.LBB25_19:
	s_and_b32 s24, s21, 7
	s_cmp_eq_u32 s24, 0
	s_mov_b32 s21, 0
	s_cbranch_scc1 .LBB25_22
; %bb.20:
	s_mul_i32 s25, s13, s7
	s_mul_hi_u32 s27, s12, s7
	s_add_i32 s29, s27, s25
	s_mul_i32 s28, s12, s7
	s_lshl_b64 s[28:29], s[28:29], 2
	s_add_u32 s25, s28, s6
	s_addc_u32 s27, s29, s22
	s_lshl_b64 s[28:29], s[16:17], 2
	s_add_u32 s25, s25, s28
	s_addc_u32 s27, s27, s29
	;; [unrolled: 3-line block ×3, first 2 shown]
	s_add_u32 s20, s20, s25
	v_lshlrev_b32_e32 v1, 2, v0
	s_addc_u32 s21, s21, s27
	v_mov_b32_e32 v3, s21
	v_add_co_u32_e32 v2, vcc, s20, v1
	v_addc_co_u32_e32 v3, vcc, 0, v3, vcc
.LBB25_21:                              ; =>This Inner Loop Header: Depth=1
	global_load_dwordx2 v[4:5], v[2:3], off
	s_mul_i32 s20, s1, 20
	s_mul_i32 s21, s23, 20
	s_add_i32 s1, s1, 2
	s_add_i32 s23, s23, 2
	v_add_co_u32_e32 v2, vcc, 8, v2
	s_add_i32 s24, s24, -1
	v_addc_co_u32_e32 v3, vcc, 0, v3, vcc
	v_add_lshl_u32 v1, s21, v0, 2
	s_cmp_lg_u32 s24, 0
	v_add_lshl_u32 v6, s20, v0, 2
	s_waitcnt vmcnt(0)
	v_pk_mul_f32 v[4:5], v[4:5], s[14:15]
	ds_write_b32 v1, v4 offset:1600
	ds_write_b32 v6, v5 offset:1600
	s_cbranch_scc1 .LBB25_21
.LBB25_22:
	s_and_b32 s21, s18, 0x7ffffffe
	s_cmp_lg_u32 s21, s18
	s_cselect_b64 s[14:15], -1, 0
.LBB25_23:
	s_and_b64 vcc, exec, s[14:15]
	s_cbranch_vccz .LBB25_26
; %bb.24:
	s_mul_i32 s14, s21, 0x50
	v_lshl_add_u32 v1, v0, 2, s14
	s_mul_i32 s14, s13, s7
	s_mul_hi_u32 s15, s12, s7
	s_add_i32 s15, s15, s14
	s_mul_i32 s14, s12, s7
	s_mul_hi_i32 s25, s0, s21
	s_mul_i32 s24, s0, s21
	s_ashr_i32 s1, s0, 31
	s_sub_i32 s20, s18, s21
	s_lshl_b64 s[14:15], s[14:15], 2
	s_lshl_b64 s[24:25], s[24:25], 2
	s_add_u32 s14, s14, s24
	s_addc_u32 s15, s15, s25
	s_add_u32 s21, s14, s6
	s_addc_u32 s23, s15, s22
	s_lshl_b64 s[14:15], s[16:17], 2
	s_add_u32 s14, s21, s14
	s_addc_u32 s15, s23, s15
	s_add_u32 s14, s2, s14
	v_lshlrev_b32_e32 v2, 2, v0
	s_addc_u32 s15, s3, s15
	v_mov_b32_e32 v3, s15
	v_add_co_u32_e32 v2, vcc, s14, v2
	s_lshl_b64 s[14:15], s[0:1], 2
	v_add_u32_e32 v1, 0x640, v1
	v_addc_co_u32_e32 v3, vcc, 0, v3, vcc
	v_mov_b32_e32 v4, s15
.LBB25_25:                              ; =>This Inner Loop Header: Depth=1
	global_load_dword v5, v[2:3], off
	s_add_i32 s20, s20, -1
	v_add_co_u32_e32 v2, vcc, s14, v2
	v_addc_co_u32_e32 v3, vcc, v3, v4, vcc
	s_cmp_lg_u32 s20, 0
	s_waitcnt vmcnt(0)
	v_mul_f32_e32 v5, s19, v5
	ds_write_b32 v1, v5
	v_add_u32_e32 v1, 0x50, v1
	s_cbranch_scc1 .LBB25_25
.LBB25_26:
	s_or_b64 exec, exec, s[10:11]
	s_cmpk_eq_i32 s9, 0x6f
	s_cselect_b64 s[14:15], -1, 0
	s_cmpk_eq_i32 s8, 0x79
	s_cselect_b64 s[20:21], -1, 0
	s_cmpk_lg_i32 s8, 0x79
	s_cselect_b64 s[10:11], -1, 0
	s_and_b64 s[20:21], s[20:21], s[14:15]
	s_andn2_b64 vcc, exec, s[20:21]
	s_mov_b64 s[20:21], -1
	s_waitcnt lgkmcnt(0)
	; wave barrier
	s_waitcnt lgkmcnt(0)
	s_cbranch_vccz .LBB25_101
; %bb.27:
	s_cmpk_lg_i32 s8, 0x7a
	s_cselect_b64 s[8:9], -1, 0
	s_xor_b64 s[14:15], s[14:15], -1
	s_add_i32 s1, s26, -1
	s_or_b64 s[14:15], s[8:9], s[14:15]
	s_cmp_gt_i32 s18, 3
	s_cselect_b64 s[8:9], -1, 0
	s_and_b64 vcc, exec, s[14:15]
	s_cbranch_vccz .LBB25_80
; %bb.28:
	s_andn2_b64 vcc, exec, s[10:11]
	s_mov_b64 s[10:11], -1
	s_cbranch_vccnz .LBB25_53
; %bb.29:
	s_andn2_b64 vcc, exec, s[8:9]
	s_mov_b32 s19, 0
	s_cbranch_vccnz .LBB25_41
; %bb.30:
	v_mov_b32_e32 v1, 0x640
	v_lshl_add_u32 v1, v0, 2, v1
	s_mov_b32 s14, 0
	s_mov_b32 s15, 0
	s_mov_b64 s[10:11], 0
.LBB25_31:                              ; =>This Loop Header: Depth=1
                                        ;     Child Loop BB25_34 Depth 2
                                        ;     Child Loop BB25_38 Depth 2
	s_mul_i32 s20, s15, 20
	v_add_lshl_u32 v6, s20, v0, 2
	s_add_i32 s19, s20, 20
	s_add_i32 s20, s20, 40
	v_add_lshl_u32 v8, s20, v0, 2
	v_add_u32_e32 v2, 0x400, v8
	v_add_lshl_u32 v7, s19, v0, 2
	ds_read_b32 v4, v6 offset:1600
	ds_read_b32 v5, v7 offset:1600
	ds_read2_b32 v[2:3], v2 offset0:144 offset1:164
	s_cmp_eq_u32 s15, 0
	s_cbranch_scc1 .LBB25_39
; %bb.32:                               ;   in Loop: Header=BB25_31 Depth=1
	s_cmp_lt_u32 s15, 8
	s_cbranch_scc1 .LBB25_36
; %bb.33:                               ;   in Loop: Header=BB25_31 Depth=1
	s_and_b32 s20, s15, -8
	s_mov_b32 s21, 0
	v_mov_b32_e32 v9, v1
	s_mov_b32 s23, s14
.LBB25_34:                              ;   Parent Loop BB25_31 Depth=1
                                        ; =>  This Inner Loop Header: Depth=2
	ds_read2_b32 v[42:43], v9 offset1:20
	v_mov_b32_e32 v38, s23
	ds_read2_b32 v[44:45], v9 offset0:40 offset1:60
	ds_read2_b32 v[46:47], v9 offset0:80 offset1:100
	;; [unrolled: 1-line block ×3, first 2 shown]
	ds_read_b128 v[10:13], v38
	ds_read_b128 v[14:17], v38 offset:80
	ds_read_b128 v[18:21], v38 offset:160
	;; [unrolled: 1-line block ×7, first 2 shown]
	s_add_i32 s21, s21, 8
	s_waitcnt lgkmcnt(11)
	v_mov_b32_e32 v50, v43
	s_waitcnt lgkmcnt(7)
	v_pk_fma_f32 v[4:5], v[42:43], v[10:11], v[4:5] op_sel_hi:[0,1,1] neg_lo:[1,0,0] neg_hi:[1,0,0]
	v_pk_fma_f32 v[2:3], v[42:43], v[12:13], v[2:3] op_sel_hi:[0,1,1] neg_lo:[1,0,0] neg_hi:[1,0,0]
	s_waitcnt lgkmcnt(6)
	v_pk_fma_f32 v[4:5], v[50:51], v[14:15], v[4:5] op_sel_hi:[0,1,1] neg_lo:[1,0,0] neg_hi:[1,0,0]
	v_pk_fma_f32 v[2:3], v[50:51], v[16:17], v[2:3] op_sel_hi:[0,1,1] neg_lo:[1,0,0] neg_hi:[1,0,0]
	v_mov_b32_e32 v52, v45
	s_waitcnt lgkmcnt(5)
	v_pk_fma_f32 v[4:5], v[44:45], v[18:19], v[4:5] op_sel_hi:[0,1,1] neg_lo:[1,0,0] neg_hi:[1,0,0]
	v_pk_fma_f32 v[2:3], v[44:45], v[20:21], v[2:3] op_sel_hi:[0,1,1] neg_lo:[1,0,0] neg_hi:[1,0,0]
	s_waitcnt lgkmcnt(4)
	v_pk_fma_f32 v[4:5], v[52:53], v[22:23], v[4:5] op_sel_hi:[0,1,1] neg_lo:[1,0,0] neg_hi:[1,0,0]
	v_pk_fma_f32 v[2:3], v[52:53], v[24:25], v[2:3] op_sel_hi:[0,1,1] neg_lo:[1,0,0] neg_hi:[1,0,0]
	;; [unrolled: 7-line block ×3, first 2 shown]
	s_addk_i32 s23, 0x280
	v_mov_b32_e32 v56, v49
	s_waitcnt lgkmcnt(1)
	v_pk_fma_f32 v[4:5], v[48:49], v[34:35], v[4:5] op_sel_hi:[0,1,1] neg_lo:[1,0,0] neg_hi:[1,0,0]
	v_pk_fma_f32 v[2:3], v[48:49], v[36:37], v[2:3] op_sel_hi:[0,1,1] neg_lo:[1,0,0] neg_hi:[1,0,0]
	v_add_u32_e32 v9, 0x280, v9
	s_cmp_eq_u32 s20, s21
	s_waitcnt lgkmcnt(0)
	v_pk_fma_f32 v[4:5], v[56:57], v[38:39], v[4:5] op_sel_hi:[0,1,1] neg_lo:[1,0,0] neg_hi:[1,0,0]
	v_pk_fma_f32 v[2:3], v[56:57], v[40:41], v[2:3] op_sel_hi:[0,1,1] neg_lo:[1,0,0] neg_hi:[1,0,0]
	s_cbranch_scc0 .LBB25_34
; %bb.35:                               ;   in Loop: Header=BB25_31 Depth=1
	s_bitcmp0_b32 s15, 2
	s_cbranch_scc0 .LBB25_37
	s_branch .LBB25_39
.LBB25_36:                              ;   in Loop: Header=BB25_31 Depth=1
	s_mov_b32 s20, 0
	s_bitcmp0_b32 s15, 2
	s_cbranch_scc1 .LBB25_39
.LBB25_37:                              ;   in Loop: Header=BB25_31 Depth=1
	v_cndmask_b32_e64 v9, 0, 1, s[10:11]
	v_readfirstlane_b32 s21, v9
	s_lshl_b32 s21, s21, 2
	s_mulk_i32 s20, 0x50
.LBB25_38:                              ;   Parent Loop BB25_31 Depth=1
                                        ; =>  This Inner Loop Header: Depth=2
	v_add_u32_e32 v9, s20, v1
	s_add_i32 s23, s14, s20
	ds_read_b32 v14, v9
	v_mov_b32_e32 v9, s23
	ds_read_b128 v[10:13], v9
	s_addk_i32 s20, 0x50
	s_add_i32 s21, s21, -1
	s_cmp_lg_u32 s21, 0
	s_waitcnt lgkmcnt(0)
	v_pk_fma_f32 v[4:5], v[14:15], v[10:11], v[4:5] op_sel_hi:[0,1,1] neg_lo:[1,0,0] neg_hi:[1,0,0]
	v_pk_fma_f32 v[2:3], v[14:15], v[12:13], v[2:3] op_sel_hi:[0,1,1] neg_lo:[1,0,0] neg_hi:[1,0,0]
	s_cbranch_scc1 .LBB25_38
.LBB25_39:                              ;   in Loop: Header=BB25_31 Depth=1
	s_mul_i32 s20, s15, 0x54
	v_add_u32_e32 v9, 0x640, v6
	v_add_u32_e32 v6, 0x640, v8
	v_mov_b32_e32 v8, s20
	ds_read_b128 v[10:13], v8
	ds_read2_b32 v[14:15], v8 offset0:21 offset1:22
	s_add_i32 s19, s19, s15
	s_lshl_b32 s19, s19, 2
	v_add_u32_e32 v7, 0x640, v7
	s_waitcnt lgkmcnt(1)
	v_div_scale_f32 v16, s[20:21], v10, v10, v4
	v_rcp_f32_e32 v17, v16
	v_div_scale_f32 v18, vcc, v4, v10, v4
	s_add_i32 s14, s14, 16
	v_fma_f32 v19, -v16, v17, 1.0
	v_fmac_f32_e32 v17, v19, v17
	v_mul_f32_e32 v19, v18, v17
	v_fma_f32 v20, -v16, v19, v18
	v_fmac_f32_e32 v19, v20, v17
	v_fma_f32 v16, -v16, v19, v18
	v_div_fmas_f32 v16, v16, v17, v19
	v_div_fixup_f32 v10, v16, v10, v4
	v_fma_f32 v4, -v10, v11, v5
	s_waitcnt lgkmcnt(0)
	v_div_scale_f32 v5, s[20:21], v14, v14, v4
	v_rcp_f32_e32 v11, v5
	v_fma_f32 v2, -v10, v12, v2
	v_div_scale_f32 v12, vcc, v4, v14, v4
	v_fma_f32 v16, -v5, v11, 1.0
	v_fmac_f32_e32 v11, v16, v11
	v_mul_f32_e32 v16, v12, v11
	v_fma_f32 v17, -v5, v16, v12
	v_fmac_f32_e32 v16, v17, v11
	v_fma_f32 v5, -v5, v16, v12
	v_div_fmas_f32 v5, v5, v11, v16
	v_div_fixup_f32 v11, v5, v14, v4
	ds_read_b64 v[4:5], v8 offset:168
	v_fma_f32 v2, -v11, v15, v2
	v_mov_b32_e32 v15, s19
	ds_read_b32 v15, v15 offset:12
	ds_read_b32 v8, v8 offset:252
	s_waitcnt lgkmcnt(2)
	v_div_scale_f32 v12, s[20:21], v4, v4, v2
	v_rcp_f32_e32 v14, v12
	v_fma_f32 v3, -v10, v13, v3
	s_waitcnt lgkmcnt(1)
	v_fma_f32 v3, -v11, v15, v3
	ds_write_b32 v9, v10
	ds_write_b32 v7, v11
	v_fma_f32 v16, -v12, v14, 1.0
	v_fmac_f32_e32 v14, v16, v14
	v_div_scale_f32 v16, vcc, v2, v4, v2
	v_mul_f32_e32 v17, v16, v14
	v_fma_f32 v18, -v12, v17, v16
	v_fmac_f32_e32 v17, v18, v14
	v_fma_f32 v12, -v12, v17, v16
	v_div_fmas_f32 v12, v12, v14, v17
	v_div_fixup_f32 v2, v12, v4, v2
	v_fma_f32 v3, -v2, v5, v3
	s_waitcnt lgkmcnt(2)
	v_div_scale_f32 v4, s[20:21], v8, v8, v3
	v_rcp_f32_e32 v5, v4
	s_add_i32 s19, s15, 4
	s_add_i32 s15, s15, 7
	s_not_b64 s[10:11], s[10:11]
	v_fma_f32 v7, -v4, v5, 1.0
	v_fmac_f32_e32 v5, v7, v5
	v_div_scale_f32 v7, vcc, v3, v8, v3
	v_mul_f32_e32 v9, v7, v5
	v_fma_f32 v10, -v4, v9, v7
	v_fmac_f32_e32 v9, v10, v5
	v_fma_f32 v4, -v4, v9, v7
	v_div_fmas_f32 v4, v4, v5, v9
	v_div_fixup_f32 v3, v4, v8, v3
	s_cmp_ge_i32 s15, s26
	ds_write2_b32 v6, v2, v3 offset1:20
	s_cbranch_scc1 .LBB25_41
; %bb.40:                               ;   in Loop: Header=BB25_31 Depth=1
	s_mov_b32 s15, s19
	s_branch .LBB25_31
.LBB25_41:
	s_cmp_ge_i32 s19, s26
	s_cbranch_scc1 .LBB25_52
; %bb.42:
	v_mov_b32_e32 v1, 0x640
	s_add_i32 s10, s19, -1
	s_lshl_b32 s11, s19, 2
	v_lshl_add_u32 v1, v0, 2, v1
	s_mov_b32 s14, 0
	s_mov_b32 s15, s19
	s_branch .LBB25_44
.LBB25_43:                              ;   in Loop: Header=BB25_44 Depth=1
	s_mul_i32 s20, s19, 0x54
	v_mov_b32_e32 v4, s20
	ds_read_b32 v4, v4
	v_add_u32_e32 v3, 0x640, v3
	s_add_i32 s19, s19, 1
	s_add_i32 s14, s14, 1
	;; [unrolled: 1-line block ×3, first 2 shown]
	s_waitcnt lgkmcnt(0)
	v_div_scale_f32 v5, s[20:21], v4, v4, v2
	v_rcp_f32_e32 v6, v5
	v_div_scale_f32 v7, vcc, v2, v4, v2
	s_cmp_ge_i32 s19, s26
	v_fma_f32 v8, -v5, v6, 1.0
	v_fmac_f32_e32 v6, v8, v6
	v_mul_f32_e32 v8, v7, v6
	v_fma_f32 v9, -v5, v8, v7
	v_fmac_f32_e32 v8, v9, v6
	v_fma_f32 v5, -v5, v8, v7
	v_div_fmas_f32 v5, v5, v6, v8
	v_div_fixup_f32 v2, v5, v4, v2
	ds_write_b32 v3, v2
	v_add_u16_e64 v2, s15, 1
	v_readfirstlane_b32 s15, v2
	s_cbranch_scc1 .LBB25_52
.LBB25_44:                              ; =>This Loop Header: Depth=1
                                        ;     Child Loop BB25_47 Depth 2
                                        ;     Child Loop BB25_51 Depth 2
	s_mul_i32 s20, s19, 20
	v_add_lshl_u32 v3, s20, v0, 2
	ds_read_b32 v2, v3 offset:1600
	s_cmp_eq_u32 s19, 0
	s_cbranch_scc1 .LBB25_43
; %bb.45:                               ;   in Loop: Header=BB25_44 Depth=1
	s_add_i32 s20, s10, s14
	s_cmp_lt_u32 s20, 7
	s_cbranch_scc1 .LBB25_49
; %bb.46:                               ;   in Loop: Header=BB25_44 Depth=1
	s_and_b32 s20, s19, -8
	s_mov_b32 s21, 0
	v_mov_b32_e32 v4, v1
	s_mov_b32 s23, s11
.LBB25_47:                              ;   Parent Loop BB25_44 Depth=1
                                        ; =>  This Inner Loop Header: Depth=2
	ds_read2_b32 v[6:7], v4 offset1:20
	v_mov_b32_e32 v5, s23
	ds_read2_b32 v[8:9], v4 offset0:40 offset1:60
	ds_read2_b32 v[10:11], v4 offset0:80 offset1:100
	ds_read2_b32 v[12:13], v4 offset0:120 offset1:140
	ds_read2_b32 v[14:15], v5 offset1:20
	ds_read2_b32 v[16:17], v5 offset0:40 offset1:60
	ds_read2_b32 v[18:19], v5 offset0:80 offset1:100
	;; [unrolled: 1-line block ×3, first 2 shown]
	s_add_i32 s21, s21, 8
	s_waitcnt lgkmcnt(3)
	v_fma_f32 v2, -v6, v14, v2
	v_fma_f32 v2, -v7, v15, v2
	s_waitcnt lgkmcnt(2)
	v_fma_f32 v2, -v8, v16, v2
	v_fma_f32 v2, -v9, v17, v2
	s_waitcnt lgkmcnt(1)
	v_fma_f32 v2, -v10, v18, v2
	v_fma_f32 v2, -v11, v19, v2
	s_addk_i32 s23, 0x280
	s_waitcnt lgkmcnt(0)
	v_fma_f32 v2, -v12, v20, v2
	v_add_u32_e32 v4, 0x280, v4
	s_cmp_eq_u32 s20, s21
	v_fma_f32 v2, -v13, v21, v2
	s_cbranch_scc0 .LBB25_47
; %bb.48:                               ;   in Loop: Header=BB25_44 Depth=1
	s_and_b32 s21, s19, 7
	s_cmp_eq_u32 s21, 0
	s_cbranch_scc0 .LBB25_50
	s_branch .LBB25_43
.LBB25_49:                              ;   in Loop: Header=BB25_44 Depth=1
	s_mov_b32 s20, 0
	s_and_b32 s21, s19, 7
	s_cmp_eq_u32 s21, 0
	s_cbranch_scc1 .LBB25_43
.LBB25_50:                              ;   in Loop: Header=BB25_44 Depth=1
	s_and_b32 s21, s15, 7
	s_mulk_i32 s20, 0x50
.LBB25_51:                              ;   Parent Loop BB25_44 Depth=1
                                        ; =>  This Inner Loop Header: Depth=2
	s_add_i32 s23, s11, s20
	v_add_u32_e32 v4, s20, v1
	v_mov_b32_e32 v5, s23
	ds_read_b32 v4, v4
	ds_read_b32 v5, v5
	s_addk_i32 s20, 0x50
	s_add_i32 s21, s21, -1
	s_cmp_lg_u32 s21, 0
	s_waitcnt lgkmcnt(0)
	v_fma_f32 v2, -v4, v5, v2
	s_cbranch_scc1 .LBB25_51
	s_branch .LBB25_43
.LBB25_52:
	s_mov_b64 s[10:11], 0
.LBB25_53:
	s_and_b64 vcc, exec, s[10:11]
	s_cbranch_vccz .LBB25_79
; %bb.54:
	s_andn2_b64 vcc, exec, s[8:9]
	s_mov_b32 s21, s1
	s_cbranch_vccnz .LBB25_66
; %bb.55:
	s_mul_i32 s10, s26, 0x54
	s_add_i32 s14, s10, 0xffffffa0
	s_mul_i32 s10, s26, 0x50
	v_lshlrev_b32_e32 v2, 2, v0
	v_add_u32_e32 v1, s10, v2
	s_lshl_b32 s10, s26, 2
	v_add_u32_e32 v1, 0x5f0, v1
	v_add_u32_e32 v6, 0x410, v2
	s_add_i32 s15, s10, 0xfffffdc0
	s_mov_b32 s19, 0
	s_mov_b64 s[10:11], 0
	s_mov_b32 s20, s1
.LBB25_56:                              ; =>This Loop Header: Depth=1
                                        ;     Child Loop BB25_59 Depth 2
                                        ;     Child Loop BB25_63 Depth 2
	s_mul_i32 s24, s20, 20
	s_sub_i32 s21, s24, 40
	v_add_lshl_u32 v9, s21, v0, 2
	v_add_lshl_u32 v7, s24, v0, 2
	s_sub_i32 s23, s24, 20
	v_add_u32_e32 v2, 0x400, v9
	v_add_lshl_u32 v8, s23, v0, 2
	ds_read_b32 v5, v7 offset:1600
	ds_read_b32 v4, v8 offset:1600
	ds_read2_b32 v[2:3], v2 offset0:124 offset1:144
	s_cmp_le_i32 s1, s20
	s_cbranch_scc1 .LBB25_64
; %bb.57:                               ;   in Loop: Header=BB25_56 Depth=1
	s_lshl_b32 s27, s19, 2
	s_bitcmp0_b32 s27, 2
	s_cbranch_scc1 .LBB25_61
; %bb.58:                               ;   in Loop: Header=BB25_56 Depth=1
	v_cndmask_b32_e64 v10, 0, 1, s[10:11]
	v_readfirstlane_b32 s25, v10
	s_lshl_b32 s28, s25, 2
	v_mov_b32_e32 v10, v1
	s_mov_b32 s29, s14
	s_mov_b32 s25, s1
.LBB25_59:                              ;   Parent Loop BB25_56 Depth=1
                                        ; =>  This Inner Loop Header: Depth=2
	v_mov_b32_e32 v11, s29
	ds_read_b32 v12, v10
	ds_read2_b32 v[14:15], v11 offset0:2 offset1:3
	ds_read2_b32 v[16:17], v11 offset1:1
	s_add_i32 s25, s25, -1
	s_addk_i32 s29, 0xffb0
	s_add_i32 s28, s28, -1
	v_add_u32_e32 v10, 0xffffffb0, v10
	s_cmp_lg_u32 s28, 0
	s_waitcnt lgkmcnt(1)
	v_pk_fma_f32 v[4:5], v[12:13], v[14:15], v[4:5] op_sel_hi:[0,1,1] neg_lo:[1,0,0] neg_hi:[1,0,0]
	s_waitcnt lgkmcnt(0)
	v_pk_fma_f32 v[2:3], v[12:13], v[16:17], v[2:3] op_sel_hi:[0,1,1] neg_lo:[1,0,0] neg_hi:[1,0,0]
	s_cbranch_scc1 .LBB25_59
; %bb.60:                               ;   in Loop: Header=BB25_56 Depth=1
	s_add_i32 s27, s27, -1
	s_cmp_lt_u32 s27, 7
	s_cbranch_scc0 .LBB25_62
	s_branch .LBB25_64
.LBB25_61:                              ;   in Loop: Header=BB25_56 Depth=1
	s_mov_b32 s25, s1
	s_add_i32 s27, s27, -1
	s_cmp_lt_u32 s27, 7
	s_cbranch_scc1 .LBB25_64
.LBB25_62:                              ;   in Loop: Header=BB25_56 Depth=1
	s_mul_i32 s27, s25, 0x50
	v_add_u32_e32 v10, s27, v6
	s_add_i32 s27, s15, s27
.LBB25_63:                              ;   Parent Loop BB25_56 Depth=1
                                        ; =>  This Inner Loop Header: Depth=2
	ds_read2_b32 v[12:13], v10 offset0:120 offset1:140
	ds_read2_b32 v[14:15], v10 offset0:80 offset1:100
	;; [unrolled: 1-line block ×3, first 2 shown]
	ds_read2_b32 v[18:19], v10 offset1:20
	v_mov_b32_e32 v11, s27
	ds_read2_b32 v[20:21], v11 offset0:142 offset1:143
	ds_read2_b32 v[22:23], v11 offset0:140 offset1:141
	;; [unrolled: 1-line block ×15, first 2 shown]
	ds_read2_b32 v[50:51], v11 offset1:1
	s_waitcnt lgkmcnt(14)
	v_mov_b32_e32 v54, v15
	v_mov_b32_e32 v52, v13
	v_pk_fma_f32 v[4:5], v[52:53], v[20:21], v[4:5] op_sel_hi:[0,1,1] neg_lo:[1,0,0] neg_hi:[1,0,0]
	v_pk_fma_f32 v[2:3], v[52:53], v[22:23], v[2:3] op_sel_hi:[0,1,1] neg_lo:[1,0,0] neg_hi:[1,0,0]
	s_waitcnt lgkmcnt(13)
	v_pk_fma_f32 v[4:5], v[12:13], v[24:25], v[4:5] op_sel_hi:[0,1,1] neg_lo:[1,0,0] neg_hi:[1,0,0]
	s_waitcnt lgkmcnt(12)
	;; [unrolled: 2-line block ×4, first 2 shown]
	v_pk_fma_f32 v[2:3], v[54:55], v[30:31], v[2:3] op_sel_hi:[0,1,1] neg_lo:[1,0,0] neg_hi:[1,0,0]
	v_mov_b32_e32 v56, v17
	s_waitcnt lgkmcnt(9)
	v_pk_fma_f32 v[4:5], v[14:15], v[32:33], v[4:5] op_sel_hi:[0,1,1] neg_lo:[1,0,0] neg_hi:[1,0,0]
	s_waitcnt lgkmcnt(8)
	v_pk_fma_f32 v[2:3], v[14:15], v[34:35], v[2:3] op_sel_hi:[0,1,1] neg_lo:[1,0,0] neg_hi:[1,0,0]
	;; [unrolled: 2-line block ×4, first 2 shown]
	v_mov_b32_e32 v58, v19
	s_waitcnt lgkmcnt(5)
	v_pk_fma_f32 v[4:5], v[16:17], v[40:41], v[4:5] op_sel_hi:[0,1,1] neg_lo:[1,0,0] neg_hi:[1,0,0]
	s_waitcnt lgkmcnt(4)
	v_pk_fma_f32 v[2:3], v[16:17], v[42:43], v[2:3] op_sel_hi:[0,1,1] neg_lo:[1,0,0] neg_hi:[1,0,0]
	s_add_i32 s25, s25, -8
	s_addk_i32 s27, 0xfd80
	s_waitcnt lgkmcnt(3)
	v_pk_fma_f32 v[4:5], v[58:59], v[44:45], v[4:5] op_sel_hi:[0,1,1] neg_lo:[1,0,0] neg_hi:[1,0,0]
	s_waitcnt lgkmcnt(2)
	v_pk_fma_f32 v[2:3], v[58:59], v[46:47], v[2:3] op_sel_hi:[0,1,1] neg_lo:[1,0,0] neg_hi:[1,0,0]
	v_add_u32_e32 v10, 0xfffffd80, v10
	s_cmp_le_i32 s25, s20
	s_waitcnt lgkmcnt(1)
	v_pk_fma_f32 v[4:5], v[18:19], v[48:49], v[4:5] op_sel_hi:[0,1,1] neg_lo:[1,0,0] neg_hi:[1,0,0]
	s_waitcnt lgkmcnt(0)
	v_pk_fma_f32 v[2:3], v[18:19], v[50:51], v[2:3] op_sel_hi:[0,1,1] neg_lo:[1,0,0] neg_hi:[1,0,0]
	s_cbranch_scc0 .LBB25_63
.LBB25_64:                              ;   in Loop: Header=BB25_56 Depth=1
	s_add_i32 s25, s20, s24
	s_add_i32 s27, s20, -3
	s_lshl_b32 s25, s25, 2
	s_mul_i32 s28, s20, 0x54
	s_add_i32 s25, s25, -4
	s_add_i32 s24, s24, s27
	s_add_i32 s23, s23, s27
	v_add_u32_e32 v10, 0x640, v7
	v_add_u32_e32 v11, 0x640, v9
	;; [unrolled: 1-line block ×3, first 2 shown]
	v_mov_b32_e32 v9, s25
	s_add_i32 s25, s28, 0xffffffac
	s_lshl_b32 s24, s24, 2
	s_lshl_b32 s23, s23, 2
	v_mov_b32_e32 v14, s25
	v_mov_b32_e32 v15, s24
	;; [unrolled: 1-line block ×3, first 2 shown]
	ds_read2_b32 v[12:13], v9 offset1:1
	ds_read_b32 v9, v14
	ds_read2_b32 v[14:15], v15 offset1:1
	ds_read2_b32 v[16:17], v16 offset1:1
	s_add_i32 s21, s21, s27
	s_waitcnt lgkmcnt(3)
	v_div_scale_f32 v18, s[24:25], v13, v13, v5
	v_rcp_f32_e32 v19, v18
	s_lshl_b32 s21, s21, 2
	v_add_u32_e32 v8, 0x640, v8
	s_add_i32 s19, s19, 1
	v_fma_f32 v20, -v18, v19, 1.0
	v_fmac_f32_e32 v19, v20, v19
	v_div_scale_f32 v20, vcc, v5, v13, v5
	v_mul_f32_e32 v21, v20, v19
	v_fma_f32 v22, -v18, v21, v20
	v_fmac_f32_e32 v21, v22, v19
	v_fma_f32 v18, -v18, v21, v20
	v_div_fmas_f32 v18, v18, v19, v21
	v_div_fixup_f32 v13, v18, v13, v5
	v_fma_f32 v4, -v13, v12, v4
	s_waitcnt lgkmcnt(2)
	v_div_scale_f32 v5, s[24:25], v9, v9, v4
	v_rcp_f32_e32 v12, v5
	s_waitcnt lgkmcnt(1)
	v_fma_f32 v3, -v13, v15, v3
	v_fma_f32 v2, -v13, v14, v2
	s_add_i32 s14, s14, -16
	v_fma_f32 v18, -v5, v12, 1.0
	v_fmac_f32_e32 v12, v18, v12
	v_div_scale_f32 v18, vcc, v4, v9, v4
	v_mul_f32_e32 v19, v18, v12
	v_fma_f32 v20, -v5, v19, v18
	v_fmac_f32_e32 v19, v20, v12
	v_fma_f32 v5, -v5, v19, v18
	v_div_fmas_f32 v5, v5, v12, v19
	v_div_fixup_f32 v9, v5, v9, v4
	v_mov_b32_e32 v4, s21
	ds_read2_b32 v[4:5], v4 offset1:1
	s_add_i32 s21, s28, 0xffffff04
	s_waitcnt lgkmcnt(1)
	v_fma_f32 v3, -v9, v17, v3
	v_mov_b32_e32 v12, s21
	ds_read_b32 v12, v12
	s_waitcnt lgkmcnt(1)
	v_div_scale_f32 v15, s[24:25], v5, v5, v3
	v_rcp_f32_e32 v17, v15
	v_fma_f32 v2, -v9, v16, v2
	s_add_i32 s21, s20, -4
	s_not_b64 s[10:11], s[10:11]
	v_fma_f32 v18, -v15, v17, 1.0
	v_fmac_f32_e32 v17, v18, v17
	v_div_scale_f32 v18, vcc, v3, v5, v3
	v_mul_f32_e32 v19, v18, v17
	v_fma_f32 v20, -v15, v19, v18
	v_fmac_f32_e32 v19, v20, v17
	v_fma_f32 v15, -v15, v19, v18
	v_div_fmas_f32 v15, v15, v17, v19
	v_div_fixup_f32 v3, v15, v5, v3
	v_fma_f32 v2, -v3, v4, v2
	s_waitcnt lgkmcnt(0)
	v_div_scale_f32 v4, s[24:25], v12, v12, v2
	v_rcp_f32_e32 v5, v4
	ds_write_b32 v10, v13
	ds_write_b32 v8, v9
	;; [unrolled: 1-line block ×3, first 2 shown]
	s_add_i32 s15, s15, -16
	s_cmp_lt_i32 s20, 7
	v_fma_f32 v3, -v4, v5, 1.0
	v_fmac_f32_e32 v5, v3, v5
	v_div_scale_f32 v3, vcc, v2, v12, v2
	v_mul_f32_e32 v8, v3, v5
	v_fma_f32 v9, -v4, v8, v3
	v_fmac_f32_e32 v8, v9, v5
	v_fma_f32 v3, -v4, v8, v3
	v_div_fmas_f32 v3, v3, v5, v8
	v_div_fixup_f32 v2, v3, v12, v2
	ds_write_b32 v7, v2
	s_cbranch_scc1 .LBB25_66
; %bb.65:                               ;   in Loop: Header=BB25_56 Depth=1
	s_mov_b32 s20, s21
	s_branch .LBB25_56
.LBB25_66:
	s_cmp_lt_i32 s21, 0
	s_cbranch_scc1 .LBB25_79
; %bb.67:
	s_bitcmp1_b32 s21, 0
	s_cselect_b64 s[10:11], -1, 0
	s_and_b64 vcc, exec, s[10:11]
	s_mov_b32 s10, s21
	s_cbranch_vccnz .LBB25_72
; %bb.68:
	s_mul_i32 s10, s21, 20
	v_add_lshl_u32 v2, s10, v0, 2
	ds_read_b32 v1, v2 offset:1600
	s_cmp_le_i32 s1, s21
	s_cbranch_scc1 .LBB25_71
; %bb.69:
	s_mul_i32 s11, s26, 0x50
	s_lshl_b32 s10, s21, 2
	s_add_i32 s10, s11, s10
	v_lshl_add_u32 v3, v0, 2, s11
	s_addk_i32 s10, 0xffb0
	v_add_u32_e32 v3, 0x5f0, v3
	s_mov_b32 s11, s1
.LBB25_70:                              ; =>This Inner Loop Header: Depth=1
	v_mov_b32_e32 v5, s10
	ds_read_b32 v4, v3
	ds_read_b32 v5, v5
	s_add_i32 s11, s11, -1
	s_addk_i32 s10, 0xffb0
	v_add_u32_e32 v3, 0xffffffb0, v3
	s_cmp_gt_i32 s11, s21
	s_waitcnt lgkmcnt(0)
	v_fma_f32 v1, -v4, v5, v1
	s_cbranch_scc1 .LBB25_70
.LBB25_71:
	s_mul_i32 s10, s21, 0x54
	v_mov_b32_e32 v3, s10
	ds_read_b32 v3, v3
	v_add_u32_e32 v2, 0x640, v2
	s_waitcnt lgkmcnt(0)
	v_div_scale_f32 v4, s[10:11], v3, v3, v1
	v_rcp_f32_e32 v5, v4
	v_div_scale_f32 v6, vcc, v1, v3, v1
	s_add_i32 s10, s21, -1
	v_fma_f32 v7, -v4, v5, 1.0
	v_fmac_f32_e32 v5, v7, v5
	v_mul_f32_e32 v7, v6, v5
	v_fma_f32 v8, -v4, v7, v6
	v_fmac_f32_e32 v7, v8, v5
	v_fma_f32 v4, -v4, v7, v6
	v_div_fmas_f32 v4, v4, v5, v7
	v_div_fixup_f32 v1, v4, v3, v1
	ds_write_b32 v2, v1
.LBB25_72:
	s_cmp_eq_u32 s21, 0
	s_cbranch_scc1 .LBB25_79
; %bb.73:
	s_mul_i32 s14, s26, 0x50
	s_lshl_b32 s11, s10, 2
	s_add_i32 s15, s14, s11
	v_lshl_add_u32 v1, v0, 2, s14
	s_add_i32 s11, s15, 0xffffffb0
	v_add_u32_e32 v1, 0x5f0, v1
	s_add_i32 s14, s15, 0xffffffac
	s_branch .LBB25_75
.LBB25_74:                              ;   in Loop: Header=BB25_75 Depth=1
	s_addk_i32 s15, 0xffac
	v_mov_b32_e32 v4, s15
	ds_read_b32 v4, v4
	s_add_i32 s15, s10, -2
	s_add_i32 s11, s11, -8
	;; [unrolled: 1-line block ×3, first 2 shown]
	s_cmp_lt_i32 s10, 2
	s_waitcnt lgkmcnt(0)
	v_div_scale_f32 v5, s[20:21], v4, v4, v3
	v_rcp_f32_e32 v6, v5
	v_div_scale_f32 v7, vcc, v3, v4, v3
	s_mov_b32 s10, s15
	v_fma_f32 v8, -v5, v6, 1.0
	v_fmac_f32_e32 v6, v8, v6
	v_mul_f32_e32 v8, v7, v6
	v_fma_f32 v9, -v5, v8, v7
	v_fmac_f32_e32 v8, v9, v6
	v_fma_f32 v5, -v5, v8, v7
	v_div_fmas_f32 v5, v5, v6, v8
	v_div_fixup_f32 v3, v5, v4, v3
	ds_write_b32 v2, v3
	s_cbranch_scc1 .LBB25_79
.LBB25_75:                              ; =>This Loop Header: Depth=1
                                        ;     Child Loop BB25_76 Depth 2
                                        ;     Child Loop BB25_78 Depth 2
	s_mul_i32 s15, s10, 20
	v_add_lshl_u32 v2, s15, v0, 2
	ds_read_b32 v4, v2 offset:1600
	s_cmp_le_i32 s1, s10
	v_mov_b32_e32 v3, v1
	s_mov_b32 s15, s11
	s_mov_b32 s19, s1
	s_cbranch_scc1 .LBB25_77
.LBB25_76:                              ;   Parent Loop BB25_75 Depth=1
                                        ; =>  This Inner Loop Header: Depth=2
	v_mov_b32_e32 v6, s15
	ds_read_b32 v5, v3
	ds_read_b32 v6, v6
	s_add_i32 s19, s19, -1
	s_addk_i32 s15, 0xffb0
	v_add_u32_e32 v3, 0xffffffb0, v3
	s_cmp_le_i32 s19, s10
	s_waitcnt lgkmcnt(0)
	v_fma_f32 v4, -v5, v6, v4
	s_cbranch_scc0 .LBB25_76
.LBB25_77:                              ;   in Loop: Header=BB25_75 Depth=1
	s_mul_i32 s15, s10, 0x54
	v_add_u32_e32 v5, 0x640, v2
	v_mov_b32_e32 v2, s15
	ds_read_b32 v6, v2
	v_add_u32_e32 v2, 0xffffffb0, v5
	ds_read_b32 v3, v2
	s_cmp_le_i32 s26, s10
	s_mov_b32 s19, s14
	s_waitcnt lgkmcnt(1)
	v_div_scale_f32 v7, s[20:21], v6, v6, v4
	v_rcp_f32_e32 v8, v7
	v_div_scale_f32 v9, vcc, v4, v6, v4
	s_mov_b32 s20, s26
	v_fma_f32 v10, -v7, v8, 1.0
	v_fmac_f32_e32 v8, v10, v8
	v_mul_f32_e32 v10, v9, v8
	v_fma_f32 v11, -v7, v10, v9
	v_fmac_f32_e32 v10, v11, v8
	v_fma_f32 v7, -v7, v10, v9
	v_div_fmas_f32 v7, v7, v8, v10
	v_div_fixup_f32 v4, v7, v6, v4
	ds_write_b32 v5, v4
	v_mov_b32_e32 v4, v1
	s_cbranch_scc1 .LBB25_74
.LBB25_78:                              ;   Parent Loop BB25_75 Depth=1
                                        ; =>  This Inner Loop Header: Depth=2
	v_mov_b32_e32 v6, s19
	ds_read_b32 v5, v4
	ds_read_b32 v6, v6
	s_add_i32 s20, s20, -1
	s_addk_i32 s19, 0xffb0
	v_add_u32_e32 v4, 0xffffffb0, v4
	s_cmp_gt_i32 s20, s10
	s_waitcnt lgkmcnt(0)
	v_fma_f32 v3, -v5, v6, v3
	s_cbranch_scc1 .LBB25_78
	s_branch .LBB25_74
.LBB25_79:
	s_mov_b64 s[20:21], 0
.LBB25_80:
	s_andn2_b64 vcc, exec, s[20:21]
	s_cbranch_vccnz .LBB25_100
; %bb.81:
	s_andn2_b64 vcc, exec, s[8:9]
	s_mov_b32 s10, s1
	s_cbranch_vccnz .LBB25_87
; %bb.82:
	s_mul_i32 s9, s26, 0x50
	s_mul_i32 s8, s26, 0x54
	v_lshl_add_u32 v1, v0, 2, s9
	s_addk_i32 s8, 0xfeb0
	v_add_u32_e32 v1, 0x500, v1
	s_mov_b32 s9, s1
.LBB25_83:                              ; =>This Loop Header: Depth=1
                                        ;     Child Loop BB25_84 Depth 2
	s_mul_i32 s10, s9, 20
	s_sub_i32 s11, s10, 20
	v_add_lshl_u32 v6, s10, v0, 2
	v_add_lshl_u32 v8, s11, v0, 2
	s_sub_i32 s11, s10, 40
	s_sub_i32 s10, s10, 60
	v_add_lshl_u32 v9, s11, v0, 2
	v_add_lshl_u32 v10, s10, v0, 2
	ds_read_b32 v5, v6 offset:1600
	ds_read_b32 v4, v8 offset:1600
	;; [unrolled: 1-line block ×4, first 2 shown]
	s_cmp_le_i32 s1, s9
	v_mov_b32_e32 v7, v1
	s_mov_b32 s14, s8
	s_mov_b32 s15, s1
	s_cbranch_scc1 .LBB25_85
.LBB25_84:                              ;   Parent Loop BB25_83 Depth=1
                                        ; =>  This Inner Loop Header: Depth=2
	ds_read2_b32 v[12:13], v7 offset0:40 offset1:60
	v_mov_b32_e32 v11, s14
	ds_read2_b32 v[14:15], v7 offset1:20
	ds_read2_b32 v[16:17], v11 offset0:62 offset1:63
	ds_read2_b32 v[18:19], v11 offset0:60 offset1:61
	;; [unrolled: 1-line block ×7, first 2 shown]
	ds_read2_b32 v[30:31], v11 offset1:1
	s_add_i32 s15, s15, -4
	s_waitcnt lgkmcnt(7)
	v_fma_f32 v5, -v13, v17, v5
	s_waitcnt lgkmcnt(5)
	v_fma_f32 v4, -v13, v21, v4
	;; [unrolled: 2-line block ×4, first 2 shown]
	v_fma_f32 v5, -v12, v16, v5
	v_fma_f32 v4, -v12, v20, v4
	;; [unrolled: 1-line block ×4, first 2 shown]
	s_add_i32 s14, s14, -16
	v_fma_f32 v5, -v15, v19, v5
	v_fma_f32 v4, -v15, v23, v4
	;; [unrolled: 1-line block ×3, first 2 shown]
	s_waitcnt lgkmcnt(0)
	v_fma_f32 v2, -v15, v31, v2
	v_add_u32_e32 v7, 0xfffffec0, v7
	s_cmp_le_i32 s15, s9
	v_fma_f32 v5, -v14, v18, v5
	v_fma_f32 v4, -v14, v22, v4
	;; [unrolled: 1-line block ×4, first 2 shown]
	s_cbranch_scc0 .LBB25_84
.LBB25_85:                              ;   in Loop: Header=BB25_83 Depth=1
	s_add_i32 s11, s11, s9
	s_mul_i32 s19, s9, 0x54
	s_lshl_b32 s11, s11, 2
	s_add_i32 s14, s19, 0xffffffac
	v_mov_b32_e32 v12, s11
	s_add_i32 s11, s19, 0xffffff58
	v_add_u32_e32 v7, 0x640, v6
	v_add_u32_e32 v6, 0x640, v10
	v_mov_b32_e32 v10, s19
	v_mov_b32_e32 v11, s14
	;; [unrolled: 1-line block ×3, first 2 shown]
	ds_read_b32 v14, v10
	ds_read2_b32 v[10:11], v11 offset1:1
	ds_read_b32 v15, v12
	ds_read2_b32 v[12:13], v13 offset1:1
	s_add_i32 s10, s9, s10
	s_waitcnt lgkmcnt(3)
	v_div_scale_f32 v16, s[14:15], v14, v14, v5
	v_rcp_f32_e32 v17, v16
	s_lshl_b32 s10, s10, 2
	s_add_i32 s10, s10, -4
	v_add_u32_e32 v8, 0x640, v8
	v_fma_f32 v18, -v16, v17, 1.0
	v_fmac_f32_e32 v17, v18, v17
	v_div_scale_f32 v18, vcc, v5, v14, v5
	v_mul_f32_e32 v19, v18, v17
	v_fma_f32 v20, -v16, v19, v18
	v_fmac_f32_e32 v19, v20, v17
	v_fma_f32 v16, -v16, v19, v18
	v_div_fmas_f32 v16, v16, v17, v19
	v_div_fixup_f32 v14, v16, v14, v5
	s_waitcnt lgkmcnt(2)
	v_fma_f32 v4, -v14, v11, v4
	v_div_scale_f32 v5, s[14:15], v10, v10, v4
	v_rcp_f32_e32 v11, v5
	s_waitcnt lgkmcnt(1)
	v_fma_f32 v3, -v14, v15, v3
	v_add_u32_e32 v9, 0x640, v9
	s_addk_i32 s8, 0xfec0
	v_fma_f32 v16, -v5, v11, 1.0
	v_fmac_f32_e32 v11, v16, v11
	v_div_scale_f32 v16, vcc, v4, v10, v4
	v_mul_f32_e32 v17, v16, v11
	v_fma_f32 v18, -v5, v17, v16
	v_fmac_f32_e32 v17, v18, v11
	v_fma_f32 v5, -v5, v17, v16
	v_div_fmas_f32 v5, v5, v11, v17
	v_div_fixup_f32 v16, v5, v10, v4
	s_waitcnt lgkmcnt(0)
	v_fma_f32 v3, -v16, v13, v3
	v_div_scale_f32 v4, s[14:15], v12, v12, v3
	v_rcp_f32_e32 v13, v4
	v_fma_f32 v5, -v4, v13, 1.0
	v_fmac_f32_e32 v13, v5, v13
	v_div_scale_f32 v5, vcc, v3, v12, v3
	v_mul_f32_e32 v15, v5, v13
	v_fma_f32 v10, -v4, v15, v5
	v_fmac_f32_e32 v15, v10, v13
	v_fma_f32 v17, -v4, v15, v5
	v_mov_b32_e32 v4, s10
	s_add_i32 s10, s19, 0xffffff04
	v_mov_b32_e32 v10, s10
	ds_read2_b32 v[4:5], v4 offset1:1
	ds_read2_b32 v[10:11], v10 offset1:1
	v_div_fmas_f32 v13, v17, v13, v15
	v_div_fixup_f32 v3, v13, v12, v3
	ds_write_b32 v7, v14
	ds_write_b32 v8, v16
	;; [unrolled: 1-line block ×3, first 2 shown]
	s_waitcnt lgkmcnt(4)
	v_fma_f32 v2, -v14, v5, v2
	v_fma_f32 v2, -v16, v4, v2
	s_waitcnt lgkmcnt(3)
	v_fma_f32 v2, -v3, v11, v2
	v_div_scale_f32 v4, s[10:11], v10, v10, v2
	v_rcp_f32_e32 v5, v4
	s_add_i32 s10, s9, -4
	s_cmp_lt_i32 s9, 7
	v_fma_f32 v3, -v4, v5, 1.0
	v_fmac_f32_e32 v5, v3, v5
	v_div_scale_f32 v3, vcc, v2, v10, v2
	v_mul_f32_e32 v7, v3, v5
	v_fma_f32 v8, -v4, v7, v3
	v_fmac_f32_e32 v7, v8, v5
	v_fma_f32 v3, -v4, v7, v3
	v_div_fmas_f32 v3, v3, v5, v7
	v_div_fixup_f32 v2, v3, v10, v2
	ds_write_b32 v6, v2
	s_cbranch_scc1 .LBB25_87
; %bb.86:                               ;   in Loop: Header=BB25_83 Depth=1
	s_mov_b32 s9, s10
	s_branch .LBB25_83
.LBB25_87:
	s_cmp_lt_i32 s10, 0
	s_cbranch_scc1 .LBB25_100
; %bb.88:
	s_bitcmp1_b32 s10, 0
	s_cselect_b64 s[8:9], -1, 0
	s_and_b64 vcc, exec, s[8:9]
	s_mov_b32 s8, s10
	s_cbranch_vccnz .LBB25_93
; %bb.89:
	s_mul_i32 s8, s10, 20
	v_add_lshl_u32 v2, s8, v0, 2
	ds_read_b32 v1, v2 offset:1600
	s_cmp_le_i32 s1, s10
	s_cbranch_scc1 .LBB25_92
; %bb.90:
	s_mul_i32 s8, s10, 0x50
	s_lshl_b32 s9, s26, 2
	s_add_i32 s8, s8, s9
	s_mul_i32 s9, s26, 0x50
	v_lshl_add_u32 v3, v0, 2, s9
	s_add_i32 s8, s8, -4
	v_add_u32_e32 v3, 0x5f0, v3
	s_mov_b32 s9, s1
.LBB25_91:                              ; =>This Inner Loop Header: Depth=1
	v_mov_b32_e32 v5, s8
	ds_read_b32 v4, v3
	ds_read_b32 v5, v5
	s_add_i32 s9, s9, -1
	s_add_i32 s8, s8, -4
	v_add_u32_e32 v3, 0xffffffb0, v3
	s_cmp_gt_i32 s9, s10
	s_waitcnt lgkmcnt(0)
	v_fma_f32 v1, -v4, v5, v1
	s_cbranch_scc1 .LBB25_91
.LBB25_92:
	s_mul_i32 s8, s10, 0x54
	v_mov_b32_e32 v3, s8
	ds_read_b32 v3, v3
	v_add_u32_e32 v2, 0x640, v2
	s_waitcnt lgkmcnt(0)
	v_div_scale_f32 v4, s[8:9], v3, v3, v1
	v_rcp_f32_e32 v5, v4
	v_div_scale_f32 v6, vcc, v1, v3, v1
	s_add_i32 s8, s10, -1
	v_fma_f32 v7, -v4, v5, 1.0
	v_fmac_f32_e32 v5, v7, v5
	v_mul_f32_e32 v7, v6, v5
	v_fma_f32 v8, -v4, v7, v6
	v_fmac_f32_e32 v7, v8, v5
	v_fma_f32 v4, -v4, v7, v6
	v_div_fmas_f32 v4, v4, v5, v7
	v_div_fixup_f32 v1, v4, v3, v1
	ds_write_b32 v2, v1
.LBB25_93:
	s_cmp_eq_u32 s10, 0
	s_cbranch_scc1 .LBB25_100
; %bb.94:
	s_mul_i32 s9, s8, 0x50
	s_lshl_b32 s10, s26, 2
	s_mul_i32 s11, s26, 0x50
	s_add_i32 s10, s9, s10
	v_lshl_add_u32 v1, v0, 2, s11
	s_add_i32 s9, s10, -4
	v_add_u32_e32 v1, 0x5f0, v1
	s_addk_i32 s10, 0xffac
	s_branch .LBB25_96
.LBB25_95:                              ;   in Loop: Header=BB25_96 Depth=1
	s_addk_i32 s11, 0xffac
	v_add_u32_e32 v3, 0x640, v4
	v_mov_b32_e32 v4, s11
	ds_read_b32 v4, v4
	s_add_i32 s11, s8, -2
	s_addk_i32 s9, 0xff60
	s_addk_i32 s10, 0xff60
	s_cmp_lt_i32 s8, 2
	s_waitcnt lgkmcnt(0)
	v_div_scale_f32 v5, s[14:15], v4, v4, v2
	v_rcp_f32_e32 v6, v5
	v_div_scale_f32 v7, vcc, v2, v4, v2
	s_mov_b32 s8, s11
	v_fma_f32 v8, -v5, v6, 1.0
	v_fmac_f32_e32 v6, v8, v6
	v_mul_f32_e32 v8, v7, v6
	v_fma_f32 v9, -v5, v8, v7
	v_fmac_f32_e32 v8, v9, v6
	v_fma_f32 v5, -v5, v8, v7
	v_div_fmas_f32 v5, v5, v6, v8
	v_div_fixup_f32 v2, v5, v4, v2
	ds_write_b32 v3, v2
	s_cbranch_scc1 .LBB25_100
.LBB25_96:                              ; =>This Loop Header: Depth=1
                                        ;     Child Loop BB25_97 Depth 2
                                        ;     Child Loop BB25_99 Depth 2
	s_mul_i32 s14, s8, 20
	v_add_lshl_u32 v2, s14, v0, 2
	ds_read_b32 v3, v2 offset:1600
	s_cmp_le_i32 s1, s8
	v_mov_b32_e32 v4, v1
	s_mov_b32 s11, s9
	s_mov_b32 s15, s1
	s_cbranch_scc1 .LBB25_98
.LBB25_97:                              ;   Parent Loop BB25_96 Depth=1
                                        ; =>  This Inner Loop Header: Depth=2
	v_mov_b32_e32 v6, s11
	ds_read_b32 v5, v4
	ds_read_b32 v6, v6
	s_add_i32 s15, s15, -1
	s_add_i32 s11, s11, -4
	v_add_u32_e32 v4, 0xffffffb0, v4
	s_cmp_le_i32 s15, s8
	s_waitcnt lgkmcnt(0)
	v_fma_f32 v3, -v5, v6, v3
	s_cbranch_scc0 .LBB25_97
.LBB25_98:                              ;   in Loop: Header=BB25_96 Depth=1
	s_mul_i32 s11, s8, 0x54
	v_add_u32_e32 v5, 0x640, v2
	v_mov_b32_e32 v2, s11
	ds_read_b32 v6, v2
	s_sub_i32 s14, s14, 20
	v_add_lshl_u32 v4, s14, v0, 2
	ds_read_b32 v2, v4 offset:1600
	s_cmp_le_i32 s26, s8
	s_waitcnt lgkmcnt(1)
	v_div_scale_f32 v7, s[14:15], v6, v6, v3
	v_rcp_f32_e32 v8, v7
	v_div_scale_f32 v9, vcc, v3, v6, v3
	s_mov_b32 s14, s10
	v_fma_f32 v10, -v7, v8, 1.0
	v_fmac_f32_e32 v8, v10, v8
	v_mul_f32_e32 v10, v9, v8
	v_fma_f32 v11, -v7, v10, v9
	v_fmac_f32_e32 v10, v11, v8
	v_fma_f32 v7, -v7, v10, v9
	v_div_fmas_f32 v7, v7, v8, v10
	v_div_fixup_f32 v3, v7, v6, v3
	ds_write_b32 v5, v3
	v_mov_b32_e32 v3, v1
	s_mov_b32 s15, s26
	s_cbranch_scc1 .LBB25_95
.LBB25_99:                              ;   Parent Loop BB25_96 Depth=1
                                        ; =>  This Inner Loop Header: Depth=2
	v_mov_b32_e32 v6, s14
	ds_read_b32 v5, v3
	ds_read_b32 v6, v6
	s_add_i32 s15, s15, -1
	s_add_i32 s14, s14, -4
	v_add_u32_e32 v3, 0xffffffb0, v3
	s_cmp_gt_i32 s15, s8
	s_waitcnt lgkmcnt(0)
	v_fma_f32 v2, -v5, v6, v2
	s_cbranch_scc1 .LBB25_99
	s_branch .LBB25_95
.LBB25_100:
	s_mov_b64 s[20:21], 0
.LBB25_101:
	s_andn2_b64 vcc, exec, s[20:21]
	s_cbranch_vccnz .LBB25_120
; %bb.102:
	s_cmp_lt_i32 s18, 4
	s_mov_b32 s9, 0
	s_cbranch_scc1 .LBB25_109
; %bb.103:
	v_mov_b32_e32 v1, 0x640
	v_lshl_add_u32 v1, v0, 2, v1
	s_mov_b32 s1, 0
	s_mov_b32 s8, 0
.LBB25_104:                             ; =>This Loop Header: Depth=1
                                        ;     Child Loop BB25_106 Depth 2
	s_mul_i32 s9, s8, 20
	v_add_lshl_u32 v6, s9, v0, 2
	s_add_i32 s11, s9, 20
	s_add_i32 s10, s9, 40
	;; [unrolled: 1-line block ×3, first 2 shown]
	v_add_lshl_u32 v8, s11, v0, 2
	v_add_lshl_u32 v9, s10, v0, 2
	;; [unrolled: 1-line block ×3, first 2 shown]
	ds_read_b32 v5, v6 offset:1600
	ds_read_b32 v4, v8 offset:1600
	;; [unrolled: 1-line block ×4, first 2 shown]
	s_cmp_eq_u32 s8, 0
	s_cbranch_scc1 .LBB25_107
; %bb.105:                              ;   in Loop: Header=BB25_104 Depth=1
	s_mov_b32 s14, 0
	v_mov_b32_e32 v7, v1
	s_mov_b32 s15, s1
.LBB25_106:                             ;   Parent Loop BB25_104 Depth=1
                                        ; =>  This Inner Loop Header: Depth=2
	v_mov_b32_e32 v11, s15
	ds_read2_b32 v[28:29], v7 offset1:20
	ds_read2_b32 v[30:31], v7 offset0:40 offset1:60
	ds_read_b128 v[12:15], v11
	ds_read_b128 v[16:19], v11 offset:80
	ds_read_b128 v[20:23], v11 offset:160
	;; [unrolled: 1-line block ×3, first 2 shown]
	s_add_i32 s14, s14, 4
	s_add_i32 s15, s15, 16
	s_waitcnt lgkmcnt(3)
	v_fma_f32 v5, -v28, v12, v5
	s_waitcnt lgkmcnt(2)
	v_fma_f32 v4, -v28, v16, v4
	;; [unrolled: 2-line block ×4, first 2 shown]
	v_fma_f32 v5, -v29, v13, v5
	v_fma_f32 v4, -v29, v17, v4
	;; [unrolled: 1-line block ×8, first 2 shown]
	v_add_u32_e32 v7, 0x140, v7
	s_cmp_ge_u32 s14, s8
	v_fma_f32 v5, -v31, v15, v5
	v_fma_f32 v4, -v31, v19, v4
	;; [unrolled: 1-line block ×4, first 2 shown]
	s_cbranch_scc0 .LBB25_106
.LBB25_107:                             ;   in Loop: Header=BB25_104 Depth=1
	s_mul_i32 s14, s8, 0x54
	v_add_u32_e32 v7, 0x640, v6
	v_add_u32_e32 v6, 0x640, v10
	v_mov_b32_e32 v10, s14
	ds_read_b32 v15, v10
	s_add_i32 s11, s11, s8
	s_add_i32 s10, s10, s8
	s_lshl_b32 s11, s11, 2
	s_lshl_b32 s10, s10, 2
	v_mov_b32_e32 v11, s11
	v_mov_b32_e32 v12, s10
	s_waitcnt lgkmcnt(0)
	v_div_scale_f32 v16, s[10:11], v15, v15, v5
	v_rcp_f32_e32 v17, v16
	ds_read_b64 v[10:11], v11
	ds_read_b96 v[12:14], v12
	s_add_i32 s9, s9, s8
	s_lshl_b32 s9, s9, 2
	v_fma_f32 v18, -v16, v17, 1.0
	v_fmac_f32_e32 v17, v18, v17
	v_div_scale_f32 v18, vcc, v5, v15, v5
	v_mul_f32_e32 v19, v18, v17
	v_fma_f32 v20, -v16, v19, v18
	v_fmac_f32_e32 v19, v20, v17
	v_fma_f32 v16, -v16, v19, v18
	v_div_fmas_f32 v16, v16, v17, v19
	v_div_fixup_f32 v5, v16, v15, v5
	s_waitcnt lgkmcnt(1)
	v_fma_f32 v4, -v5, v10, v4
	v_div_scale_f32 v10, s[10:11], v11, v11, v4
	v_rcp_f32_e32 v15, v10
	s_waitcnt lgkmcnt(0)
	v_fma_f32 v3, -v5, v12, v3
	v_add_u32_e32 v8, 0x640, v8
	v_add_u32_e32 v9, 0x640, v9
	v_fma_f32 v16, -v10, v15, 1.0
	v_fmac_f32_e32 v15, v16, v15
	v_div_scale_f32 v16, vcc, v4, v11, v4
	v_mul_f32_e32 v17, v16, v15
	v_fma_f32 v18, -v10, v17, v16
	v_fmac_f32_e32 v17, v18, v15
	v_fma_f32 v10, -v10, v17, v16
	v_div_fmas_f32 v10, v10, v15, v17
	v_div_fixup_f32 v4, v10, v11, v4
	v_fma_f32 v3, -v4, v13, v3
	v_div_scale_f32 v15, s[10:11], v14, v14, v3
	v_rcp_f32_e32 v16, v15
	v_div_scale_f32 v17, vcc, v3, v14, v3
	s_addk_i32 s1, 0x140
	v_fma_f32 v10, -v15, v16, 1.0
	v_fmac_f32_e32 v16, v10, v16
	v_mul_f32_e32 v18, v17, v16
	v_fma_f32 v10, -v15, v18, v17
	v_fmac_f32_e32 v18, v10, v16
	v_mov_b32_e32 v10, s9
	ds_read_b128 v[10:13], v10
	v_fma_f32 v15, -v15, v18, v17
	v_div_fmas_f32 v15, v15, v16, v18
	v_div_fixup_f32 v3, v15, v14, v3
	ds_write_b32 v7, v5
	ds_write_b32 v8, v4
	;; [unrolled: 1-line block ×3, first 2 shown]
	s_waitcnt lgkmcnt(3)
	v_fma_f32 v2, -v5, v10, v2
	v_fma_f32 v2, -v4, v11, v2
	;; [unrolled: 1-line block ×3, first 2 shown]
	v_div_scale_f32 v10, s[10:11], v13, v13, v2
	v_rcp_f32_e32 v11, v10
	s_add_i32 s9, s8, 4
	s_add_i32 s8, s8, 7
	s_cmp_ge_i32 s8, s26
	v_fma_f32 v3, -v10, v11, 1.0
	v_fmac_f32_e32 v11, v3, v11
	v_div_scale_f32 v3, vcc, v2, v13, v2
	v_mul_f32_e32 v4, v3, v11
	v_fma_f32 v5, -v10, v4, v3
	v_fmac_f32_e32 v4, v5, v11
	v_fma_f32 v3, -v10, v4, v3
	v_div_fmas_f32 v3, v3, v11, v4
	v_div_fixup_f32 v2, v3, v13, v2
	ds_write_b32 v6, v2
	s_cbranch_scc1 .LBB25_109
; %bb.108:                              ;   in Loop: Header=BB25_104 Depth=1
	s_mov_b32 s8, s9
	s_branch .LBB25_104
.LBB25_109:
	s_cmp_ge_i32 s9, s26
	s_cbranch_scc1 .LBB25_120
; %bb.110:
	v_mov_b32_e32 v1, 0x640
	s_add_i32 s1, s9, -1
	s_mul_i32 s8, s9, 0x50
	v_lshl_add_u32 v1, v0, 2, v1
	s_mov_b32 s10, 0
	s_mov_b32 s11, s9
	s_branch .LBB25_112
.LBB25_111:                             ;   in Loop: Header=BB25_112 Depth=1
	s_mul_i32 s14, s9, 0x54
	v_mov_b32_e32 v4, s14
	ds_read_b32 v4, v4
	v_add_u32_e32 v3, 0x640, v3
	s_add_i32 s9, s9, 1
	s_add_i32 s10, s10, 1
	s_addk_i32 s8, 0x50
	s_waitcnt lgkmcnt(0)
	v_div_scale_f32 v5, s[14:15], v4, v4, v2
	v_rcp_f32_e32 v6, v5
	v_div_scale_f32 v7, vcc, v2, v4, v2
	s_cmp_ge_i32 s9, s26
	v_fma_f32 v8, -v5, v6, 1.0
	v_fmac_f32_e32 v6, v8, v6
	v_mul_f32_e32 v8, v7, v6
	v_fma_f32 v9, -v5, v8, v7
	v_fmac_f32_e32 v8, v9, v6
	v_fma_f32 v5, -v5, v8, v7
	v_div_fmas_f32 v5, v5, v6, v8
	v_div_fixup_f32 v2, v5, v4, v2
	ds_write_b32 v3, v2
	v_add_u16_e64 v2, s11, 1
	v_readfirstlane_b32 s11, v2
	s_cbranch_scc1 .LBB25_120
.LBB25_112:                             ; =>This Loop Header: Depth=1
                                        ;     Child Loop BB25_115 Depth 2
                                        ;     Child Loop BB25_119 Depth 2
	s_mul_i32 s14, s9, 20
	v_add_lshl_u32 v3, s14, v0, 2
	ds_read_b32 v2, v3 offset:1600
	s_cmp_eq_u32 s9, 0
	s_cbranch_scc1 .LBB25_111
; %bb.113:                              ;   in Loop: Header=BB25_112 Depth=1
	s_add_i32 s14, s1, s10
	s_cmp_lt_u32 s14, 7
	s_cbranch_scc1 .LBB25_117
; %bb.114:                              ;   in Loop: Header=BB25_112 Depth=1
	s_and_b32 s14, s9, -8
	s_mov_b32 s15, 0
	v_mov_b32_e32 v4, v1
	s_mov_b32 s19, s8
.LBB25_115:                             ;   Parent Loop BB25_112 Depth=1
                                        ; =>  This Inner Loop Header: Depth=2
	v_mov_b32_e32 v5, s19
	ds_read2_b32 v[14:15], v4 offset1:20
	ds_read2_b32 v[16:17], v4 offset0:40 offset1:60
	ds_read2_b32 v[18:19], v4 offset0:80 offset1:100
	;; [unrolled: 1-line block ×3, first 2 shown]
	ds_read_b128 v[6:9], v5
	ds_read_b128 v[10:13], v5 offset:16
	s_add_i32 s15, s15, 8
	s_add_i32 s19, s19, 32
	v_add_u32_e32 v4, 0x280, v4
	s_waitcnt lgkmcnt(1)
	v_fma_f32 v2, -v14, v6, v2
	v_fma_f32 v2, -v15, v7, v2
	;; [unrolled: 1-line block ×4, first 2 shown]
	s_waitcnt lgkmcnt(0)
	v_fma_f32 v2, -v18, v10, v2
	v_fma_f32 v2, -v19, v11, v2
	;; [unrolled: 1-line block ×3, first 2 shown]
	s_cmp_eq_u32 s14, s15
	v_fma_f32 v2, -v21, v13, v2
	s_cbranch_scc0 .LBB25_115
; %bb.116:                              ;   in Loop: Header=BB25_112 Depth=1
	s_and_b32 s15, s9, 7
	s_cmp_eq_u32 s15, 0
	s_cbranch_scc0 .LBB25_118
	s_branch .LBB25_111
.LBB25_117:                             ;   in Loop: Header=BB25_112 Depth=1
	s_mov_b32 s14, 0
	s_and_b32 s15, s9, 7
	s_cmp_eq_u32 s15, 0
	s_cbranch_scc1 .LBB25_111
.LBB25_118:                             ;   in Loop: Header=BB25_112 Depth=1
	s_lshl_b32 s19, s14, 2
	s_mulk_i32 s14, 0x50
	s_and_b32 s15, s11, 7
	v_add_u32_e32 v4, s14, v1
.LBB25_119:                             ;   Parent Loop BB25_112 Depth=1
                                        ; =>  This Inner Loop Header: Depth=2
	s_add_i32 s14, s8, s19
	v_mov_b32_e32 v6, s14
	ds_read_b32 v5, v4
	ds_read_b32 v6, v6
	s_add_i32 s19, s19, 4
	s_add_i32 s15, s15, -1
	v_add_u32_e32 v4, 0x50, v4
	s_cmp_lg_u32 s15, 0
	s_waitcnt lgkmcnt(0)
	v_fma_f32 v2, -v5, v6, v2
	s_cbranch_scc1 .LBB25_119
	s_branch .LBB25_111
.LBB25_120:
	s_and_saveexec_b64 s[8:9], s[4:5]
	s_cbranch_execz .LBB25_132
; %bb.121:
	s_cmp_lt_u32 s18, 2
	s_cselect_b64 s[4:5], -1, 0
	s_cmp_lg_u32 s0, 1
	s_cselect_b64 s[8:9], -1, 0
	s_or_b64 s[4:5], s[4:5], s[8:9]
	s_mov_b32 s1, 1
	s_and_b64 vcc, exec, s[4:5]
	s_cbranch_vccnz .LBB25_129
; %bb.122:
	s_add_i32 s4, s18, -2
	s_lshr_b32 s5, s4, 1
	s_add_i32 s5, s5, 1
	s_mov_b32 s8, 0
	s_cmp_lt_u32 s4, 14
	s_mov_b32 s4, s8
	s_cbranch_scc1 .LBB25_125
; %bb.123:
	s_mul_i32 s1, s13, s7
	s_mul_hi_u32 s4, s12, s7
	s_add_i32 s11, s4, s1
	s_mul_i32 s10, s12, s7
	s_and_b32 s9, s5, -8
	s_lshl_b64 s[10:11], s[10:11], 2
	s_add_u32 s1, s10, s6
	s_addc_u32 s4, s11, s22
	s_lshl_b64 s[10:11], s[16:17], 2
	s_add_u32 s1, s1, s10
	s_addc_u32 s4, s4, s11
	s_add_u32 s1, s2, s1
	v_lshlrev_b32_e32 v1, 2, v0
	s_addc_u32 s4, s3, s4
	v_mov_b32_e32 v2, s4
	v_add_co_u32_e32 v1, vcc, s1, v1
	v_addc_co_u32_e32 v3, vcc, 0, v2, vcc
	v_add_co_u32_e32 v2, vcc, 56, v1
	v_addc_co_u32_e32 v3, vcc, 0, v3, vcc
	s_mov_b32 s1, 1
	s_mov_b32 s4, 0
.LBB25_124:                             ; =>This Inner Loop Header: Depth=1
	s_mul_i32 s10, s1, 20
	s_mul_i32 s11, s8, 20
	v_add_lshl_u32 v1, s11, v0, 2
	v_add_lshl_u32 v5, s10, v0, 2
	s_add_i32 s14, s10, 40
	s_add_i32 s15, s11, 40
	;; [unrolled: 1-line block ×12, first 2 shown]
	s_addk_i32 s10, 0x118
	s_addk_i32 s11, 0x118
	v_add_lshl_u32 v6, s15, v0, 2
	v_add_lshl_u32 v7, s14, v0, 2
	;; [unrolled: 1-line block ×14, first 2 shown]
	ds_read_b32 v4, v1 offset:1600
	ds_read_b32 v5, v5 offset:1600
	;; [unrolled: 1-line block ×16, first 2 shown]
	s_add_i32 s4, s4, 16
	s_add_i32 s1, s1, 16
	;; [unrolled: 1-line block ×3, first 2 shown]
	s_add_i32 s9, s9, -8
	s_waitcnt lgkmcnt(12)
	global_store_dwordx4 v[2:3], v[4:7], off offset:-56
	s_waitcnt lgkmcnt(8)
	global_store_dwordx4 v[2:3], v[8:11], off offset:-40
	;; [unrolled: 2-line block ×4, first 2 shown]
	v_add_co_u32_e32 v2, vcc, 64, v2
	s_cmp_lg_u32 s9, 0
	v_addc_co_u32_e32 v3, vcc, 0, v3, vcc
	s_cbranch_scc1 .LBB25_124
.LBB25_125:
	s_and_b32 s9, s5, 7
	s_cmp_eq_u32 s9, 0
	s_mov_b32 s5, 0
	s_cbranch_scc1 .LBB25_128
; %bb.126:
	s_mul_i32 s10, s13, s7
	s_mul_hi_u32 s11, s12, s7
	s_add_i32 s11, s11, s10
	s_mul_i32 s10, s12, s7
	s_lshl_b64 s[10:11], s[10:11], 2
	s_add_u32 s14, s10, s6
	s_addc_u32 s15, s11, s22
	s_lshl_b64 s[10:11], s[16:17], 2
	s_add_u32 s10, s14, s10
	s_addc_u32 s11, s15, s11
	;; [unrolled: 3-line block ×3, first 2 shown]
	s_add_u32 s4, s4, s10
	v_lshlrev_b32_e32 v1, 2, v0
	s_addc_u32 s5, s5, s11
	v_mov_b32_e32 v3, s5
	v_add_co_u32_e32 v2, vcc, s4, v1
	v_addc_co_u32_e32 v3, vcc, 0, v3, vcc
.LBB25_127:                             ; =>This Inner Loop Header: Depth=1
	s_mul_i32 s4, s1, 20
	s_mul_i32 s5, s8, 20
	v_add_lshl_u32 v1, s5, v0, 2
	v_add_lshl_u32 v5, s4, v0, 2
	ds_read_b32 v4, v1 offset:1600
	ds_read_b32 v5, v5 offset:1600
	s_add_i32 s1, s1, 2
	s_add_i32 s8, s8, 2
	s_add_i32 s9, s9, -1
	s_cmp_lg_u32 s9, 0
	s_waitcnt lgkmcnt(0)
	global_store_dwordx2 v[2:3], v[4:5], off
	v_add_co_u32_e32 v2, vcc, 8, v2
	v_addc_co_u32_e32 v3, vcc, 0, v3, vcc
	s_cbranch_scc1 .LBB25_127
.LBB25_128:
	s_and_b32 s8, s18, 0x7ffffffe
	s_cmp_lg_u32 s8, s18
	s_cselect_b64 s[4:5], -1, 0
	s_and_b64 vcc, exec, s[4:5]
	s_cbranch_vccnz .LBB25_130
	s_branch .LBB25_132
.LBB25_129:
	s_mov_b32 s8, 0
	s_cbranch_execz .LBB25_132
.LBB25_130:
	s_mul_i32 s5, s8, 0x50
	v_lshl_add_u32 v1, v0, 2, s5
	s_mul_i32 s5, s13, s7
	s_mul_hi_u32 s9, s12, s7
	s_sub_i32 s4, s18, s8
	s_add_i32 s11, s9, s5
	s_mul_i32 s10, s12, s7
	s_mul_hi_i32 s9, s0, s8
	s_mul_i32 s8, s0, s8
	s_ashr_i32 s1, s0, 31
	s_lshl_b64 s[10:11], s[10:11], 2
	s_lshl_b64 s[8:9], s[8:9], 2
	s_add_u32 s5, s10, s8
	s_addc_u32 s7, s11, s9
	s_add_u32 s5, s5, s6
	s_addc_u32 s8, s7, s22
	s_lshl_b64 s[6:7], s[16:17], 2
	s_add_u32 s5, s5, s6
	s_addc_u32 s6, s8, s7
	s_add_u32 s2, s2, s5
	v_lshlrev_b32_e32 v0, 2, v0
	s_addc_u32 s3, s3, s6
	v_add_u32_e32 v2, 0x640, v1
	v_mov_b32_e32 v1, s3
	v_add_co_u32_e32 v0, vcc, s2, v0
	s_lshl_b64 s[0:1], s[0:1], 2
	v_addc_co_u32_e32 v1, vcc, 0, v1, vcc
	v_mov_b32_e32 v3, s1
.LBB25_131:                             ; =>This Inner Loop Header: Depth=1
	ds_read_b32 v4, v2
	s_add_i32 s4, s4, -1
	v_add_u32_e32 v2, 0x50, v2
	s_cmp_lg_u32 s4, 0
	s_waitcnt lgkmcnt(0)
	global_store_dword v[0:1], v4, off
	v_add_co_u32_e32 v0, vcc, s0, v0
	v_addc_co_u32_e32 v1, vcc, v1, v3, vcc
	s_cbranch_scc1 .LBB25_131
.LBB25_132:
	s_endpgm
	.section	.rodata,"a",@progbits
	.p2align	6, 0x0
	.amdhsa_kernel _ZL31rocblas_trsm_small_right_deviceIffPKfPfLi20EEv13rocblas_fill_18rocblas_operation_17rocblas_diagonal_iiT0_T1_lilT2_lili
		.amdhsa_group_segment_fixed_size 3200
		.amdhsa_private_segment_fixed_size 0
		.amdhsa_kernarg_size 352
		.amdhsa_user_sgpr_count 6
		.amdhsa_user_sgpr_private_segment_buffer 1
		.amdhsa_user_sgpr_dispatch_ptr 0
		.amdhsa_user_sgpr_queue_ptr 0
		.amdhsa_user_sgpr_kernarg_segment_ptr 1
		.amdhsa_user_sgpr_dispatch_id 0
		.amdhsa_user_sgpr_flat_scratch_init 0
		.amdhsa_user_sgpr_kernarg_preload_length 0
		.amdhsa_user_sgpr_kernarg_preload_offset 0
		.amdhsa_user_sgpr_private_segment_size 0
		.amdhsa_uses_dynamic_stack 0
		.amdhsa_system_sgpr_private_segment_wavefront_offset 0
		.amdhsa_system_sgpr_workgroup_id_x 1
		.amdhsa_system_sgpr_workgroup_id_y 0
		.amdhsa_system_sgpr_workgroup_id_z 1
		.amdhsa_system_sgpr_workgroup_info 0
		.amdhsa_system_vgpr_workitem_id 0
		.amdhsa_next_free_vgpr 60
		.amdhsa_next_free_sgpr 44
		.amdhsa_accum_offset 60
		.amdhsa_reserve_vcc 1
		.amdhsa_reserve_flat_scratch 0
		.amdhsa_float_round_mode_32 0
		.amdhsa_float_round_mode_16_64 0
		.amdhsa_float_denorm_mode_32 3
		.amdhsa_float_denorm_mode_16_64 3
		.amdhsa_dx10_clamp 1
		.amdhsa_ieee_mode 1
		.amdhsa_fp16_overflow 0
		.amdhsa_tg_split 0
		.amdhsa_exception_fp_ieee_invalid_op 0
		.amdhsa_exception_fp_denorm_src 0
		.amdhsa_exception_fp_ieee_div_zero 0
		.amdhsa_exception_fp_ieee_overflow 0
		.amdhsa_exception_fp_ieee_underflow 0
		.amdhsa_exception_fp_ieee_inexact 0
		.amdhsa_exception_int_div_zero 0
	.end_amdhsa_kernel
	.section	.text._ZL31rocblas_trsm_small_right_deviceIffPKfPfLi20EEv13rocblas_fill_18rocblas_operation_17rocblas_diagonal_iiT0_T1_lilT2_lili,"axG",@progbits,_ZL31rocblas_trsm_small_right_deviceIffPKfPfLi20EEv13rocblas_fill_18rocblas_operation_17rocblas_diagonal_iiT0_T1_lilT2_lili,comdat
.Lfunc_end25:
	.size	_ZL31rocblas_trsm_small_right_deviceIffPKfPfLi20EEv13rocblas_fill_18rocblas_operation_17rocblas_diagonal_iiT0_T1_lilT2_lili, .Lfunc_end25-_ZL31rocblas_trsm_small_right_deviceIffPKfPfLi20EEv13rocblas_fill_18rocblas_operation_17rocblas_diagonal_iiT0_T1_lilT2_lili
                                        ; -- End function
	.section	.AMDGPU.csdata,"",@progbits
; Kernel info:
; codeLenInByte = 10064
; NumSgprs: 48
; NumVgprs: 60
; NumAgprs: 0
; TotalNumVgprs: 60
; ScratchSize: 0
; MemoryBound: 0
; FloatMode: 240
; IeeeMode: 1
; LDSByteSize: 3200 bytes/workgroup (compile time only)
; SGPRBlocks: 5
; VGPRBlocks: 7
; NumSGPRsForWavesPerEU: 48
; NumVGPRsForWavesPerEU: 60
; AccumOffset: 60
; Occupancy: 5
; WaveLimiterHint : 0
; COMPUTE_PGM_RSRC2:SCRATCH_EN: 0
; COMPUTE_PGM_RSRC2:USER_SGPR: 6
; COMPUTE_PGM_RSRC2:TRAP_HANDLER: 0
; COMPUTE_PGM_RSRC2:TGID_X_EN: 1
; COMPUTE_PGM_RSRC2:TGID_Y_EN: 0
; COMPUTE_PGM_RSRC2:TGID_Z_EN: 1
; COMPUTE_PGM_RSRC2:TIDIG_COMP_CNT: 0
; COMPUTE_PGM_RSRC3_GFX90A:ACCUM_OFFSET: 14
; COMPUTE_PGM_RSRC3_GFX90A:TG_SPLIT: 0
	.section	.text._ZL38rocblas_trsm_small_left_device_sharedBILi24ELi24ELb0EffPKfPfEv13rocblas_fill_18rocblas_operation_17rocblas_diagonal_iiT3_T4_lilT5_lili,"axG",@progbits,_ZL38rocblas_trsm_small_left_device_sharedBILi24ELi24ELb0EffPKfPfEv13rocblas_fill_18rocblas_operation_17rocblas_diagonal_iiT3_T4_lilT5_lili,comdat
	.globl	_ZL38rocblas_trsm_small_left_device_sharedBILi24ELi24ELb0EffPKfPfEv13rocblas_fill_18rocblas_operation_17rocblas_diagonal_iiT3_T4_lilT5_lili ; -- Begin function _ZL38rocblas_trsm_small_left_device_sharedBILi24ELi24ELb0EffPKfPfEv13rocblas_fill_18rocblas_operation_17rocblas_diagonal_iiT3_T4_lilT5_lili
	.p2align	8
	.type	_ZL38rocblas_trsm_small_left_device_sharedBILi24ELi24ELb0EffPKfPfEv13rocblas_fill_18rocblas_operation_17rocblas_diagonal_iiT3_T4_lilT5_lili,@function
_ZL38rocblas_trsm_small_left_device_sharedBILi24ELi24ELb0EffPKfPfEv13rocblas_fill_18rocblas_operation_17rocblas_diagonal_iiT3_T4_lilT5_lili: ; @_ZL38rocblas_trsm_small_left_device_sharedBILi24ELi24ELb0EffPKfPfEv13rocblas_fill_18rocblas_operation_17rocblas_diagonal_iiT3_T4_lilT5_lili
; %bb.0:
	s_load_dwordx4 s[8:11], s[4:5], 0x4
	s_load_dword s18, s[4:5], 0x14
	s_load_dwordx4 s[0:3], s[4:5], 0x30
	s_load_dwordx2 s[16:17], s[4:5], 0x40
	s_mov_b32 s27, 0
	s_waitcnt lgkmcnt(0)
	s_min_i32 s26, s10, 24
	v_cmp_gt_i32_e32 vcc, s26, v0
	s_and_saveexec_b64 s[20:21], vcc
	s_cbranch_execz .LBB26_15
; %bb.1:
	s_load_dword s22, s[4:5], 0x28
	s_load_dwordx4 s[12:15], s[4:5], 0x18
	s_cmp_gt_u32 s26, 1
	s_cselect_b64 s[24:25], -1, 0
	s_mov_b32 s19, 1
	s_waitcnt lgkmcnt(0)
	s_cmp_eq_u32 s22, 1
	s_cselect_b64 s[28:29], -1, 0
	s_and_b64 s[28:29], s[24:25], s[28:29]
	s_mov_b64 s[24:25], -1
	s_and_b64 vcc, exec, s[28:29]
	s_cbranch_vccz .LBB26_9
; %bb.2:
	s_add_i32 s24, s26, -2
	s_lshr_b32 s25, s24, 1
	s_add_i32 s25, s25, 1
	s_mov_b32 s23, 0
	s_cmp_lt_u32 s24, 14
	s_mov_b32 s24, s23
	s_cbranch_scc1 .LBB26_5
; %bb.3:
	s_mul_i32 s19, s1, s7
	s_mul_hi_u32 s23, s0, s7
	s_add_i32 s29, s23, s19
	s_mul_i32 s28, s0, s7
	s_and_b32 s27, s25, -8
	s_lshl_b64 s[28:29], s[28:29], 2
	s_lshl_b64 s[30:31], s[14:15], 2
	s_add_u32 s19, s28, s30
	s_addc_u32 s23, s29, s31
	s_add_u32 s19, s12, s19
	v_lshlrev_b32_e32 v1, 2, v0
	s_addc_u32 s23, s13, s23
	v_mov_b32_e32 v2, s23
	v_add_co_u32_e32 v1, vcc, s19, v1
	v_addc_co_u32_e32 v3, vcc, 0, v2, vcc
	v_add_co_u32_e32 v2, vcc, 56, v1
	v_addc_co_u32_e32 v3, vcc, 0, v3, vcc
	s_mov_b32 s19, 1
	s_mov_b32 s24, 0
	;; [unrolled: 1-line block ×3, first 2 shown]
.LBB26_4:                               ; =>This Inner Loop Header: Depth=1
	global_load_dwordx4 v[4:7], v[2:3], off offset:-56
	global_load_dwordx4 v[8:11], v[2:3], off offset:-40
	;; [unrolled: 1-line block ×4, first 2 shown]
	s_mul_i32 s28, s19, 24
	s_mul_i32 s29, s23, 24
	s_add_i32 s24, s24, 16
	s_add_i32 s19, s19, 16
	;; [unrolled: 1-line block ×3, first 2 shown]
	s_add_i32 s27, s27, -8
	v_add_co_u32_e32 v2, vcc, 64, v2
	v_add_lshl_u32 v1, s29, v0, 2
	v_add_lshl_u32 v20, s28, v0, 2
	s_add_i32 s30, s28, 48
	s_add_i32 s31, s29, 48
	;; [unrolled: 1-line block ×12, first 2 shown]
	s_addk_i32 s28, 0x150
	s_addk_i32 s29, 0x150
	v_addc_co_u32_e32 v3, vcc, 0, v3, vcc
	s_cmp_lg_u32 s27, 0
	v_add_lshl_u32 v21, s31, v0, 2
	v_add_lshl_u32 v22, s30, v0, 2
	;; [unrolled: 1-line block ×14, first 2 shown]
	s_waitcnt vmcnt(3)
	ds_write_b32 v1, v4
	ds_write_b32 v20, v5
	ds_write_b32 v21, v6
	ds_write_b32 v22, v7
	s_waitcnt vmcnt(2)
	ds_write_b32 v23, v8
	ds_write_b32 v24, v9
	ds_write_b32 v25, v10
	ds_write_b32 v26, v11
	;; [unrolled: 5-line block ×4, first 2 shown]
	s_cbranch_scc1 .LBB26_4
.LBB26_5:
	s_and_b32 s27, s25, 7
	s_cmp_eq_u32 s27, 0
	s_mov_b32 s25, 0
	s_cbranch_scc1 .LBB26_8
; %bb.6:
	s_mul_i32 s28, s1, s7
	s_mul_hi_u32 s29, s0, s7
	s_add_i32 s29, s29, s28
	s_mul_i32 s28, s0, s7
	s_lshl_b64 s[28:29], s[28:29], 2
	s_lshl_b64 s[30:31], s[14:15], 2
	s_add_u32 s28, s28, s30
	s_addc_u32 s29, s29, s31
	s_lshl_b64 s[24:25], s[24:25], 2
	s_add_u32 s24, s12, s24
	s_addc_u32 s25, s13, s25
	s_add_u32 s24, s24, s28
	v_lshlrev_b32_e32 v1, 2, v0
	s_addc_u32 s25, s25, s29
	v_mov_b32_e32 v3, s25
	v_add_co_u32_e32 v2, vcc, s24, v1
	v_addc_co_u32_e32 v3, vcc, 0, v3, vcc
	s_lshl_b32 s24, s27, 3
.LBB26_7:                               ; =>This Inner Loop Header: Depth=1
	global_load_dwordx2 v[4:5], v[2:3], off
	s_mul_i32 s25, s19, 24
	s_mul_i32 s27, s23, 24
	s_add_i32 s19, s19, 2
	s_add_i32 s23, s23, 2
	v_add_co_u32_e32 v2, vcc, 8, v2
	s_add_i32 s24, s24, -8
	v_addc_co_u32_e32 v3, vcc, 0, v3, vcc
	v_add_lshl_u32 v1, s27, v0, 2
	s_cmp_lg_u32 s24, 0
	v_add_lshl_u32 v6, s25, v0, 2
	s_waitcnt vmcnt(0)
	ds_write_b32 v1, v4
	ds_write_b32 v6, v5
	s_cbranch_scc1 .LBB26_7
.LBB26_8:
	s_and_b32 s27, s26, -2
	s_cmp_lg_u32 s26, s27
	s_cselect_b64 s[24:25], -1, 0
.LBB26_9:
	s_and_b64 vcc, exec, s[24:25]
	s_cbranch_vccz .LBB26_12
; %bb.10:
	s_ashr_i32 s23, s22, 31
	s_mul_i32 s1, s1, s7
	s_mul_hi_u32 s19, s0, s7
	s_add_i32 s1, s19, s1
	s_mul_hi_u32 s19, s22, s27
	s_mul_i32 s24, s23, s27
	s_mul_i32 s0, s0, s7
	s_add_i32 s25, s19, s24
	s_mul_i32 s24, s22, s27
	s_lshl_b64 s[0:1], s[0:1], 2
	s_lshl_b64 s[24:25], s[24:25], 2
	s_add_u32 s19, s0, s24
	s_addc_u32 s24, s1, s25
	s_lshl_b64 s[0:1], s[14:15], 2
	s_add_u32 s0, s19, s0
	s_addc_u32 s1, s24, s1
	s_add_u32 s0, s12, s0
	v_lshlrev_b32_e32 v1, 2, v0
	s_addc_u32 s1, s13, s1
	v_mov_b32_e32 v3, s1
	v_add_co_u32_e32 v2, vcc, s0, v1
	s_lshl_b64 s[0:1], s[22:23], 2
	s_mul_i32 s13, s27, 0x60
	v_addc_co_u32_e32 v3, vcc, 0, v3, vcc
	s_sub_i32 s12, s26, s27
	v_lshl_add_u32 v1, v0, 2, s13
	v_mov_b32_e32 v4, s1
.LBB26_11:                              ; =>This Inner Loop Header: Depth=1
	global_load_dword v5, v[2:3], off
	v_add_co_u32_e32 v2, vcc, s0, v2
	s_add_i32 s12, s12, -1
	v_addc_co_u32_e32 v3, vcc, v3, v4, vcc
	s_cmp_eq_u32 s12, 0
	s_waitcnt vmcnt(0)
	ds_write_b32 v1, v5
	v_add_u32_e32 v1, 0x60, v1
	s_cbranch_scc0 .LBB26_11
.LBB26_12:
	v_mul_u32_u24_e32 v1, 25, v0
	s_cmpk_lg_i32 s9, 0x84
	v_lshlrev_b32_e32 v1, 2, v1
	v_mov_b32_e32 v2, 1.0
	s_cbranch_scc0 .LBB26_14
; %bb.13:
	ds_read_b32 v2, v1
	s_waitcnt lgkmcnt(0)
	v_div_scale_f32 v3, s[0:1], v2, v2, 1.0
	v_rcp_f32_e32 v4, v3
	v_div_scale_f32 v5, vcc, 1.0, v2, 1.0
	v_fma_f32 v6, -v3, v4, 1.0
	v_fmac_f32_e32 v4, v6, v4
	v_mul_f32_e32 v6, v5, v4
	v_fma_f32 v7, -v3, v6, v5
	v_fmac_f32_e32 v6, v7, v4
	v_fma_f32 v3, -v3, v6, v5
	v_div_fmas_f32 v3, v3, v4, v6
	v_div_fixup_f32 v2, v3, v2, 1.0
.LBB26_14:
	ds_write_b32 v1, v2
.LBB26_15:
	s_or_b64 exec, exec, s[20:21]
	s_load_dword s9, s[4:5], 0x60
	s_load_dword s22, s[4:5], 0x48
	s_load_dwordx2 s[0:1], s[4:5], 0x50
	s_mul_i32 s4, s6, 0xffffffe8
	s_add_i32 s4, s4, s11
	s_waitcnt lgkmcnt(0)
	s_add_i32 s9, s9, -1
	s_ashr_i32 s11, s22, 31
	s_cmp_ge_u32 s6, s9
	s_cselect_b32 s9, s4, 24
	s_mul_i32 s4, s6, 24
	s_ashr_i32 s5, s4, 31
	s_cmp_gt_i32 s10, 0
	v_cmp_gt_i32_e32 vcc, s9, v0
	s_cselect_b64 s[12:13], -1, 0
	s_mov_b32 s9, 0
	s_and_b64 s[12:13], vcc, s[12:13]
	s_and_saveexec_b64 s[14:15], s[12:13]
	s_cbranch_execz .LBB26_27
; %bb.16:
	s_cmp_lt_i32 s10, 2
	s_mov_b64 s[20:21], -1
	s_cbranch_scc1 .LBB26_24
; %bb.17:
	s_add_i32 s20, s26, -2
	s_lshr_b32 s21, s20, 1
	s_add_i32 s21, s21, 1
	s_mov_b32 s19, s18
	s_mov_b32 s6, 1
	s_cmp_lt_u32 s20, 14
	s_mov_b32 s20, s9
	s_cbranch_scc1 .LBB26_20
; %bb.18:
	s_mul_i32 s9, s1, s7
	s_mul_hi_u32 s20, s0, s7
	s_add_i32 s25, s20, s9
	s_mul_i32 s24, s0, s7
	s_lshl_b64 s[28:29], s[4:5], 2
	v_lshlrev_b32_e32 v1, 2, v0
	s_and_b32 s23, s21, -8
	s_lshl_b64 s[24:25], s[24:25], 2
	v_mov_b32_e32 v2, s29
	v_add_co_u32_e32 v1, vcc, s28, v1
	s_lshl_b64 s[28:29], s[16:17], 2
	s_add_u32 s9, s2, s28
	s_addc_u32 s20, s3, s29
	s_add_u32 s24, s9, s24
	s_addc_u32 s25, s20, s25
	v_addc_co_u32_e32 v4, vcc, 0, v2, vcc
	v_pk_mov_b32 v[2:3], s[24:25], s[24:25] op_sel:[0,1]
	v_mad_u64_u32 v[2:3], s[24:25], v1, s22, v[2:3]
	v_mul_lo_u32 v1, v1, s11
	v_mul_lo_u32 v4, v4, s22
	v_add3_u32 v1, v4, v3, v1
	v_add_co_u32_e32 v2, vcc, 56, v2
	v_addc_co_u32_e32 v3, vcc, 0, v1, vcc
	s_mov_b32 s20, 0
	s_mov_b32 s9, 0
.LBB26_19:                              ; =>This Inner Loop Header: Depth=1
	global_load_dwordx4 v[4:7], v[2:3], off offset:-56
	global_load_dwordx4 v[8:11], v[2:3], off offset:-40
	;; [unrolled: 1-line block ×4, first 2 shown]
	s_mul_i32 s24, s6, 24
	s_mul_i32 s25, s9, 24
	s_add_i32 s20, s20, 16
	s_add_i32 s6, s6, 16
	;; [unrolled: 1-line block ×3, first 2 shown]
	s_add_i32 s23, s23, -8
	v_add_co_u32_e32 v2, vcc, 64, v2
	v_add_lshl_u32 v1, s25, v0, 2
	v_add_lshl_u32 v20, s24, v0, 2
	s_add_i32 s27, s24, 48
	s_add_i32 s28, s25, 48
	;; [unrolled: 1-line block ×12, first 2 shown]
	s_addk_i32 s24, 0x150
	s_addk_i32 s25, 0x150
	v_addc_co_u32_e32 v3, vcc, 0, v3, vcc
	s_cmp_lg_u32 s23, 0
	v_add_lshl_u32 v21, s28, v0, 2
	v_add_lshl_u32 v22, s27, v0, 2
	;; [unrolled: 1-line block ×14, first 2 shown]
	s_waitcnt vmcnt(3)
	v_pk_mul_f32 v[4:5], v[4:5], s[18:19]
	v_pk_mul_f32 v[6:7], v[6:7], s[18:19]
	s_waitcnt vmcnt(2)
	v_pk_mul_f32 v[8:9], v[8:9], s[18:19]
	v_pk_mul_f32 v[10:11], v[10:11], s[18:19]
	;; [unrolled: 3-line block ×4, first 2 shown]
	ds_write_b32 v1, v4 offset:2304
	ds_write_b32 v20, v5 offset:2304
	;; [unrolled: 1-line block ×16, first 2 shown]
	s_cbranch_scc1 .LBB26_19
.LBB26_20:
	s_and_b32 s23, s21, 7
	s_cmp_eq_u32 s23, 0
	s_mov_b32 s21, 0
	s_cbranch_scc1 .LBB26_23
; %bb.21:
	s_mul_i32 s24, s1, s7
	s_mul_hi_u32 s25, s0, s7
	s_add_i32 s25, s25, s24
	s_mul_i32 s24, s0, s7
	s_lshl_b64 s[28:29], s[4:5], 2
	v_lshlrev_b32_e32 v1, 2, v0
	s_lshl_b64 s[24:25], s[24:25], 2
	v_mov_b32_e32 v2, s29
	v_add_co_u32_e32 v1, vcc, s28, v1
	s_lshl_b64 s[28:29], s[16:17], 2
	s_lshl_b64 s[20:21], s[20:21], 2
	s_add_u32 s20, s2, s20
	s_addc_u32 s21, s3, s21
	s_add_u32 s20, s20, s28
	s_addc_u32 s21, s21, s29
	;; [unrolled: 2-line block ×3, first 2 shown]
	v_addc_co_u32_e32 v4, vcc, 0, v2, vcc
	v_pk_mov_b32 v[2:3], s[20:21], s[20:21] op_sel:[0,1]
	v_mad_u64_u32 v[2:3], s[20:21], v1, s22, v[2:3]
	v_mul_lo_u32 v1, v1, s11
	v_mul_lo_u32 v4, v4, s22
	v_add3_u32 v3, v4, v3, v1
	s_lshl_b32 s20, s23, 3
.LBB26_22:                              ; =>This Inner Loop Header: Depth=1
	global_load_dwordx2 v[4:5], v[2:3], off
	s_mul_i32 s21, s6, 24
	s_mul_i32 s23, s9, 24
	s_add_i32 s6, s6, 2
	s_add_i32 s9, s9, 2
	v_add_co_u32_e32 v2, vcc, 8, v2
	s_add_i32 s20, s20, -8
	v_addc_co_u32_e32 v3, vcc, 0, v3, vcc
	v_add_lshl_u32 v1, s23, v0, 2
	s_cmp_lg_u32 s20, 0
	v_add_lshl_u32 v6, s21, v0, 2
	s_waitcnt vmcnt(0)
	v_pk_mul_f32 v[4:5], v[4:5], s[18:19]
	ds_write_b32 v1, v4 offset:2304
	ds_write_b32 v6, v5 offset:2304
	s_cbranch_scc1 .LBB26_22
.LBB26_23:
	s_and_b32 s9, s26, 30
	s_cmp_lg_u32 s26, s9
	s_cselect_b64 s[20:21], -1, 0
.LBB26_24:
	s_and_b64 vcc, exec, s[20:21]
	s_cbranch_vccz .LBB26_27
; %bb.25:
	s_mul_i32 s19, s9, 0x60
	v_lshl_add_u32 v1, v0, 2, s19
	s_mul_i32 s19, s1, s7
	s_mul_hi_u32 s20, s0, s7
	s_add_i32 s21, s20, s19
	s_mul_i32 s20, s0, s7
	s_lshl_b64 s[24:25], s[4:5], 2
	v_lshlrev_b32_e32 v2, 2, v0
	s_sub_i32 s6, s26, s9
	s_lshl_b64 s[20:21], s[20:21], 2
	v_mov_b32_e32 v3, s25
	v_add_co_u32_e32 v4, vcc, s24, v2
	s_lshl_b64 s[24:25], s[16:17], 2
	s_lshl_b32 s9, s9, 2
	s_add_u32 s9, s2, s9
	s_addc_u32 s19, s3, 0
	s_add_u32 s9, s9, s24
	s_addc_u32 s19, s19, s25
	;; [unrolled: 2-line block ×3, first 2 shown]
	v_addc_co_u32_e32 v5, vcc, 0, v3, vcc
	v_pk_mov_b32 v[2:3], s[20:21], s[20:21] op_sel:[0,1]
	v_mad_u64_u32 v[2:3], s[20:21], v4, s22, v[2:3]
	v_mul_lo_u32 v4, v4, s11
	v_mul_lo_u32 v5, v5, s22
	v_add_u32_e32 v1, 0x900, v1
	v_add3_u32 v3, v5, v3, v4
.LBB26_26:                              ; =>This Inner Loop Header: Depth=1
	global_load_dword v4, v[2:3], off
	s_add_i32 s6, s6, -1
	v_add_co_u32_e32 v2, vcc, 4, v2
	v_addc_co_u32_e32 v3, vcc, 0, v3, vcc
	s_cmp_lg_u32 s6, 0
	s_waitcnt vmcnt(0)
	v_mul_f32_e32 v4, s18, v4
	ds_write_b32 v1, v4
	v_add_u32_e32 v1, 0x60, v1
	s_cbranch_scc1 .LBB26_26
.LBB26_27:
	s_or_b64 exec, exec, s[14:15]
	s_cmpk_eq_i32 s8, 0x6f
	s_mov_b64 s[8:9], -1
	s_waitcnt lgkmcnt(0)
	; wave barrier
	s_waitcnt lgkmcnt(0)
	s_cbranch_scc1 .LBB26_48
; %bb.28:
	s_cmp_gt_i32 s10, 23
	s_cselect_b64 s[8:9], -1, 0
	s_mov_b32 s6, 0
	s_and_b64 vcc, exec, s[8:9]
	s_cbranch_vccz .LBB26_30
; %bb.29:
	v_lshlrev_b32_e32 v1, 2, v0
	v_add_u32_e32 v38, 0x800, v1
	ds_read2_b32 v[14:15], v38 offset0:64 offset1:88
	ds_read2_b32 v[24:25], v38 offset0:112 offset1:136
	;; [unrolled: 1-line block ×4, first 2 shown]
	v_add_u32_e32 v39, 0xc00, v1
	v_add_u32_e32 v40, 0xe00, v1
	v_mov_b32_e32 v12, 0
	ds_read2_b32 v[32:33], v39 offset1:24
	ds_read2_b32 v[34:35], v39 offset0:48 offset1:72
	ds_read2_b32 v[36:37], v39 offset0:96 offset1:120
	ds_read2_b32 v[10:11], v39 offset0:144 offset1:168
	ds_read2_b32 v[8:9], v39 offset0:192 offset1:216
	ds_read2_b32 v[6:7], v40 offset0:112 offset1:136
	v_add_u32_e32 v1, 0x1000, v1
	ds_read_b32 v13, v12
	ds_read_b64 v[16:17], v12 offset:96
	ds_read2_b32 v[4:5], v1 offset0:32 offset1:56
	ds_read2_b32 v[2:3], v1 offset0:80 offset1:104
	ds_read_b96 v[20:22], v12 offset:192
	s_waitcnt lgkmcnt(4)
	v_mul_f32_e32 v14, v13, v14
	s_waitcnt lgkmcnt(3)
	v_fma_f32 v13, -v14, v16, v15
	v_mul_f32_e32 v13, v17, v13
	ds_read_b128 v[16:19], v12 offset:288
	s_waitcnt lgkmcnt(1)
	v_fma_f32 v15, -v14, v20, v24
	v_fma_f32 v15, -v13, v21, v15
	v_mul_f32_e32 v15, v22, v15
	ds_read_b128 v[20:23], v12 offset:384
	s_waitcnt lgkmcnt(1)
	v_fma_f32 v16, -v14, v16, v25
	v_fma_f32 v16, -v13, v17, v16
	;; [unrolled: 1-line block ×3, first 2 shown]
	v_mul_f32_e32 v16, v19, v16
	ds_write2_b32 v38, v14, v13 offset0:64 offset1:88
	ds_write2_b32 v38, v15, v16 offset0:112 offset1:136
	ds_read_b32 v18, v12 offset:400
	ds_read_b128 v[24:27], v12 offset:480
	s_waitcnt lgkmcnt(4)
	v_fma_f32 v17, -v14, v20, v28
	v_fma_f32 v17, -v13, v21, v17
	;; [unrolled: 1-line block ×4, first 2 shown]
	s_waitcnt lgkmcnt(0)
	v_fma_f32 v20, -v14, v24, v29
	v_mul_f32_e32 v17, v18, v17
	ds_read_b64 v[18:19], v12 offset:496
	v_fma_f32 v20, -v13, v25, v20
	v_fma_f32 v24, -v15, v26, v20
	ds_read_b128 v[20:23], v12 offset:576
	v_fma_f32 v24, -v16, v27, v24
	s_waitcnt lgkmcnt(1)
	v_fma_f32 v18, -v17, v18, v24
	v_mul_f32_e32 v18, v19, v18
	ds_read_b128 v[24:27], v12 offset:672
	s_waitcnt lgkmcnt(1)
	v_fma_f32 v19, -v14, v20, v30
	ds_read_b96 v[28:30], v12 offset:592
	v_fma_f32 v19, -v13, v21, v19
	v_fma_f32 v19, -v15, v22, v19
	;; [unrolled: 1-line block ×3, first 2 shown]
	ds_read_b128 v[20:23], v12 offset:688
	s_waitcnt lgkmcnt(2)
	v_fma_f32 v24, -v14, v24, v31
	v_fma_f32 v24, -v13, v25, v24
	v_fma_f32 v24, -v15, v26, v24
	s_waitcnt lgkmcnt(1)
	v_fma_f32 v19, -v17, v28, v19
	v_fma_f32 v28, -v16, v27, v24
	ds_read_b128 v[24:27], v12 offset:768
	v_fma_f32 v19, -v18, v29, v19
	s_waitcnt lgkmcnt(1)
	v_fma_f32 v20, -v17, v20, v28
	v_mul_f32_e32 v19, v30, v19
	v_fma_f32 v20, -v18, v21, v20
	v_fma_f32 v20, -v19, v22, v20
	v_mul_f32_e32 v41, v23, v20
	ds_write2_b32 v38, v17, v18 offset0:160 offset1:184
	ds_write2_b32 v38, v19, v41 offset0:208 offset1:232
	ds_read_b128 v[20:23], v12 offset:784
	ds_read_b32 v28, v12 offset:800
	s_waitcnt lgkmcnt(4)
	v_fma_f32 v24, -v14, v24, v32
	v_fma_f32 v24, -v13, v25, v24
	;; [unrolled: 1-line block ×4, first 2 shown]
	s_waitcnt lgkmcnt(1)
	v_fma_f32 v20, -v17, v20, v24
	ds_read_b128 v[24:27], v12 offset:864
	v_fma_f32 v20, -v18, v21, v20
	v_fma_f32 v20, -v19, v22, v20
	;; [unrolled: 1-line block ×3, first 2 shown]
	s_waitcnt lgkmcnt(1)
	v_mul_f32_e32 v32, v28, v20
	ds_read_b128 v[20:23], v12 offset:880
	s_waitcnt lgkmcnt(1)
	v_fma_f32 v24, -v14, v24, v33
	v_fma_f32 v24, -v13, v25, v24
	;; [unrolled: 1-line block ×4, first 2 shown]
	ds_read_b64 v[28:29], v12 offset:896
	s_waitcnt lgkmcnt(1)
	v_fma_f32 v20, -v17, v20, v24
	ds_read_b128 v[24:27], v12 offset:960
	v_fma_f32 v20, -v18, v21, v20
	v_fma_f32 v20, -v19, v22, v20
	;; [unrolled: 1-line block ×3, first 2 shown]
	s_waitcnt lgkmcnt(1)
	v_fma_f32 v20, -v32, v28, v20
	v_mul_f32_e32 v33, v29, v20
	ds_read_b128 v[20:23], v12 offset:976
	s_waitcnt lgkmcnt(1)
	v_fma_f32 v24, -v14, v24, v34
	v_fma_f32 v24, -v13, v25, v24
	;; [unrolled: 1-line block ×4, first 2 shown]
	ds_read_b96 v[24:26], v12 offset:992
	s_waitcnt lgkmcnt(1)
	v_fma_f32 v20, -v17, v20, v27
	v_fma_f32 v20, -v18, v21, v20
	;; [unrolled: 1-line block ×4, first 2 shown]
	ds_read_b128 v[20:23], v12 offset:1056
	s_waitcnt lgkmcnt(1)
	v_fma_f32 v24, -v32, v24, v27
	v_fma_f32 v24, -v33, v25, v24
	v_mul_f32_e32 v34, v26, v24
	ds_read_b128 v[24:27], v12 offset:1072
	s_waitcnt lgkmcnt(1)
	v_fma_f32 v20, -v14, v20, v35
	v_fma_f32 v20, -v13, v21, v20
	;; [unrolled: 1-line block ×4, first 2 shown]
	s_waitcnt lgkmcnt(0)
	v_fma_f32 v24, -v17, v24, v20
	ds_read_b128 v[20:23], v12 offset:1088
	v_fma_f32 v24, -v18, v25, v24
	v_fma_f32 v24, -v19, v26, v24
	;; [unrolled: 1-line block ×3, first 2 shown]
	ds_read_b128 v[24:27], v12 offset:1152
	s_waitcnt lgkmcnt(1)
	v_fma_f32 v20, -v32, v20, v28
	v_fma_f32 v20, -v33, v21, v20
	;; [unrolled: 1-line block ×3, first 2 shown]
	v_mul_f32_e32 v35, v23, v20
	ds_write2_b32 v39, v32, v33 offset1:24
	ds_write2_b32 v39, v34, v35 offset0:48 offset1:72
	ds_read_b128 v[20:23], v12 offset:1168
	ds_read_b128 v[28:31], v12 offset:1184
	s_waitcnt lgkmcnt(4)
	v_fma_f32 v24, -v14, v24, v36
	v_fma_f32 v24, -v13, v25, v24
	;; [unrolled: 1-line block ×4, first 2 shown]
	s_waitcnt lgkmcnt(1)
	v_fma_f32 v20, -v17, v20, v24
	v_fma_f32 v20, -v18, v21, v20
	;; [unrolled: 1-line block ×4, first 2 shown]
	s_waitcnt lgkmcnt(0)
	v_fma_f32 v24, -v32, v28, v20
	ds_read_b32 v25, v12 offset:1200
	ds_read_b128 v[20:23], v12 offset:1248
	v_fma_f32 v24, -v33, v29, v24
	v_fma_f32 v24, -v34, v30, v24
	;; [unrolled: 1-line block ×3, first 2 shown]
	s_waitcnt lgkmcnt(1)
	v_mul_f32_e32 v36, v25, v24
	ds_read_b128 v[24:27], v12 offset:1264
	s_waitcnt lgkmcnt(1)
	v_fma_f32 v20, -v14, v20, v37
	v_fma_f32 v20, -v13, v21, v20
	;; [unrolled: 1-line block ×4, first 2 shown]
	ds_read_b128 v[20:23], v12 offset:1280
	s_waitcnt lgkmcnt(1)
	v_fma_f32 v24, -v17, v24, v28
	v_fma_f32 v24, -v18, v25, v24
	;; [unrolled: 1-line block ×4, first 2 shown]
	ds_read_b64 v[28:29], v12 offset:1296
	s_waitcnt lgkmcnt(1)
	v_fma_f32 v20, -v32, v20, v24
	ds_read_b128 v[24:27], v12 offset:1344
	v_fma_f32 v20, -v33, v21, v20
	v_fma_f32 v20, -v34, v22, v20
	;; [unrolled: 1-line block ×3, first 2 shown]
	s_waitcnt lgkmcnt(1)
	v_fma_f32 v20, -v36, v28, v20
	v_mul_f32_e32 v37, v29, v20
	ds_read_b128 v[20:23], v12 offset:1360
	s_waitcnt lgkmcnt(1)
	v_fma_f32 v10, -v14, v24, v10
	v_fma_f32 v10, -v13, v25, v10
	;; [unrolled: 1-line block ×4, first 2 shown]
	ds_read_b128 v[24:27], v12 offset:1376
	s_waitcnt lgkmcnt(1)
	v_fma_f32 v10, -v17, v20, v10
	v_fma_f32 v10, -v18, v21, v10
	;; [unrolled: 1-line block ×4, first 2 shown]
	ds_read_b96 v[28:30], v12 offset:1392
	ds_read_b128 v[20:23], v12 offset:1440
	s_waitcnt lgkmcnt(2)
	v_fma_f32 v10, -v32, v24, v10
	v_fma_f32 v10, -v33, v25, v10
	;; [unrolled: 1-line block ×4, first 2 shown]
	s_waitcnt lgkmcnt(1)
	v_fma_f32 v10, -v36, v28, v10
	v_fma_f32 v10, -v37, v29, v10
	ds_read_b128 v[24:27], v12 offset:1456
	v_mul_f32_e32 v38, v30, v10
	s_waitcnt lgkmcnt(1)
	v_fma_f32 v10, -v14, v20, v11
	v_fma_f32 v10, -v13, v21, v10
	v_fma_f32 v10, -v15, v22, v10
	v_fma_f32 v10, -v16, v23, v10
	ds_read_b128 v[20:23], v12 offset:1472
	s_waitcnt lgkmcnt(1)
	v_fma_f32 v10, -v17, v24, v10
	v_fma_f32 v10, -v18, v25, v10
	v_fma_f32 v10, -v19, v26, v10
	v_fma_f32 v10, -v41, v27, v10
	ds_read_b128 v[24:27], v12 offset:1488
	;; [unrolled: 6-line block ×3, first 2 shown]
	s_waitcnt lgkmcnt(1)
	v_fma_f32 v10, -v36, v24, v10
	v_fma_f32 v10, -v37, v25, v10
	;; [unrolled: 1-line block ×3, first 2 shown]
	v_mul_f32_e32 v42, v27, v10
	ds_write2_b32 v39, v36, v37 offset0:96 offset1:120
	ds_write2_b32 v39, v38, v42 offset0:144 offset1:168
	ds_read_b128 v[24:27], v12 offset:1552
	ds_read_b128 v[28:31], v12 offset:1568
	s_waitcnt lgkmcnt(4)
	v_fma_f32 v8, -v14, v20, v8
	v_fma_f32 v8, -v13, v21, v8
	;; [unrolled: 1-line block ×4, first 2 shown]
	s_waitcnt lgkmcnt(1)
	v_fma_f32 v8, -v17, v24, v8
	v_fma_f32 v8, -v18, v25, v8
	;; [unrolled: 1-line block ×4, first 2 shown]
	ds_read_b128 v[20:23], v12 offset:1584
	ds_read_b32 v10, v12 offset:1600
	s_waitcnt lgkmcnt(2)
	v_fma_f32 v8, -v32, v28, v8
	v_fma_f32 v8, -v33, v29, v8
	v_fma_f32 v8, -v34, v30, v8
	v_fma_f32 v8, -v35, v31, v8
	ds_read_b128 v[24:27], v12 offset:1632
	s_waitcnt lgkmcnt(2)
	v_fma_f32 v8, -v36, v20, v8
	v_fma_f32 v8, -v37, v21, v8
	v_fma_f32 v8, -v38, v22, v8
	v_fma_f32 v8, -v42, v23, v8
	ds_read_b128 v[20:23], v12 offset:1648
	s_waitcnt lgkmcnt(2)
	v_mul_f32_e32 v43, v10, v8
	s_waitcnt lgkmcnt(1)
	v_fma_f32 v8, -v14, v24, v9
	v_fma_f32 v8, -v13, v25, v8
	;; [unrolled: 1-line block ×4, first 2 shown]
	s_waitcnt lgkmcnt(0)
	v_fma_f32 v20, -v17, v20, v8
	ds_read_b128 v[8:11], v12 offset:1664
	v_fma_f32 v20, -v18, v21, v20
	v_fma_f32 v20, -v19, v22, v20
	;; [unrolled: 1-line block ×3, first 2 shown]
	ds_read_b128 v[20:23], v12 offset:1680
	s_waitcnt lgkmcnt(1)
	v_fma_f32 v8, -v32, v8, v24
	v_fma_f32 v8, -v33, v9, v8
	;; [unrolled: 1-line block ×4, first 2 shown]
	s_waitcnt lgkmcnt(0)
	v_fma_f32 v8, -v36, v20, v8
	ds_read_b64 v[24:25], v12 offset:1696
	v_fma_f32 v8, -v37, v21, v8
	v_fma_f32 v20, -v38, v22, v8
	ds_read_b128 v[8:11], v12 offset:1728
	v_fma_f32 v20, -v42, v23, v20
	s_waitcnt lgkmcnt(1)
	v_fma_f32 v20, -v43, v24, v20
	v_mul_f32_e32 v44, v25, v20
	ds_read_b128 v[20:23], v12 offset:1744
	s_waitcnt lgkmcnt(1)
	v_fma_f32 v6, -v14, v8, v6
	v_fma_f32 v6, -v13, v9, v6
	;; [unrolled: 1-line block ×4, first 2 shown]
	ds_read_b128 v[8:11], v12 offset:1760
	s_waitcnt lgkmcnt(1)
	v_fma_f32 v6, -v17, v20, v6
	v_fma_f32 v6, -v18, v21, v6
	;; [unrolled: 1-line block ×4, first 2 shown]
	ds_read_b128 v[20:23], v12 offset:1776
	ds_read_b96 v[24:26], v12 offset:1792
	s_waitcnt lgkmcnt(2)
	v_fma_f32 v6, -v32, v8, v6
	v_fma_f32 v6, -v33, v9, v6
	;; [unrolled: 1-line block ×4, first 2 shown]
	s_waitcnt lgkmcnt(1)
	v_fma_f32 v6, -v36, v20, v6
	v_fma_f32 v6, -v37, v21, v6
	ds_read_b128 v[8:11], v12 offset:1824
	v_fma_f32 v6, -v38, v22, v6
	v_fma_f32 v6, -v42, v23, v6
	s_waitcnt lgkmcnt(1)
	v_fma_f32 v6, -v43, v24, v6
	v_fma_f32 v6, -v44, v25, v6
	ds_write2_b32 v39, v43, v44 offset0:192 offset1:216
	v_mul_f32_e32 v39, v26, v6
	s_waitcnt lgkmcnt(1)
	v_fma_f32 v6, -v14, v8, v7
	ds_read_b128 v[20:23], v12 offset:1840
	ds_read_b128 v[24:27], v12 offset:1856
	;; [unrolled: 1-line block ×3, first 2 shown]
	v_fma_f32 v6, -v13, v9, v6
	v_fma_f32 v6, -v15, v10, v6
	v_fma_f32 v6, -v16, v11, v6
	s_waitcnt lgkmcnt(2)
	v_fma_f32 v6, -v17, v20, v6
	v_fma_f32 v6, -v18, v21, v6
	v_fma_f32 v6, -v19, v22, v6
	v_fma_f32 v6, -v41, v23, v6
	s_waitcnt lgkmcnt(1)
	v_fma_f32 v6, -v32, v24, v6
	;; [unrolled: 5-line block ×3, first 2 shown]
	ds_read_b128 v[6:9], v12 offset:1888
	ds_read_b128 v[20:23], v12 offset:1920
	v_fma_f32 v10, -v37, v29, v10
	v_fma_f32 v10, -v38, v30, v10
	;; [unrolled: 1-line block ×3, first 2 shown]
	s_waitcnt lgkmcnt(1)
	v_fma_f32 v6, -v43, v6, v10
	v_fma_f32 v6, -v44, v7, v6
	;; [unrolled: 1-line block ×3, first 2 shown]
	v_mul_f32_e32 v24, v9, v6
	ds_read_b128 v[6:9], v12 offset:1936
	s_waitcnt lgkmcnt(1)
	v_fma_f32 v4, -v14, v20, v4
	v_fma_f32 v4, -v13, v21, v4
	v_fma_f32 v4, -v15, v22, v4
	v_fma_f32 v4, -v16, v23, v4
	ds_read_b128 v[20:23], v12 offset:1952
	s_waitcnt lgkmcnt(1)
	v_fma_f32 v4, -v17, v6, v4
	v_fma_f32 v4, -v18, v7, v4
	v_fma_f32 v4, -v19, v8, v4
	v_fma_f32 v4, -v41, v9, v4
	;; [unrolled: 6-line block ×3, first 2 shown]
	ds_read_b128 v[20:23], v12 offset:1984
	s_waitcnt lgkmcnt(1)
	v_fma_f32 v4, -v36, v6, v4
	v_fma_f32 v4, -v37, v7, v4
	ds_write2_b32 v40, v39, v24 offset0:112 offset1:136
	v_fma_f32 v4, -v38, v8, v4
	v_fma_f32 v4, -v42, v9, v4
	ds_read_b32 v10, v12 offset:2000
	ds_read_b128 v[6:9], v12 offset:2016
	s_waitcnt lgkmcnt(3)
	v_fma_f32 v4, -v43, v20, v4
	v_fma_f32 v4, -v44, v21, v4
	v_fma_f32 v4, -v39, v22, v4
	v_fma_f32 v4, -v24, v23, v4
	ds_read_b128 v[20:23], v12 offset:2032
	s_waitcnt lgkmcnt(2)
	v_mul_f32_e32 v25, v10, v4
	s_waitcnt lgkmcnt(1)
	v_fma_f32 v4, -v14, v6, v5
	v_fma_f32 v4, -v13, v7, v4
	;; [unrolled: 1-line block ×4, first 2 shown]
	ds_read_b128 v[4:7], v12 offset:2048
	s_waitcnt lgkmcnt(1)
	v_fma_f32 v8, -v17, v20, v8
	v_fma_f32 v8, -v18, v21, v8
	;; [unrolled: 1-line block ×4, first 2 shown]
	s_waitcnt lgkmcnt(0)
	v_fma_f32 v4, -v32, v4, v8
	ds_read_b128 v[8:11], v12 offset:2064
	v_fma_f32 v4, -v33, v5, v4
	v_fma_f32 v4, -v34, v6, v4
	;; [unrolled: 1-line block ×3, first 2 shown]
	ds_read_b128 v[4:7], v12 offset:2080
	s_waitcnt lgkmcnt(1)
	v_fma_f32 v8, -v36, v8, v20
	v_fma_f32 v8, -v37, v9, v8
	;; [unrolled: 1-line block ×4, first 2 shown]
	s_waitcnt lgkmcnt(0)
	v_fma_f32 v4, -v43, v4, v8
	ds_read_b64 v[8:9], v12 offset:2096
	v_fma_f32 v4, -v44, v5, v4
	v_fma_f32 v4, -v39, v6, v4
	;; [unrolled: 1-line block ×3, first 2 shown]
	ds_read_b128 v[4:7], v12 offset:2112
	s_waitcnt lgkmcnt(1)
	v_fma_f32 v8, -v25, v8, v10
	v_mul_f32_e32 v26, v9, v8
	ds_write2_b32 v1, v25, v26 offset0:32 offset1:56
	ds_read_b128 v[8:11], v12 offset:2128
	ds_read_b128 v[20:23], v12 offset:2144
	s_waitcnt lgkmcnt(3)
	v_fma_f32 v2, -v14, v4, v2
	v_fma_f32 v2, -v13, v5, v2
	;; [unrolled: 1-line block ×4, first 2 shown]
	s_waitcnt lgkmcnt(1)
	v_fma_f32 v2, -v17, v8, v2
	v_fma_f32 v2, -v18, v9, v2
	;; [unrolled: 1-line block ×4, first 2 shown]
	ds_read_b128 v[4:7], v12 offset:2160
	ds_read_b128 v[8:11], v12 offset:2176
	s_waitcnt lgkmcnt(2)
	v_fma_f32 v2, -v32, v20, v2
	v_fma_f32 v2, -v33, v21, v2
	;; [unrolled: 1-line block ×4, first 2 shown]
	s_waitcnt lgkmcnt(1)
	v_fma_f32 v2, -v36, v4, v2
	v_fma_f32 v2, -v37, v5, v2
	;; [unrolled: 1-line block ×4, first 2 shown]
	ds_read_b96 v[20:22], v12 offset:2192
	ds_read_b128 v[4:7], v12 offset:2208
	s_waitcnt lgkmcnt(2)
	v_fma_f32 v2, -v43, v8, v2
	v_fma_f32 v2, -v44, v9, v2
	v_fma_f32 v2, -v39, v10, v2
	v_fma_f32 v2, -v24, v11, v2
	s_waitcnt lgkmcnt(1)
	v_fma_f32 v2, -v25, v20, v2
	v_fma_f32 v2, -v26, v21, v2
	ds_read_b128 v[8:11], v12 offset:2224
	v_mul_f32_e32 v20, v22, v2
	s_waitcnt lgkmcnt(1)
	v_fma_f32 v2, -v14, v4, v3
	v_fma_f32 v2, -v13, v5, v2
	;; [unrolled: 1-line block ×4, first 2 shown]
	ds_read_b128 v[2:5], v12 offset:2240
	s_waitcnt lgkmcnt(1)
	v_fma_f32 v6, -v17, v8, v6
	v_fma_f32 v6, -v18, v9, v6
	;; [unrolled: 1-line block ×4, first 2 shown]
	s_waitcnt lgkmcnt(0)
	v_fma_f32 v2, -v32, v2, v6
	ds_read_b128 v[6:9], v12 offset:2256
	v_fma_f32 v2, -v33, v3, v2
	v_fma_f32 v2, -v34, v4, v2
	v_fma_f32 v10, -v35, v5, v2
	ds_read_b128 v[2:5], v12 offset:2272
	s_waitcnt lgkmcnt(1)
	v_fma_f32 v6, -v36, v6, v10
	v_fma_f32 v6, -v37, v7, v6
	;; [unrolled: 1-line block ×4, first 2 shown]
	ds_read_b128 v[6:9], v12 offset:2288
	s_waitcnt lgkmcnt(1)
	v_fma_f32 v2, -v43, v2, v10
	v_fma_f32 v2, -v44, v3, v2
	;; [unrolled: 1-line block ×4, first 2 shown]
	s_waitcnt lgkmcnt(0)
	v_fma_f32 v2, -v25, v6, v2
	v_fma_f32 v2, -v26, v7, v2
	;; [unrolled: 1-line block ×3, first 2 shown]
	v_mul_f32_e32 v2, v9, v2
	s_mov_b32 s6, 24
	ds_write2_b32 v1, v20, v2 offset0:80 offset1:104
.LBB26_30:
	s_cmp_lt_i32 s6, s26
	s_cbranch_scc0 .LBB26_47
; %bb.31:
	s_add_i32 s14, s6, 19
	s_cmp_ge_u32 s14, s26
	s_cbranch_scc1 .LBB26_36
; %bb.32:
	s_mul_i32 s15, s6, 24
	v_add_lshl_u32 v21, s15, v0, 2
	v_add_u32_e32 v1, 0x800, v21
	ds_read2_b32 v[18:19], v1 offset0:64 offset1:88
	ds_read2_b32 v[16:17], v1 offset0:112 offset1:136
	;; [unrolled: 1-line block ×4, first 2 shown]
	v_add_u32_e32 v1, 0xc00, v21
	ds_read2_b32 v[10:11], v1 offset1:24
	ds_read2_b32 v[8:9], v1 offset0:48 offset1:72
	ds_read2_b32 v[6:7], v1 offset0:96 offset1:120
	;; [unrolled: 1-line block ×4, first 2 shown]
	s_add_i32 s18, s15, 0x1c8
	v_add_lshl_u32 v1, s18, v0, 2
	ds_read_b32 v20, v21 offset:4032
	ds_read_b32 v1, v1 offset:2304
	s_andn2_b64 vcc, exec, s[8:9]
	s_cbranch_vccnz .LBB26_35
; %bb.33:
	v_mov_b32_e32 v22, 0x900
	s_mul_i32 s8, s6, 0x60
	v_lshl_or_b32 v22, v0, 2, v22
	s_mov_b32 s9, 0
.LBB26_34:                              ; =>This Inner Loop Header: Depth=1
	v_mov_b32_e32 v34, s8
	v_add_u32_e32 v35, 0x200, v34
	v_add_u32_e32 v42, 0x400, v34
	ds_read_b32 v23, v22
	ds_read2_b32 v[24:25], v34 offset1:24
	ds_read2_b32 v[26:27], v34 offset0:48 offset1:72
	ds_read2_b32 v[28:29], v34 offset0:96 offset1:120
	;; [unrolled: 1-line block ×9, first 2 shown]
	s_add_i32 s9, s9, 1
	s_add_i32 s8, s8, 4
	v_add_u32_e32 v22, 0x60, v22
	s_cmp_lt_u32 s9, s6
	s_waitcnt lgkmcnt(9)
	v_fma_f32 v18, -v23, v24, v18
	v_fma_f32 v19, -v23, v25, v19
	s_waitcnt lgkmcnt(8)
	v_fma_f32 v16, -v23, v26, v16
	v_fma_f32 v17, -v23, v27, v17
	;; [unrolled: 3-line block ×10, first 2 shown]
	s_cbranch_scc1 .LBB26_34
.LBB26_35:
	s_mul_i32 s8, s6, 0x64
	v_mov_b32_e32 v32, s8
	ds_read2_b32 v[30:31], v32 offset1:100
	s_add_i32 s9, s15, 24
	s_add_i32 s18, s9, s6
	s_lshl_b32 s18, s18, 2
	v_add_u32_e32 v21, 0x900, v21
	s_waitcnt lgkmcnt(0)
	v_mul_f32_e32 v30, v30, v18
	v_mov_b32_e32 v18, s18
	s_add_i32 s18, s15, 48
	s_add_i32 s19, s18, s6
	s_lshl_b32 s19, s19, 2
	ds_read_b64 v[26:27], v18
	v_mov_b32_e32 v18, s19
	ds_read_b96 v[22:24], v18
	ds_write_b32 v21, v30
	s_add_i32 s8, s6, 20
	s_waitcnt lgkmcnt(2)
	v_fma_f32 v18, -v30, v26, v19
	v_mul_f32_e32 v21, v27, v18
	s_waitcnt lgkmcnt(1)
	v_fma_f32 v16, -v30, v22, v16
	v_add_lshl_u32 v18, s9, v0, 2
	v_fma_f32 v16, -v21, v23, v16
	s_add_i32 s9, s15, 0x48
	v_mul_f32_e32 v33, v24, v16
	v_add_lshl_u32 v16, s18, v0, 2
	s_add_i32 s18, s9, s6
	s_lshl_b32 s18, s18, 2
	ds_write_b32 v16, v33 offset:2304
	v_mov_b32_e32 v16, s18
	ds_read_b128 v[22:25], v16
	s_add_i32 s18, s15, 0x60
	s_or_b32 s19, s18, s6
	s_lshl_b32 s19, s19, 2
	v_mov_b32_e32 v16, s19
	ds_read_b128 v[26:29], v16
	s_waitcnt lgkmcnt(1)
	v_fma_f32 v16, -v30, v22, v17
	v_fma_f32 v16, -v21, v23, v16
	;; [unrolled: 1-line block ×3, first 2 shown]
	v_mul_f32_e32 v34, v25, v16
	v_add_lshl_u32 v16, s9, v0, 2
	s_add_i32 s9, s15, 0x78
	s_add_i32 s19, s9, s6
	s_lshl_b32 s19, s19, 2
	v_mov_b32_e32 v22, s19
	ds_write_b32 v18, v21 offset:2304
	ds_write_b32 v16, v34 offset:2304
	s_waitcnt lgkmcnt(2)
	v_fma_f32 v14, -v30, v26, v14
	ds_read_b128 v[16:19], v22
	v_fma_f32 v14, -v21, v27, v14
	v_fma_f32 v14, -v33, v28, v14
	;; [unrolled: 1-line block ×3, first 2 shown]
	v_mul_f32_e32 v28, v31, v14
	v_add_lshl_u32 v14, s18, v0, 2
	ds_read_b64 v[22:23], v22 offset:16
	ds_write_b32 v14, v28 offset:2304
	s_waitcnt lgkmcnt(2)
	v_fma_f32 v14, -v30, v16, v15
	s_add_i32 s18, s15, 0x90
	v_fma_f32 v14, -v21, v17, v14
	s_add_i32 s19, s18, s6
	v_fma_f32 v14, -v33, v18, v14
	s_lshl_b32 s19, s19, 2
	v_fma_f32 v14, -v34, v19, v14
	v_mov_b32_e32 v19, s19
	s_waitcnt lgkmcnt(1)
	v_fma_f32 v18, -v28, v22, v14
	ds_read_b128 v[14:17], v19
	v_mul_f32_e32 v29, v23, v18
	v_add_lshl_u32 v18, s9, v0, 2
	ds_write_b32 v18, v29 offset:2304
	ds_read_b64 v[18:19], v19 offset:16
	s_waitcnt lgkmcnt(2)
	v_fma_f32 v12, -v30, v14, v12
	s_add_i32 s9, s15, 0xa8
	v_fma_f32 v12, -v21, v15, v12
	s_add_i32 s19, s9, s6
	v_fma_f32 v12, -v33, v16, v12
	s_lshl_b32 s19, s19, 2
	v_fma_f32 v12, -v34, v17, v12
	v_mov_b32_e32 v22, s19
	ds_read_b128 v[14:17], v22
	s_waitcnt lgkmcnt(1)
	v_fma_f32 v12, -v28, v18, v12
	v_fma_f32 v12, -v29, v19, v12
	ds_read2_b32 v[18:19], v32 offset0:150 offset1:175
	ds_read_b96 v[22:24], v22 offset:16
	s_waitcnt lgkmcnt(1)
	v_mul_f32_e32 v31, v18, v12
	v_add_lshl_u32 v12, s18, v0, 2
	ds_write_b32 v12, v31 offset:2304
	v_fma_f32 v12, -v30, v14, v13
	v_fma_f32 v12, -v21, v15, v12
	;; [unrolled: 1-line block ×3, first 2 shown]
	s_add_i32 s18, s15, 0xc0
	v_fma_f32 v12, -v34, v17, v12
	s_or_b32 s19, s18, s6
	s_waitcnt lgkmcnt(1)
	v_fma_f32 v12, -v28, v22, v12
	s_lshl_b32 s19, s19, 2
	v_fma_f32 v12, -v29, v23, v12
	v_mov_b32_e32 v17, s19
	v_fma_f32 v16, -v31, v24, v12
	ds_read_b128 v[12:15], v17
	v_mul_f32_e32 v35, v19, v16
	v_add_lshl_u32 v16, s9, v0, 2
	ds_write_b32 v16, v35 offset:2304
	ds_read_b128 v[16:19], v17 offset:16
	s_waitcnt lgkmcnt(2)
	v_fma_f32 v10, -v30, v12, v10
	s_add_i32 s9, s15, 0xd8
	v_fma_f32 v10, -v21, v13, v10
	s_add_i32 s19, s9, s6
	v_fma_f32 v10, -v33, v14, v10
	s_lshl_b32 s19, s19, 2
	v_fma_f32 v10, -v34, v15, v10
	ds_read2_b32 v[22:23], v32 offset0:200 offset1:225
	v_mov_b32_e32 v24, s19
	ds_read_b128 v[12:15], v24
	s_waitcnt lgkmcnt(2)
	v_fma_f32 v10, -v28, v16, v10
	v_fma_f32 v10, -v29, v17, v10
	;; [unrolled: 1-line block ×4, first 2 shown]
	s_waitcnt lgkmcnt(1)
	v_mul_f32_e32 v36, v22, v10
	v_add_lshl_u32 v10, s18, v0, 2
	ds_read_b128 v[16:19], v24 offset:16
	ds_write_b32 v10, v36 offset:2304
	s_waitcnt lgkmcnt(2)
	v_fma_f32 v10, -v30, v12, v11
	v_fma_f32 v10, -v21, v13, v10
	;; [unrolled: 1-line block ×4, first 2 shown]
	s_add_i32 s18, s15, 0xf0
	s_waitcnt lgkmcnt(1)
	v_fma_f32 v10, -v28, v16, v10
	ds_read_b32 v15, v24 offset:32
	s_add_i32 s19, s18, s6
	v_fma_f32 v10, -v29, v17, v10
	s_lshl_b32 s19, s19, 2
	v_fma_f32 v10, -v31, v18, v10
	v_mov_b32_e32 v18, s19
	v_fma_f32 v14, -v35, v19, v10
	ds_read_b128 v[10:13], v18
	s_waitcnt lgkmcnt(1)
	v_fma_f32 v14, -v36, v15, v14
	v_mul_f32_e32 v37, v23, v14
	v_add_lshl_u32 v14, s9, v0, 2
	ds_write_b32 v14, v37 offset:2304
	ds_read_b128 v[14:17], v18 offset:16
	ds_read_b64 v[18:19], v18 offset:32
	s_waitcnt lgkmcnt(3)
	v_fma_f32 v8, -v30, v10, v8
	v_fma_f32 v8, -v21, v11, v8
	;; [unrolled: 1-line block ×4, first 2 shown]
	s_waitcnt lgkmcnt(1)
	v_fma_f32 v8, -v28, v14, v8
	v_fma_f32 v8, -v29, v15, v8
	;; [unrolled: 1-line block ×3, first 2 shown]
	s_add_i32 s9, s15, 0x108
	v_fma_f32 v8, -v35, v17, v8
	s_add_i32 s19, s9, s6
	s_waitcnt lgkmcnt(0)
	v_fma_f32 v8, -v36, v18, v8
	v_add_u32_e32 v10, 0x200, v32
	s_lshl_b32 s19, s19, 2
	v_fma_f32 v8, -v37, v19, v8
	ds_read2_b32 v[18:19], v10 offset0:122 offset1:147
	v_mov_b32_e32 v22, s19
	ds_read_b128 v[10:13], v22
	ds_read_b128 v[14:17], v22 offset:16
	s_waitcnt lgkmcnt(2)
	v_mul_f32_e32 v38, v18, v8
	v_add_lshl_u32 v8, s18, v0, 2
	ds_write_b32 v8, v38 offset:2304
	s_waitcnt lgkmcnt(2)
	v_fma_f32 v8, -v30, v10, v9
	v_fma_f32 v8, -v21, v11, v8
	;; [unrolled: 1-line block ×4, first 2 shown]
	s_waitcnt lgkmcnt(1)
	v_fma_f32 v8, -v28, v14, v8
	ds_read_b96 v[12:14], v22 offset:32
	s_add_i32 s18, s15, 0x120
	v_fma_f32 v8, -v29, v15, v8
	s_or_b32 s19, s18, s6
	v_fma_f32 v8, -v31, v16, v8
	s_lshl_b32 s19, s19, 2
	v_fma_f32 v15, -v35, v17, v8
	v_mov_b32_e32 v16, s19
	ds_read_b128 v[8:11], v16
	s_waitcnt lgkmcnt(1)
	v_fma_f32 v12, -v36, v12, v15
	v_fma_f32 v12, -v37, v13, v12
	;; [unrolled: 1-line block ×3, first 2 shown]
	v_mul_f32_e32 v39, v19, v12
	v_add_lshl_u32 v12, s9, v0, 2
	ds_write_b32 v12, v39 offset:2304
	ds_read_b128 v[12:15], v16 offset:16
	ds_read_b128 v[16:19], v16 offset:32
	s_waitcnt lgkmcnt(3)
	v_fma_f32 v6, -v30, v8, v6
	v_fma_f32 v6, -v21, v9, v6
	;; [unrolled: 1-line block ×4, first 2 shown]
	s_waitcnt lgkmcnt(1)
	v_fma_f32 v6, -v28, v12, v6
	v_fma_f32 v6, -v29, v13, v6
	;; [unrolled: 1-line block ×3, first 2 shown]
	v_add_u32_e32 v8, 0x400, v32
	v_fma_f32 v6, -v35, v15, v6
	ds_read2_b32 v[26:27], v8 offset0:44 offset1:144
	s_waitcnt lgkmcnt(1)
	v_fma_f32 v6, -v36, v16, v6
	v_fma_f32 v6, -v37, v17, v6
	;; [unrolled: 1-line block ×4, first 2 shown]
	s_add_i32 s9, s15, 0x138
	s_waitcnt lgkmcnt(0)
	v_mul_f32_e32 v26, v26, v6
	v_add_lshl_u32 v6, s18, v0, 2
	s_add_i32 s18, s9, s6
	s_lshl_b32 s18, s18, 2
	v_mov_b32_e32 v22, s18
	ds_read_b128 v[8:11], v22
	ds_write_b32 v6, v26 offset:2304
	ds_read_b128 v[12:15], v22 offset:16
	ds_read_b128 v[16:19], v22 offset:32
	ds_read_b64 v[22:23], v22 offset:48
	s_waitcnt lgkmcnt(4)
	v_fma_f32 v6, -v30, v8, v7
	v_fma_f32 v6, -v21, v9, v6
	;; [unrolled: 1-line block ×4, first 2 shown]
	s_waitcnt lgkmcnt(2)
	v_fma_f32 v6, -v28, v12, v6
	v_fma_f32 v6, -v29, v13, v6
	;; [unrolled: 1-line block ×4, first 2 shown]
	s_waitcnt lgkmcnt(1)
	v_fma_f32 v6, -v36, v16, v6
	v_fma_f32 v6, -v37, v17, v6
	v_add_lshl_u32 v10, s9, v0, 2
	s_add_i32 s9, s15, 0x150
	v_fma_f32 v6, -v38, v18, v6
	s_add_i32 s18, s9, s6
	v_fma_f32 v6, -v39, v19, v6
	s_lshl_b32 s18, s18, 2
	s_waitcnt lgkmcnt(0)
	v_fma_f32 v6, -v26, v22, v6
	v_mov_b32_e32 v18, s18
	v_mul_f32_e32 v32, v23, v6
	ds_read_b128 v[6:9], v18
	ds_write_b32 v10, v32 offset:2304
	ds_read_b128 v[10:13], v18 offset:16
	ds_read_b128 v[14:17], v18 offset:32
	ds_read_b96 v[22:24], v18 offset:48
	s_waitcnt lgkmcnt(4)
	v_fma_f32 v4, -v30, v6, v4
	v_fma_f32 v4, -v21, v7, v4
	v_fma_f32 v4, -v33, v8, v4
	v_fma_f32 v4, -v34, v9, v4
	s_waitcnt lgkmcnt(2)
	v_fma_f32 v4, -v28, v10, v4
	v_fma_f32 v4, -v29, v11, v4
	v_fma_f32 v4, -v31, v12, v4
	v_fma_f32 v4, -v35, v13, v4
	;; [unrolled: 5-line block ×3, first 2 shown]
	s_waitcnt lgkmcnt(0)
	v_fma_f32 v4, -v26, v22, v4
	v_fma_f32 v4, -v32, v23, v4
	v_mul_f32_e32 v40, v24, v4
	v_add_lshl_u32 v4, s9, v0, 2
	s_add_i32 s9, s15, 0x168
	s_add_i32 s18, s9, s6
	s_lshl_b32 s18, s18, 2
	v_mov_b32_e32 v18, s18
	ds_read_b128 v[6:9], v18
	ds_write_b32 v4, v40 offset:2304
	ds_read_b128 v[10:13], v18 offset:16
	ds_read_b128 v[14:17], v18 offset:32
	;; [unrolled: 1-line block ×3, first 2 shown]
	s_waitcnt lgkmcnt(4)
	v_fma_f32 v4, -v30, v6, v5
	v_fma_f32 v4, -v21, v7, v4
	v_fma_f32 v4, -v33, v8, v4
	v_fma_f32 v4, -v34, v9, v4
	s_waitcnt lgkmcnt(2)
	v_fma_f32 v4, -v28, v10, v4
	v_fma_f32 v4, -v29, v11, v4
	v_fma_f32 v4, -v31, v12, v4
	v_fma_f32 v4, -v35, v13, v4
	;; [unrolled: 5-line block ×3, first 2 shown]
	v_add_lshl_u32 v8, s9, v0, 2
	s_add_i32 s9, s15, 0x180
	s_waitcnt lgkmcnt(0)
	v_fma_f32 v4, -v26, v22, v4
	s_or_b32 s18, s9, s6
	v_fma_f32 v4, -v32, v23, v4
	s_lshl_b32 s18, s18, 2
	v_fma_f32 v4, -v40, v24, v4
	v_mov_b32_e32 v16, s18
	v_mul_f32_e32 v22, v25, v4
	ds_read_b128 v[4:7], v16
	ds_write_b32 v8, v22 offset:2304
	ds_read_b128 v[8:11], v16 offset:16
	ds_read_b128 v[12:15], v16 offset:32
	;; [unrolled: 1-line block ×3, first 2 shown]
	s_waitcnt lgkmcnt(4)
	v_fma_f32 v2, -v30, v4, v2
	v_fma_f32 v2, -v21, v5, v2
	v_fma_f32 v2, -v33, v6, v2
	v_fma_f32 v2, -v34, v7, v2
	s_waitcnt lgkmcnt(2)
	v_fma_f32 v2, -v28, v8, v2
	v_fma_f32 v2, -v29, v9, v2
	v_fma_f32 v2, -v31, v10, v2
	v_fma_f32 v2, -v35, v11, v2
	;; [unrolled: 5-line block ×4, first 2 shown]
	v_mul_f32_e32 v23, v27, v2
	v_add_lshl_u32 v2, s9, v0, 2
	s_add_i32 s9, s15, 0x198
	s_add_i32 s18, s9, s6
	s_lshl_b32 s18, s18, 2
	v_mov_b32_e32 v24, s18
	ds_read_b128 v[4:7], v24
	ds_write_b32 v2, v23 offset:2304
	ds_read_b128 v[8:11], v24 offset:16
	ds_read_b128 v[12:15], v24 offset:32
	;; [unrolled: 1-line block ×3, first 2 shown]
	s_addk_i32 s15, 0x1b0
	s_add_i32 s18, s15, s6
	s_waitcnt lgkmcnt(4)
	v_fma_f32 v2, -v30, v4, v3
	v_fma_f32 v2, -v21, v5, v2
	v_fma_f32 v2, -v33, v6, v2
	v_fma_f32 v2, -v34, v7, v2
	s_waitcnt lgkmcnt(2)
	v_fma_f32 v2, -v28, v8, v2
	v_fma_f32 v2, -v29, v9, v2
	v_fma_f32 v2, -v31, v10, v2
	v_fma_f32 v2, -v35, v11, v2
	;; [unrolled: 5-line block ×3, first 2 shown]
	s_waitcnt lgkmcnt(0)
	v_fma_f32 v2, -v26, v16, v2
	ds_read_b64 v[6:7], v24 offset:64
	v_fma_f32 v2, -v32, v17, v2
	s_lshl_b32 s18, s18, 2
	v_fma_f32 v2, -v40, v18, v2
	v_mov_b32_e32 v14, s18
	v_fma_f32 v8, -v22, v19, v2
	ds_read_b128 v[2:5], v14
	s_waitcnt lgkmcnt(1)
	v_fma_f32 v6, -v23, v6, v8
	v_mul_f32_e32 v18, v7, v6
	v_add_lshl_u32 v6, s9, v0, 2
	ds_write_b32 v6, v18 offset:2304
	ds_read_b128 v[6:9], v14 offset:16
	ds_read_b128 v[10:13], v14 offset:32
	s_waitcnt lgkmcnt(3)
	v_fma_f32 v2, -v30, v2, v20
	v_fma_f32 v2, -v21, v3, v2
	;; [unrolled: 1-line block ×4, first 2 shown]
	s_waitcnt lgkmcnt(1)
	v_fma_f32 v2, -v28, v6, v2
	v_fma_f32 v2, -v29, v7, v2
	;; [unrolled: 1-line block ×4, first 2 shown]
	s_waitcnt lgkmcnt(0)
	v_fma_f32 v6, -v36, v10, v2
	ds_read_b128 v[2:5], v14 offset:48
	v_fma_f32 v6, -v37, v11, v6
	v_fma_f32 v6, -v38, v12, v6
	;; [unrolled: 1-line block ×3, first 2 shown]
	ds_read_b96 v[6:8], v14 offset:64
	s_waitcnt lgkmcnt(1)
	v_fma_f32 v2, -v26, v2, v9
	v_fma_f32 v2, -v32, v3, v2
	;; [unrolled: 1-line block ×3, first 2 shown]
	s_mul_i32 s9, s14, 24
	v_fma_f32 v2, -v22, v5, v2
	s_add_i32 s6, s9, s6
	s_waitcnt lgkmcnt(0)
	v_fma_f32 v2, -v23, v6, v2
	s_lshl_b32 s6, s6, 2
	v_fma_f32 v2, -v18, v7, v2
	v_mov_b32_e32 v20, s6
	v_mul_f32_e32 v19, v8, v2
	ds_read_b128 v[2:5], v20
	v_add_lshl_u32 v6, s15, v0, 2
	ds_write_b32 v6, v19 offset:2304
	ds_read_b128 v[6:9], v20 offset:16
	ds_read_b128 v[10:13], v20 offset:32
	;; [unrolled: 1-line block ×3, first 2 shown]
	s_mov_b32 s6, s8
	s_waitcnt lgkmcnt(4)
	v_fma_f32 v1, -v30, v2, v1
	v_fma_f32 v1, -v21, v3, v1
	v_fma_f32 v1, -v33, v4, v1
	v_fma_f32 v1, -v34, v5, v1
	s_waitcnt lgkmcnt(2)
	v_fma_f32 v1, -v28, v6, v1
	v_fma_f32 v1, -v29, v7, v1
	v_fma_f32 v1, -v31, v8, v1
	v_fma_f32 v1, -v35, v9, v1
	;; [unrolled: 5-line block ×3, first 2 shown]
	ds_read_b128 v[2:5], v20 offset:64
	s_waitcnt lgkmcnt(1)
	v_fma_f32 v1, -v26, v14, v1
	v_fma_f32 v1, -v32, v15, v1
	;; [unrolled: 1-line block ×4, first 2 shown]
	s_waitcnt lgkmcnt(0)
	v_fma_f32 v1, -v23, v2, v1
	v_fma_f32 v1, -v18, v3, v1
	;; [unrolled: 1-line block ×3, first 2 shown]
	v_mul_f32_e32 v1, v5, v1
	v_add_lshl_u32 v2, s9, v0, 2
	ds_write_b32 v2, v1 offset:2304
.LBB26_36:
	s_cmp_ge_i32 s6, s26
	s_cbranch_scc1 .LBB26_47
; %bb.37:
	v_mov_b32_e32 v1, 0x900
	s_add_i32 s8, s6, -1
	s_mul_i32 s9, s6, 0x60
	v_lshl_or_b32 v1, v0, 2, v1
	s_mov_b32 s14, 0
	s_mov_b32 s15, s6
	s_branch .LBB26_39
.LBB26_38:                              ;   in Loop: Header=BB26_39 Depth=1
	s_mul_i32 s18, s6, 0x64
	v_mov_b32_e32 v4, s18
	ds_read_b32 v4, v4
	s_add_i32 s6, s6, 1
	s_add_i32 s14, s14, 1
	s_addk_i32 s9, 0x60
	v_add_u16_e64 v5, s15, 1
	v_add_u32_e32 v3, 0x900, v3
	s_waitcnt lgkmcnt(0)
	v_mul_f32_e32 v2, v4, v2
	s_cmp_ge_i32 s6, s26
	v_readfirstlane_b32 s15, v5
	ds_write_b32 v3, v2
	s_cbranch_scc1 .LBB26_47
.LBB26_39:                              ; =>This Loop Header: Depth=1
                                        ;     Child Loop BB26_42 Depth 2
                                        ;     Child Loop BB26_46 Depth 2
	s_mul_i32 s18, s6, 24
	v_add_lshl_u32 v3, s18, v0, 2
	ds_read_b32 v2, v3 offset:2304
	s_cmp_eq_u32 s6, 0
	s_cbranch_scc1 .LBB26_38
; %bb.40:                               ;   in Loop: Header=BB26_39 Depth=1
	s_add_i32 s18, s8, s14
	s_cmp_lt_u32 s18, 7
	s_cbranch_scc1 .LBB26_44
; %bb.41:                               ;   in Loop: Header=BB26_39 Depth=1
	s_and_b32 s18, s6, -8
	s_mov_b32 s19, 0
	v_mov_b32_e32 v4, v1
	s_mov_b32 s20, s9
.LBB26_42:                              ;   Parent Loop BB26_39 Depth=1
                                        ; =>  This Inner Loop Header: Depth=2
	v_mov_b32_e32 v5, s20
	ds_read2_b32 v[14:15], v4 offset1:24
	ds_read2_b32 v[16:17], v4 offset0:48 offset1:72
	ds_read2_b32 v[18:19], v4 offset0:96 offset1:120
	ds_read2_b32 v[20:21], v4 offset0:144 offset1:168
	ds_read_b128 v[6:9], v5
	ds_read_b128 v[10:13], v5 offset:16
	s_add_i32 s19, s19, 8
	s_add_i32 s20, s20, 32
	v_add_u32_e32 v4, 0x300, v4
	s_waitcnt lgkmcnt(1)
	v_fma_f32 v2, -v14, v6, v2
	v_fma_f32 v2, -v15, v7, v2
	;; [unrolled: 1-line block ×4, first 2 shown]
	s_waitcnt lgkmcnt(0)
	v_fma_f32 v2, -v18, v10, v2
	v_fma_f32 v2, -v19, v11, v2
	;; [unrolled: 1-line block ×3, first 2 shown]
	s_cmp_lg_u32 s18, s19
	v_fma_f32 v2, -v21, v13, v2
	s_cbranch_scc1 .LBB26_42
; %bb.43:                               ;   in Loop: Header=BB26_39 Depth=1
	s_and_b32 s19, s6, 7
	s_cmp_eq_u32 s19, 0
	s_cbranch_scc0 .LBB26_45
	s_branch .LBB26_38
.LBB26_44:                              ;   in Loop: Header=BB26_39 Depth=1
	s_mov_b32 s18, 0
	s_and_b32 s19, s6, 7
	s_cmp_eq_u32 s19, 0
	s_cbranch_scc1 .LBB26_38
.LBB26_45:                              ;   in Loop: Header=BB26_39 Depth=1
	s_lshl_b32 s20, s18, 2
	s_mulk_i32 s18, 0x60
	s_and_b32 s19, s15, 7
	v_add_u32_e32 v4, s18, v1
.LBB26_46:                              ;   Parent Loop BB26_39 Depth=1
                                        ; =>  This Inner Loop Header: Depth=2
	s_add_i32 s18, s9, s20
	v_mov_b32_e32 v6, s18
	ds_read_b32 v5, v4
	ds_read_b32 v6, v6
	s_add_i32 s20, s20, 4
	s_add_i32 s19, s19, -1
	v_add_u32_e32 v4, 0x60, v4
	s_cmp_lg_u32 s19, 0
	s_waitcnt lgkmcnt(0)
	v_fma_f32 v2, -v5, v6, v2
	s_cbranch_scc1 .LBB26_46
	s_branch .LBB26_38
.LBB26_47:
	s_mov_b64 s[8:9], 0
.LBB26_48:
	s_and_b64 vcc, exec, s[8:9]
	s_cbranch_vccz .LBB26_70
; %bb.49:
	s_add_i32 s6, s26, -1
	s_cmp_gt_i32 s10, 23
	s_mov_b32 s8, s6
	s_cbranch_scc0 .LBB26_51
; %bb.50:
	s_mul_i32 s8, s6, 24
	s_mul_i32 s39, s26, 24
	v_add_lshl_u32 v1, s8, v0, 2
	s_sub_i32 s38, s39, 48
	s_add_i32 s37, s39, 0xffffffb8
	s_add_i32 s36, s39, 0xffffffa0
	;; [unrolled: 1-line block ×22, first 2 shown]
	s_sub_i32 s39, s39, 24
	s_add_i32 s41, s26, s39
	s_lshl_b32 s41, s41, 2
	v_add_lshl_u32 v10, s38, v0, 2
	v_add_lshl_u32 v13, s37, v0, 2
	;; [unrolled: 1-line block ×7, first 2 shown]
	ds_read_b32 v4, v1 offset:2304
	ds_read_b32 v5, v10 offset:2304
	;; [unrolled: 1-line block ×8, first 2 shown]
	v_add_lshl_u32 v1, s40, v0, 2
	s_mul_i32 s40, s6, 0x64
	s_add_i32 s41, s41, -8
	v_mov_b32_e32 v6, s41
	s_add_i32 s41, s40, 0xffffff9c
	v_mov_b32_e32 v8, s41
	s_add_i32 s41, s26, -4
	s_add_i32 s42, s41, s39
	v_add_lshl_u32 v54, s33, v0, 2
	v_add_lshl_u32 v28, s23, v0, 2
	s_lshl_b32 s42, s42, 2
	v_add_lshl_u32 v55, s31, v0, 2
	v_add_lshl_u32 v60, s28, v0, 2
	;; [unrolled: 1-line block ×7, first 2 shown]
	ds_read_b32 v50, v54 offset:2304
	ds_read_b32 v56, v55 offset:2304
	;; [unrolled: 1-line block ×8, first 2 shown]
	v_add_lshl_u32 v27, s21, v0, 2
	v_add_lshl_u32 v22, s18, v0, 2
	;; [unrolled: 1-line block ×6, first 2 shown]
	ds_read_b32 v34, v28 offset:2304
	ds_read_b32 v29, v27 offset:2304
	;; [unrolled: 1-line block ×8, first 2 shown]
	v_mov_b32_e32 v9, s42
	s_add_i32 s42, s41, s38
	ds_read2_b32 v[6:7], v6 offset1:1
	s_lshl_b32 s42, s42, 2
	v_mov_b32_e32 v16, s42
	ds_read_b32 v39, v8
	ds_read2_b32 v[8:9], v9 offset1:1
	ds_read2_b32 v[16:17], v16 offset1:1
	s_add_i32 s41, s41, s37
	s_waitcnt lgkmcnt(3)
	v_mul_f32_e32 v4, v7, v4
	v_add_lshl_u32 v7, s39, v0, 2
	s_lshl_b32 s41, s41, 2
	ds_write_b32 v7, v4 offset:2304
	v_mov_b32_e32 v7, s41
	s_add_i32 s41, s40, 0xfffffed4
	v_fma_f32 v5, -v4, v6, v5
	s_waitcnt lgkmcnt(2)
	v_fma_f32 v6, -v4, v9, v38
	v_mov_b32_e32 v9, s41
	s_add_i32 s41, s26, -6
	s_add_i32 s42, s41, s39
	v_mul_f32_e32 v5, v39, v5
	s_lshl_b32 s42, s42, 2
	ds_read2_b32 v[38:39], v7 offset1:1
	ds_write_b32 v10, v5 offset:2304
	v_mov_b32_e32 v10, s42
	s_add_i32 s42, s41, s38
	s_lshl_b32 s42, s42, 2
	v_mov_b32_e32 v7, s42
	s_waitcnt lgkmcnt(3)
	v_fma_f32 v6, -v5, v17, v6
	ds_read_b32 v9, v9
	ds_read2_b32 v[40:41], v10 offset1:1
	ds_read2_b32 v[42:43], v7 offset1:1
	v_fma_f32 v7, -v4, v8, v44
	s_waitcnt lgkmcnt(4)
	v_mul_f32_e32 v6, v39, v6
	v_fma_f32 v7, -v5, v16, v7
	s_add_i32 s42, s41, s37
	v_fma_f32 v7, -v6, v38, v7
	s_lshl_b32 s42, s42, 2
	s_waitcnt lgkmcnt(2)
	v_mul_f32_e32 v7, v9, v7
	v_mov_b32_e32 v9, s42
	s_add_i32 s42, s41, s36
	s_add_i32 s41, s41, s35
	ds_write_b32 v13, v6 offset:2304
	ds_write_b32 v19, v7 offset:2304
	s_lshl_b32 s42, s42, 2
	s_lshl_b32 s41, s41, 2
	s_waitcnt lgkmcnt(3)
	v_fma_f32 v8, -v4, v41, v45
	v_mov_b32_e32 v10, s42
	v_mov_b32_e32 v13, s41
	s_add_i32 s41, s40, 0xfffffe0c
	ds_read2_b32 v[16:17], v9 offset1:1
	ds_read2_b32 v[38:39], v10 offset1:1
	;; [unrolled: 1-line block ×3, first 2 shown]
	v_mov_b32_e32 v9, s41
	s_waitcnt lgkmcnt(5)
	v_fma_f32 v8, -v5, v43, v8
	ds_read_b32 v9, v9
	v_fma_f32 v10, -v4, v40, v46
	s_waitcnt lgkmcnt(3)
	v_fma_f32 v8, -v6, v17, v8
	v_fma_f32 v10, -v5, v42, v10
	s_waitcnt lgkmcnt(2)
	v_fma_f32 v8, -v7, v39, v8
	v_fma_f32 v10, -v6, v16, v10
	s_add_i32 s41, s26, -8
	s_waitcnt lgkmcnt(1)
	v_mul_f32_e32 v8, v45, v8
	v_fma_f32 v10, -v7, v38, v10
	s_add_i32 s42, s41, s39
	v_fma_f32 v10, -v8, v44, v10
	s_lshl_b32 s42, s42, 2
	s_waitcnt lgkmcnt(0)
	v_mul_f32_e32 v9, v9, v10
	v_mov_b32_e32 v10, s42
	s_add_i32 s42, s41, s38
	s_lshl_b32 s42, s42, 2
	v_mov_b32_e32 v13, s42
	s_add_i32 s42, s41, s37
	s_lshl_b32 s42, s42, 2
	v_mov_b32_e32 v19, s42
	s_add_i32 s42, s41, s36
	ds_write_b32 v21, v8 offset:2304
	ds_write_b32 v24, v9 offset:2304
	s_lshl_b32 s42, s42, 2
	ds_read2_b32 v[16:17], v10 offset1:1
	ds_read2_b32 v[38:39], v13 offset1:1
	v_mov_b32_e32 v10, s42
	s_add_i32 s42, s41, s35
	s_lshl_b32 s42, s42, 2
	v_mov_b32_e32 v13, s42
	s_add_i32 s42, s41, s34
	ds_read2_b32 v[40:41], v19 offset1:1
	ds_read2_b32 v[42:43], v10 offset1:1
	s_lshl_b32 s42, s42, 2
	s_waitcnt lgkmcnt(3)
	v_fma_f32 v10, -v4, v17, v47
	v_mov_b32_e32 v17, s42
	s_add_i32 s42, s40, 0xfffffda8
	ds_read2_b32 v[44:45], v13 offset1:1
	ds_read2_b32 v[46:47], v17 offset1:1
	v_mov_b32_e32 v13, s42
	s_waitcnt lgkmcnt(4)
	v_fma_f32 v10, -v5, v39, v10
	ds_read_b32 v13, v13
	s_waitcnt lgkmcnt(4)
	v_fma_f32 v10, -v6, v41, v10
	s_waitcnt lgkmcnt(3)
	v_fma_f32 v10, -v7, v43, v10
	;; [unrolled: 2-line block ×3, first 2 shown]
	s_add_i32 s41, s41, s30
	s_waitcnt lgkmcnt(1)
	v_fma_f32 v10, -v9, v47, v10
	s_lshl_b32 s41, s41, 2
	s_waitcnt lgkmcnt(0)
	v_mul_f32_e32 v10, v13, v10
	v_fma_f32 v13, -v4, v16, v49
	v_mov_b32_e32 v16, s41
	v_fma_f32 v13, -v5, v38, v13
	ds_read_b32 v16, v16
	s_add_i32 s41, s40, 0xfffffd44
	v_fma_f32 v13, -v6, v40, v13
	v_mov_b32_e32 v17, s41
	ds_read_b32 v17, v17
	v_fma_f32 v13, -v7, v42, v13
	s_add_i32 s41, s26, -10
	v_fma_f32 v13, -v8, v44, v13
	s_add_i32 s42, s41, s39
	v_fma_f32 v13, -v9, v46, v13
	s_lshl_b32 s42, s42, 2
	s_waitcnt lgkmcnt(1)
	v_fma_f32 v13, -v10, v16, v13
	v_mov_b32_e32 v16, s42
	s_add_i32 s42, s41, s38
	s_lshl_b32 s42, s42, 2
	s_waitcnt lgkmcnt(0)
	v_mul_f32_e32 v13, v17, v13
	v_mov_b32_e32 v17, s42
	s_add_i32 s42, s41, s37
	s_lshl_b32 s42, s42, 2
	v_mov_b32_e32 v19, s42
	s_add_i32 s42, s41, s36
	s_lshl_b32 s42, s42, 2
	v_mov_b32_e32 v21, s42
	s_add_i32 s42, s41, s35
	ds_write_b32 v37, v10 offset:2304
	s_lshl_b32 s42, s42, 2
	ds_read2_b32 v[38:39], v16 offset1:1
	ds_read2_b32 v[40:41], v17 offset1:1
	;; [unrolled: 1-line block ×4, first 2 shown]
	v_mov_b32_e32 v17, s42
	s_add_i32 s42, s41, s34
	s_lshl_b32 s42, s42, 2
	v_mov_b32_e32 v19, s42
	s_add_i32 s42, s41, s30
	s_lshl_b32 s42, s42, 2
	v_mov_b32_e32 v21, s42
	s_add_i32 s42, s41, s29
	s_waitcnt lgkmcnt(3)
	v_fma_f32 v16, -v4, v39, v50
	s_lshl_b32 s42, s42, 2
	ds_write_b32 v48, v13 offset:2304
	s_waitcnt lgkmcnt(3)
	v_fma_f32 v16, -v5, v41, v16
	v_mov_b32_e32 v24, s42
	s_add_i32 s42, s40, 0xfffffce0
	s_waitcnt lgkmcnt(2)
	v_fma_f32 v16, -v6, v43, v16
	ds_read2_b32 v[46:47], v17 offset1:1
	ds_read2_b32 v[48:49], v19 offset1:1
	;; [unrolled: 1-line block ×4, first 2 shown]
	v_mov_b32_e32 v17, s42
	s_waitcnt lgkmcnt(5)
	v_fma_f32 v16, -v7, v45, v16
	ds_read_b32 v17, v17
	s_waitcnt lgkmcnt(4)
	v_fma_f32 v16, -v8, v47, v16
	s_waitcnt lgkmcnt(3)
	v_fma_f32 v16, -v9, v49, v16
	;; [unrolled: 2-line block ×4, first 2 shown]
	s_waitcnt lgkmcnt(0)
	v_mul_f32_e32 v16, v17, v16
	v_fma_f32 v17, -v4, v38, v56
	s_add_i32 s41, s41, s33
	v_fma_f32 v17, -v5, v40, v17
	s_lshl_b32 s41, s41, 2
	v_fma_f32 v17, -v6, v42, v17
	v_mov_b32_e32 v19, s41
	v_fma_f32 v17, -v7, v44, v17
	ds_read_b32 v19, v19
	s_addk_i32 s40, 0xfc7c
	v_fma_f32 v17, -v8, v46, v17
	v_mov_b32_e32 v21, s40
	ds_read_b32 v21, v21
	v_fma_f32 v17, -v9, v48, v17
	s_add_i32 s40, s26, -12
	v_fma_f32 v17, -v10, v50, v17
	s_add_i32 s41, s40, s39
	v_fma_f32 v17, -v13, v52, v17
	s_lshl_b32 s41, s41, 2
	s_waitcnt lgkmcnt(1)
	v_fma_f32 v17, -v16, v19, v17
	v_mov_b32_e32 v19, s41
	s_add_i32 s41, s40, s38
	s_lshl_b32 s41, s41, 2
	s_waitcnt lgkmcnt(0)
	v_mul_f32_e32 v17, v21, v17
	v_mov_b32_e32 v21, s41
	s_add_i32 s41, s40, s37
	s_lshl_b32 s41, s41, 2
	v_mov_b32_e32 v24, s41
	s_add_i32 s41, s40, s36
	ds_write_b32 v54, v16 offset:2304
	ds_write_b32 v55, v17 offset:2304
	s_lshl_b32 s41, s41, 2
	ds_read2_b32 v[38:39], v19 offset1:1
	ds_read2_b32 v[40:41], v21 offset1:1
	;; [unrolled: 1-line block ×3, first 2 shown]
	v_mov_b32_e32 v19, s41
	s_add_i32 s41, s40, s35
	s_lshl_b32 s41, s41, 2
	v_mov_b32_e32 v21, s41
	s_add_i32 s41, s40, s34
	s_lshl_b32 s41, s41, 2
	;; [unrolled: 3-line block ×4, first 2 shown]
	ds_read2_b32 v[44:45], v19 offset1:1
	s_waitcnt lgkmcnt(3)
	v_fma_f32 v19, -v4, v39, v57
	v_mov_b32_e32 v39, s41
	s_add_i32 s41, s40, s33
	s_lshl_b32 s41, s41, 2
	ds_read2_b32 v[46:47], v21 offset1:1
	ds_read2_b32 v[48:49], v24 offset1:1
	ds_read2_b32 v[50:51], v37 offset1:1
	ds_read2_b32 v[52:53], v39 offset1:1
	v_mov_b32_e32 v21, s41
	s_add_i32 s41, s40, s31
	s_lshl_b32 s41, s41, 2
	s_add_i32 s40, s40, s28
	v_mov_b32_e32 v24, s41
	s_lshl_b32 s40, s40, 2
	s_waitcnt lgkmcnt(6)
	v_fma_f32 v19, -v5, v41, v19
	v_mov_b32_e32 v37, s40
	ds_read2_b32 v[54:55], v21 offset1:1
	ds_read2_b32 v[56:57], v24 offset1:1
	;; [unrolled: 1-line block ×3, first 2 shown]
	v_fma_f32 v24, -v4, v38, v62
	s_waitcnt lgkmcnt(8)
	v_fma_f32 v19, -v6, v43, v19
	v_fma_f32 v24, -v5, v40, v24
	s_waitcnt lgkmcnt(7)
	v_fma_f32 v19, -v7, v45, v19
	;; [unrolled: 3-line block ×3, first 2 shown]
	s_mul_i32 s40, s26, 0x64
	v_fma_f32 v24, -v7, v44, v24
	s_waitcnt lgkmcnt(5)
	v_fma_f32 v19, -v9, v49, v19
	s_add_i32 s41, s40, 0xfffffb50
	v_fma_f32 v24, -v8, v46, v24
	s_waitcnt lgkmcnt(4)
	v_fma_f32 v19, -v10, v51, v19
	v_mov_b32_e32 v21, s41
	v_fma_f32 v24, -v9, v48, v24
	s_waitcnt lgkmcnt(3)
	v_fma_f32 v19, -v13, v53, v19
	ds_read_b32 v21, v21
	v_fma_f32 v24, -v10, v50, v24
	s_waitcnt lgkmcnt(3)
	v_fma_f32 v19, -v16, v55, v19
	v_fma_f32 v24, -v13, v52, v24
	s_waitcnt lgkmcnt(2)
	v_fma_f32 v19, -v17, v57, v19
	v_fma_f32 v24, -v16, v54, v24
	s_add_i32 s41, s26, -14
	s_waitcnt lgkmcnt(1)
	v_mul_f32_e32 v19, v59, v19
	v_fma_f32 v24, -v17, v56, v24
	s_add_i32 s42, s41, s39
	v_fma_f32 v24, -v19, v58, v24
	s_lshl_b32 s42, s42, 2
	s_waitcnt lgkmcnt(0)
	v_mul_f32_e32 v21, v21, v24
	v_mov_b32_e32 v24, s42
	s_add_i32 s42, s41, s38
	s_lshl_b32 s42, s42, 2
	v_mov_b32_e32 v37, s42
	s_add_i32 s42, s41, s37
	s_lshl_b32 s42, s42, 2
	;; [unrolled: 3-line block ×3, first 2 shown]
	v_mov_b32_e32 v44, s42
	s_add_i32 s42, s41, s35
	ds_write_b32 v60, v19 offset:2304
	s_lshl_b32 s42, s42, 2
	ds_read2_b32 v[38:39], v24 offset1:1
	ds_read2_b32 v[40:41], v37 offset1:1
	;; [unrolled: 1-line block ×4, first 2 shown]
	v_mov_b32_e32 v37, s42
	s_add_i32 s42, s41, s34
	s_lshl_b32 s42, s42, 2
	s_waitcnt lgkmcnt(3)
	v_fma_f32 v24, -v4, v39, v63
	v_mov_b32_e32 v39, s42
	s_add_i32 s42, s41, s30
	s_lshl_b32 s42, s42, 2
	s_waitcnt lgkmcnt(2)
	v_fma_f32 v24, -v5, v41, v24
	v_mov_b32_e32 v41, s42
	s_add_i32 s42, s41, s29
	ds_write_b32 v61, v21 offset:2304
	s_lshl_b32 s42, s42, 2
	ds_read2_b32 v[46:47], v37 offset1:1
	ds_read2_b32 v[48:49], v39 offset1:1
	;; [unrolled: 1-line block ×3, first 2 shown]
	v_mov_b32_e32 v37, s42
	s_add_i32 s42, s41, s33
	s_lshl_b32 s42, s42, 2
	ds_read2_b32 v[52:53], v37 offset1:1
	v_mov_b32_e32 v37, s42
	s_add_i32 s42, s41, s31
	s_lshl_b32 s42, s42, 2
	s_waitcnt lgkmcnt(6)
	v_fma_f32 v24, -v6, v43, v24
	v_mov_b32_e32 v39, s42
	s_add_i32 s42, s41, s28
	s_waitcnt lgkmcnt(5)
	v_fma_f32 v24, -v7, v45, v24
	s_lshl_b32 s42, s42, 2
	s_waitcnt lgkmcnt(3)
	v_fma_f32 v24, -v8, v47, v24
	v_mov_b32_e32 v41, s42
	s_add_i32 s42, s41, s27
	s_add_i32 s41, s41, s25
	s_waitcnt lgkmcnt(2)
	v_fma_f32 v24, -v9, v49, v24
	s_lshl_b32 s42, s42, 2
	s_lshl_b32 s41, s41, 2
	s_waitcnt lgkmcnt(1)
	v_fma_f32 v24, -v10, v51, v24
	v_mov_b32_e32 v43, s42
	ds_read2_b32 v[54:55], v37 offset1:1
	ds_read2_b32 v[56:57], v39 offset1:1
	;; [unrolled: 1-line block ×4, first 2 shown]
	v_mov_b32_e32 v37, s41
	s_waitcnt lgkmcnt(4)
	v_fma_f32 v24, -v13, v53, v24
	s_add_i32 s41, s40, 0xfffffa88
	ds_read2_b32 v[62:63], v37 offset1:1
	s_waitcnt lgkmcnt(4)
	v_fma_f32 v24, -v16, v55, v24
	v_mov_b32_e32 v39, s41
	s_add_i32 s41, s26, -16
	s_waitcnt lgkmcnt(3)
	v_fma_f32 v24, -v17, v57, v24
	s_add_i32 s42, s41, s39
	s_waitcnt lgkmcnt(2)
	v_fma_f32 v24, -v19, v59, v24
	s_lshl_b32 s42, s42, 2
	s_waitcnt lgkmcnt(1)
	v_fma_f32 v24, -v21, v61, v24
	v_mov_b32_e32 v41, s42
	s_add_i32 s42, s41, s38
	s_lshl_b32 s42, s42, 2
	s_waitcnt lgkmcnt(0)
	v_mul_f32_e32 v24, v63, v24
	v_mov_b32_e32 v37, s42
	ds_read_b32 v39, v39
	ds_read2_b32 v[64:65], v41 offset1:1
	ds_read2_b32 v[66:67], v37 offset1:1
	ds_write_b32 v25, v24 offset:2304
	v_fma_f32 v25, -v4, v38, v36
	v_fma_f32 v25, -v5, v40, v25
	;; [unrolled: 1-line block ×13, first 2 shown]
	s_add_i32 s42, s41, s37
	s_waitcnt lgkmcnt(3)
	v_mul_f32_e32 v25, v39, v25
	s_lshl_b32 s42, s42, 2
	ds_write_b32 v30, v25 offset:2304
	s_waitcnt lgkmcnt(3)
	v_fma_f32 v30, -v4, v65, v35
	v_mov_b32_e32 v35, s42
	s_add_i32 s42, s41, s36
	s_lshl_b32 s42, s42, 2
	v_mov_b32_e32 v38, s42
	s_add_i32 s42, s41, s35
	s_lshl_b32 s42, s42, 2
	;; [unrolled: 3-line block ×4, first 2 shown]
	ds_read2_b32 v[36:37], v35 offset1:1
	ds_read2_b32 v[38:39], v38 offset1:1
	;; [unrolled: 1-line block ×4, first 2 shown]
	v_mov_b32_e32 v35, s42
	s_add_i32 s42, s41, s29
	s_waitcnt lgkmcnt(6)
	v_fma_f32 v30, -v5, v67, v30
	s_lshl_b32 s42, s42, 2
	s_waitcnt lgkmcnt(3)
	v_fma_f32 v30, -v6, v37, v30
	v_mov_b32_e32 v37, s42
	s_add_i32 s42, s41, s33
	s_lshl_b32 s42, s42, 2
	s_waitcnt lgkmcnt(2)
	v_fma_f32 v30, -v7, v39, v30
	v_mov_b32_e32 v39, s42
	s_add_i32 s42, s41, s31
	s_lshl_b32 s42, s42, 2
	ds_read2_b32 v[44:45], v35 offset1:1
	ds_read2_b32 v[46:47], v37 offset1:1
	;; [unrolled: 1-line block ×3, first 2 shown]
	v_mov_b32_e32 v35, s42
	s_add_i32 s42, s41, s28
	s_lshl_b32 s42, s42, 2
	ds_read2_b32 v[50:51], v35 offset1:1
	v_mov_b32_e32 v35, s42
	s_add_i32 s42, s41, s27
	s_lshl_b32 s42, s42, 2
	s_waitcnt lgkmcnt(5)
	v_fma_f32 v30, -v8, v41, v30
	v_mov_b32_e32 v37, s42
	s_add_i32 s42, s41, s25
	s_waitcnt lgkmcnt(4)
	v_fma_f32 v30, -v9, v43, v30
	s_lshl_b32 s42, s42, 2
	s_waitcnt lgkmcnt(3)
	v_fma_f32 v30, -v10, v45, v30
	v_mov_b32_e32 v39, s42
	s_add_i32 s42, s41, s24
	s_add_i32 s41, s41, s20
	s_waitcnt lgkmcnt(2)
	v_fma_f32 v30, -v13, v47, v30
	s_lshl_b32 s42, s42, 2
	s_lshl_b32 s41, s41, 2
	s_waitcnt lgkmcnt(1)
	v_fma_f32 v30, -v16, v49, v30
	v_mov_b32_e32 v41, s42
	ds_read2_b32 v[52:53], v35 offset1:1
	ds_read2_b32 v[54:55], v37 offset1:1
	;; [unrolled: 1-line block ×4, first 2 shown]
	v_mov_b32_e32 v35, s41
	s_waitcnt lgkmcnt(4)
	v_fma_f32 v30, -v17, v51, v30
	s_add_i32 s41, s40, 0xfffff9c0
	ds_read2_b32 v[60:61], v35 offset1:1
	s_waitcnt lgkmcnt(4)
	v_fma_f32 v30, -v19, v53, v30
	v_mov_b32_e32 v37, s41
	s_sub_i32 s41, s26, 18
	s_waitcnt lgkmcnt(3)
	v_fma_f32 v30, -v21, v55, v30
	s_add_i32 s42, s41, s39
	s_waitcnt lgkmcnt(2)
	v_fma_f32 v30, -v24, v57, v30
	s_lshl_b32 s42, s42, 2
	s_waitcnt lgkmcnt(1)
	v_fma_f32 v30, -v25, v59, v30
	v_mov_b32_e32 v39, s42
	s_add_i32 s42, s41, s38
	s_lshl_b32 s42, s42, 2
	s_waitcnt lgkmcnt(0)
	v_mul_f32_e32 v30, v61, v30
	v_mov_b32_e32 v35, s42
	ds_read_b32 v37, v37
	ds_read2_b32 v[62:63], v39 offset1:1
	ds_read2_b32 v[68:69], v35 offset1:1
	ds_write_b32 v31, v30 offset:2304
	v_fma_f32 v31, -v4, v64, v33
	v_fma_f32 v31, -v5, v66, v31
	;; [unrolled: 1-line block ×8, first 2 shown]
	s_add_i32 s42, s41, s37
	v_fma_f32 v31, -v16, v48, v31
	s_lshl_b32 s42, s42, 2
	v_fma_f32 v31, -v17, v50, v31
	v_mov_b32_e32 v33, s42
	s_add_i32 s42, s41, s36
	v_fma_f32 v31, -v19, v52, v31
	s_lshl_b32 s42, s42, 2
	v_fma_f32 v31, -v21, v54, v31
	v_mov_b32_e32 v36, s42
	;; [unrolled: 5-line block ×3, first 2 shown]
	s_add_i32 s42, s41, s34
	v_fma_f32 v31, -v30, v60, v31
	s_lshl_b32 s42, s42, 2
	s_waitcnt lgkmcnt(3)
	v_mul_f32_e32 v31, v37, v31
	v_mov_b32_e32 v40, s42
	s_add_i32 s42, s41, s30
	ds_write_b32 v32, v31 offset:2304
	s_lshl_b32 s42, s42, 2
	s_waitcnt lgkmcnt(3)
	v_fma_f32 v32, -v4, v63, v34
	ds_read2_b32 v[34:35], v33 offset1:1
	ds_read2_b32 v[36:37], v36 offset1:1
	;; [unrolled: 1-line block ×4, first 2 shown]
	v_mov_b32_e32 v33, s42
	s_add_i32 s42, s41, s29
	s_waitcnt lgkmcnt(6)
	v_fma_f32 v32, -v5, v69, v32
	s_lshl_b32 s42, s42, 2
	s_waitcnt lgkmcnt(3)
	v_fma_f32 v32, -v6, v35, v32
	v_mov_b32_e32 v35, s42
	s_add_i32 s42, s41, s33
	s_lshl_b32 s42, s42, 2
	s_waitcnt lgkmcnt(2)
	v_fma_f32 v32, -v7, v37, v32
	v_mov_b32_e32 v37, s42
	s_add_i32 s42, s41, s31
	s_lshl_b32 s42, s42, 2
	ds_read2_b32 v[42:43], v33 offset1:1
	ds_read2_b32 v[44:45], v35 offset1:1
	;; [unrolled: 1-line block ×3, first 2 shown]
	v_mov_b32_e32 v33, s42
	s_add_i32 s42, s41, s28
	s_lshl_b32 s42, s42, 2
	ds_read2_b32 v[48:49], v33 offset1:1
	v_mov_b32_e32 v33, s42
	s_add_i32 s42, s41, s27
	s_lshl_b32 s42, s42, 2
	v_mov_b32_e32 v35, s42
	s_add_i32 s42, s41, s25
	s_waitcnt lgkmcnt(5)
	v_fma_f32 v32, -v8, v39, v32
	s_lshl_b32 s42, s42, 2
	s_waitcnt lgkmcnt(4)
	v_fma_f32 v32, -v9, v41, v32
	v_mov_b32_e32 v37, s42
	s_add_i32 s42, s41, s24
	s_waitcnt lgkmcnt(3)
	v_fma_f32 v32, -v10, v43, v32
	s_lshl_b32 s42, s42, 2
	s_waitcnt lgkmcnt(2)
	v_fma_f32 v32, -v13, v45, v32
	v_mov_b32_e32 v39, s42
	s_add_i32 s42, s41, s20
	s_waitcnt lgkmcnt(1)
	v_fma_f32 v32, -v16, v47, v32
	ds_read2_b32 v[50:51], v33 offset1:1
	ds_read2_b32 v[52:53], v35 offset1:1
	;; [unrolled: 1-line block ×4, first 2 shown]
	s_lshl_b32 s42, s42, 2
	s_waitcnt lgkmcnt(4)
	v_fma_f32 v32, -v17, v49, v32
	v_mov_b32_e32 v33, s42
	s_add_i32 s42, s41, s19
	s_add_i32 s41, s41, s23
	s_waitcnt lgkmcnt(3)
	v_fma_f32 v32, -v19, v51, v32
	s_lshl_b32 s42, s42, 2
	s_lshl_b32 s41, s41, 2
	s_waitcnt lgkmcnt(2)
	v_fma_f32 v32, -v21, v53, v32
	v_mov_b32_e32 v35, s42
	v_mov_b32_e32 v37, s41
	ds_read2_b32 v[58:59], v33 offset1:1
	ds_read2_b32 v[60:61], v35 offset1:1
	;; [unrolled: 1-line block ×3, first 2 shown]
	s_waitcnt lgkmcnt(4)
	v_fma_f32 v32, -v24, v55, v32
	s_waitcnt lgkmcnt(3)
	v_fma_f32 v32, -v25, v57, v32
	;; [unrolled: 2-line block ×4, first 2 shown]
	s_waitcnt lgkmcnt(0)
	v_mul_f32_e32 v32, v65, v32
	ds_write_b32 v28, v32 offset:2304
	v_fma_f32 v28, -v4, v62, v29
	v_fma_f32 v28, -v5, v68, v28
	;; [unrolled: 1-line block ×10, first 2 shown]
	s_add_i32 s41, s40, 0xfffff8f8
	v_fma_f32 v28, -v19, v50, v28
	v_mov_b32_e32 v33, s41
	v_fma_f32 v28, -v21, v52, v28
	ds_read_b32 v33, v33
	v_fma_f32 v28, -v24, v54, v28
	v_fma_f32 v28, -v25, v56, v28
	;; [unrolled: 1-line block ×4, first 2 shown]
	s_sub_i32 s41, s26, 20
	v_fma_f32 v28, -v32, v64, v28
	s_add_i32 s42, s41, s39
	s_waitcnt lgkmcnt(0)
	v_mul_f32_e32 v28, v33, v28
	s_lshl_b32 s42, s42, 2
	ds_write_b32 v27, v28 offset:2304
	v_mov_b32_e32 v27, s42
	s_add_i32 s42, s41, s38
	s_lshl_b32 s42, s42, 2
	v_mov_b32_e32 v29, s42
	s_add_i32 s42, s41, s37
	s_lshl_b32 s42, s42, 2
	v_mov_b32_e32 v33, s42
	ds_read2_b32 v[34:35], v27 offset1:1
	ds_read2_b32 v[36:37], v29 offset1:1
	;; [unrolled: 1-line block ×3, first 2 shown]
	s_add_i32 s42, s41, s36
	s_lshl_b32 s42, s42, 2
	v_mov_b32_e32 v27, s42
	s_waitcnt lgkmcnt(2)
	v_fma_f32 v26, -v4, v35, v26
	s_add_i32 s42, s41, s35
	s_waitcnt lgkmcnt(1)
	v_fma_f32 v26, -v5, v37, v26
	s_lshl_b32 s42, s42, 2
	s_waitcnt lgkmcnt(0)
	v_fma_f32 v29, -v6, v39, v26
	v_mov_b32_e32 v26, s42
	s_add_i32 s42, s41, s34
	s_lshl_b32 s42, s42, 2
	ds_read2_b32 v[40:41], v27 offset1:1
	v_mov_b32_e32 v33, s42
	s_add_i32 s42, s41, s30
	s_lshl_b32 s42, s42, 2
	v_mov_b32_e32 v35, s42
	s_add_i32 s42, s41, s29
	s_lshl_b32 s42, s42, 2
	v_mov_b32_e32 v37, s42
	ds_read2_b32 v[26:27], v26 offset1:1
	ds_read2_b32 v[42:43], v33 offset1:1
	;; [unrolled: 1-line block ×4, first 2 shown]
	s_add_i32 s42, s41, s33
	s_waitcnt lgkmcnt(4)
	v_fma_f32 v29, -v7, v41, v29
	s_lshl_b32 s42, s42, 2
	s_waitcnt lgkmcnt(3)
	v_fma_f32 v27, -v8, v27, v29
	v_mov_b32_e32 v29, s42
	s_add_i32 s42, s41, s31
	s_lshl_b32 s42, s42, 2
	v_mov_b32_e32 v33, s42
	s_add_i32 s42, s41, s28
	s_lshl_b32 s42, s42, 2
	;; [unrolled: 3-line block ×3, first 2 shown]
	ds_read2_b32 v[48:49], v29 offset1:1
	ds_read2_b32 v[50:51], v33 offset1:1
	;; [unrolled: 1-line block ×3, first 2 shown]
	v_mov_b32_e32 v29, s42
	s_add_i32 s42, s41, s25
	s_lshl_b32 s42, s42, 2
	ds_read2_b32 v[54:55], v29 offset1:1
	v_mov_b32_e32 v29, s42
	s_add_i32 s42, s41, s24
	s_lshl_b32 s42, s42, 2
	s_waitcnt lgkmcnt(6)
	v_fma_f32 v27, -v9, v43, v27
	v_mov_b32_e32 v33, s42
	s_add_i32 s42, s41, s20
	s_waitcnt lgkmcnt(5)
	v_fma_f32 v27, -v10, v45, v27
	s_lshl_b32 s42, s42, 2
	s_waitcnt lgkmcnt(4)
	v_fma_f32 v27, -v13, v47, v27
	v_mov_b32_e32 v35, s42
	s_add_i32 s42, s41, s19
	s_waitcnt lgkmcnt(3)
	v_fma_f32 v27, -v16, v49, v27
	;; [unrolled: 7-line block ×3, first 2 shown]
	ds_read2_b32 v[56:57], v29 offset1:1
	ds_read2_b32 v[58:59], v33 offset1:1
	;; [unrolled: 1-line block ×4, first 2 shown]
	s_lshl_b32 s42, s42, 2
	s_waitcnt lgkmcnt(4)
	v_fma_f32 v27, -v21, v55, v27
	v_mov_b32_e32 v29, s42
	s_add_i32 s42, s41, s21
	s_add_i32 s41, s41, s18
	s_waitcnt lgkmcnt(3)
	v_fma_f32 v27, -v24, v57, v27
	s_lshl_b32 s42, s42, 2
	s_lshl_b32 s41, s41, 2
	s_waitcnt lgkmcnt(2)
	v_fma_f32 v27, -v25, v59, v27
	v_mov_b32_e32 v33, s42
	v_mov_b32_e32 v35, s41
	ds_read2_b32 v[64:65], v29 offset1:1
	ds_read2_b32 v[66:67], v33 offset1:1
	;; [unrolled: 1-line block ×3, first 2 shown]
	s_waitcnt lgkmcnt(4)
	v_fma_f32 v27, -v30, v61, v27
	s_waitcnt lgkmcnt(3)
	v_fma_f32 v27, -v31, v63, v27
	;; [unrolled: 2-line block ×4, first 2 shown]
	s_waitcnt lgkmcnt(0)
	v_mul_f32_e32 v33, v69, v27
	ds_write_b32 v22, v33 offset:2304
	v_fma_f32 v22, -v4, v34, v23
	v_fma_f32 v22, -v5, v36, v22
	;; [unrolled: 1-line block ×12, first 2 shown]
	s_add_i32 s41, s40, 0xfffff830
	v_fma_f32 v22, -v24, v56, v22
	v_mov_b32_e32 v29, s41
	v_fma_f32 v22, -v25, v58, v22
	ds_read_b32 v29, v29
	v_fma_f32 v22, -v30, v60, v22
	v_fma_f32 v22, -v31, v62, v22
	v_fma_f32 v22, -v32, v64, v22
	s_sub_i32 s41, s26, 22
	v_fma_f32 v22, -v28, v66, v22
	s_add_i32 s42, s41, s39
	v_fma_f32 v22, -v33, v68, v22
	s_lshl_b32 s42, s42, 2
	s_waitcnt lgkmcnt(0)
	v_mul_f32_e32 v29, v29, v22
	v_mov_b32_e32 v22, s42
	s_add_i32 s42, s41, s38
	s_lshl_b32 s42, s42, 2
	v_mov_b32_e32 v26, s42
	s_add_i32 s42, s41, s37
	s_lshl_b32 s42, s42, 2
	v_mov_b32_e32 v34, s42
	s_add_i32 s42, s41, s36
	s_lshl_b32 s42, s42, 2
	v_mov_b32_e32 v36, s42
	ds_read2_b32 v[22:23], v22 offset1:1
	ds_read2_b32 v[26:27], v26 offset1:1
	;; [unrolled: 1-line block ×4, first 2 shown]
	s_add_i32 s42, s41, s35
	s_lshl_b32 s42, s42, 2
	ds_write_b32 v18, v29 offset:2304
	s_waitcnt lgkmcnt(4)
	v_fma_f32 v18, -v4, v23, v20
	v_mov_b32_e32 v20, s42
	s_add_i32 s42, s41, s34
	s_lshl_b32 s42, s42, 2
	v_mov_b32_e32 v23, s42
	s_add_i32 s42, s41, s30
	s_lshl_b32 s42, s42, 2
	s_waitcnt lgkmcnt(3)
	v_fma_f32 v18, -v5, v27, v18
	v_mov_b32_e32 v27, s42
	s_add_i32 s42, s41, s29
	s_lshl_b32 s42, s42, 2
	ds_read2_b32 v[38:39], v20 offset1:1
	ds_read2_b32 v[40:41], v23 offset1:1
	;; [unrolled: 1-line block ×3, first 2 shown]
	v_mov_b32_e32 v20, s42
	s_add_i32 s42, s41, s33
	s_lshl_b32 s42, s42, 2
	ds_read2_b32 v[44:45], v20 offset1:1
	v_mov_b32_e32 v20, s42
	s_add_i32 s42, s41, s31
	s_lshl_b32 s42, s42, 2
	v_mov_b32_e32 v23, s42
	s_add_i32 s42, s41, s28
	s_lshl_b32 s42, s42, 2
	;; [unrolled: 3-line block ×3, first 2 shown]
	s_waitcnt lgkmcnt(6)
	v_fma_f32 v18, -v6, v35, v18
	v_mov_b32_e32 v35, s42
	s_add_i32 s42, s41, s25
	s_lshl_b32 s42, s42, 2
	ds_read2_b32 v[46:47], v20 offset1:1
	ds_read2_b32 v[48:49], v23 offset1:1
	;; [unrolled: 1-line block ×4, first 2 shown]
	v_mov_b32_e32 v20, s42
	s_add_i32 s42, s41, s24
	s_lshl_b32 s42, s42, 2
	v_mov_b32_e32 v23, s42
	s_add_i32 s42, s41, s20
	s_waitcnt lgkmcnt(9)
	v_fma_f32 v18, -v7, v37, v18
	s_lshl_b32 s42, s42, 2
	s_waitcnt lgkmcnt(7)
	v_fma_f32 v18, -v8, v39, v18
	v_mov_b32_e32 v27, s42
	s_add_i32 s42, s41, s19
	s_waitcnt lgkmcnt(6)
	v_fma_f32 v18, -v9, v41, v18
	s_lshl_b32 s42, s42, 2
	s_waitcnt lgkmcnt(5)
	v_fma_f32 v18, -v10, v43, v18
	ds_read2_b32 v[54:55], v20 offset1:1
	ds_read2_b32 v[56:57], v23 offset1:1
	;; [unrolled: 1-line block ×3, first 2 shown]
	v_mov_b32_e32 v20, s42
	s_add_i32 s42, s41, s23
	s_waitcnt lgkmcnt(7)
	v_fma_f32 v18, -v13, v45, v18
	s_lshl_b32 s42, s42, 2
	s_waitcnt lgkmcnt(6)
	v_fma_f32 v18, -v16, v47, v18
	ds_read2_b32 v[60:61], v20 offset1:1
	v_mov_b32_e32 v20, s42
	s_add_i32 s42, s41, s21
	s_waitcnt lgkmcnt(6)
	v_fma_f32 v18, -v17, v49, v18
	s_lshl_b32 s42, s42, 2
	s_waitcnt lgkmcnt(5)
	v_fma_f32 v18, -v19, v51, v18
	v_mov_b32_e32 v23, s42
	s_add_i32 s42, s41, s18
	s_waitcnt lgkmcnt(4)
	v_fma_f32 v18, -v21, v53, v18
	s_lshl_b32 s42, s42, 2
	s_waitcnt lgkmcnt(3)
	v_fma_f32 v18, -v24, v55, v18
	v_mov_b32_e32 v27, s42
	s_add_i32 s42, s41, s15
	s_add_i32 s41, s41, s14
	s_waitcnt lgkmcnt(2)
	v_fma_f32 v18, -v25, v57, v18
	s_lshl_b32 s42, s42, 2
	s_lshl_b32 s41, s41, 2
	s_waitcnt lgkmcnt(1)
	v_fma_f32 v18, -v30, v59, v18
	v_mov_b32_e32 v35, s42
	ds_read2_b32 v[62:63], v20 offset1:1
	ds_read2_b32 v[64:65], v23 offset1:1
	;; [unrolled: 1-line block ×4, first 2 shown]
	v_mov_b32_e32 v20, s41
	s_waitcnt lgkmcnt(4)
	v_fma_f32 v18, -v31, v61, v18
	ds_read2_b32 v[70:71], v20 offset1:1
	s_waitcnt lgkmcnt(4)
	v_fma_f32 v18, -v32, v63, v18
	s_waitcnt lgkmcnt(3)
	v_fma_f32 v18, -v28, v65, v18
	s_add_i32 s41, s40, 0xfffff768
	s_waitcnt lgkmcnt(2)
	v_fma_f32 v18, -v33, v67, v18
	v_mov_b32_e32 v23, s41
	s_sub_i32 s41, s26, 24
	s_waitcnt lgkmcnt(1)
	v_fma_f32 v18, -v29, v69, v18
	s_add_i32 s39, s41, s39
	s_add_i32 s38, s41, s38
	s_lshl_b32 s39, s39, 2
	s_lshl_b32 s38, s38, 2
	s_waitcnt lgkmcnt(0)
	v_mul_f32_e32 v18, v71, v18
	v_mov_b32_e32 v27, s39
	v_mov_b32_e32 v20, s38
	ds_read_b32 v23, v23
	ds_read2_b32 v[72:73], v27 offset1:1
	ds_read2_b32 v[74:75], v20 offset1:1
	ds_write_b32 v14, v18 offset:2304
	v_fma_f32 v14, -v4, v22, v15
	v_fma_f32 v14, -v5, v26, v14
	v_fma_f32 v14, -v6, v34, v14
	v_fma_f32 v14, -v7, v36, v14
	v_fma_f32 v14, -v8, v38, v14
	v_fma_f32 v14, -v9, v40, v14
	v_fma_f32 v14, -v10, v42, v14
	v_fma_f32 v14, -v13, v44, v14
	v_fma_f32 v14, -v16, v46, v14
	v_fma_f32 v14, -v17, v48, v14
	v_fma_f32 v14, -v19, v50, v14
	v_fma_f32 v14, -v21, v52, v14
	v_fma_f32 v14, -v24, v54, v14
	v_fma_f32 v14, -v25, v56, v14
	v_fma_f32 v14, -v30, v58, v14
	v_fma_f32 v14, -v31, v60, v14
	v_fma_f32 v14, -v32, v62, v14
	v_fma_f32 v14, -v28, v64, v14
	v_fma_f32 v14, -v33, v66, v14
	v_fma_f32 v14, -v29, v68, v14
	v_fma_f32 v14, -v18, v70, v14
	s_add_i32 s37, s41, s37
	s_add_i32 s36, s41, s36
	;; [unrolled: 1-line block ×3, first 2 shown]
	s_waitcnt lgkmcnt(3)
	v_mul_f32_e32 v20, v23, v14
	s_lshl_b32 s37, s37, 2
	s_lshl_b32 s36, s36, 2
	;; [unrolled: 1-line block ×3, first 2 shown]
	ds_write_b32 v11, v20 offset:2304
	s_waitcnt lgkmcnt(3)
	v_fma_f32 v11, -v4, v73, v12
	v_mov_b32_e32 v12, s37
	v_mov_b32_e32 v22, s36
	;; [unrolled: 1-line block ×3, first 2 shown]
	s_add_i32 s34, s41, s34
	ds_read2_b32 v[14:15], v12 offset1:1
	ds_read2_b32 v[22:23], v22 offset1:1
	;; [unrolled: 1-line block ×3, first 2 shown]
	s_lshl_b32 s34, s34, 2
	s_add_i32 s29, s41, s29
	s_waitcnt lgkmcnt(5)
	v_fma_f32 v11, -v5, v75, v11
	v_mov_b32_e32 v12, s34
	s_lshl_b32 s29, s29, 2
	ds_read2_b32 v[34:35], v12 offset1:1
	s_waitcnt lgkmcnt(3)
	v_fma_f32 v11, -v6, v15, v11
	v_mov_b32_e32 v15, s29
	s_add_i32 s29, s41, s33
	s_add_i32 s30, s41, s30
	s_lshl_b32 s29, s29, 2
	s_waitcnt lgkmcnt(2)
	v_fma_f32 v11, -v7, v23, v11
	s_lshl_b32 s30, s30, 2
	v_mov_b32_e32 v23, s29
	s_add_i32 s29, s41, s31
	v_mov_b32_e32 v12, s30
	s_lshl_b32 s29, s29, 2
	s_waitcnt lgkmcnt(1)
	v_fma_f32 v11, -v8, v27, v11
	v_mov_b32_e32 v27, s29
	ds_read2_b32 v[36:37], v12 offset1:1
	ds_read2_b32 v[38:39], v15 offset1:1
	;; [unrolled: 1-line block ×4, first 2 shown]
	s_add_i32 s28, s41, s28
	s_waitcnt lgkmcnt(4)
	v_fma_f32 v11, -v9, v35, v11
	s_lshl_b32 s28, s28, 2
	s_add_i32 s27, s41, s27
	s_add_i32 s25, s41, s25
	s_add_i32 s24, s41, s24
	s_waitcnt lgkmcnt(3)
	v_fma_f32 v11, -v10, v37, v11
	v_mov_b32_e32 v12, s28
	s_lshl_b32 s27, s27, 2
	s_lshl_b32 s25, s25, 2
	;; [unrolled: 1-line block ×3, first 2 shown]
	s_add_i32 s19, s41, s19
	s_waitcnt lgkmcnt(2)
	v_fma_f32 v11, -v13, v39, v11
	v_mov_b32_e32 v15, s27
	v_mov_b32_e32 v23, s25
	ds_read2_b32 v[44:45], v12 offset1:1
	ds_read2_b32 v[46:47], v15 offset1:1
	;; [unrolled: 1-line block ×3, first 2 shown]
	v_mov_b32_e32 v12, s24
	s_lshl_b32 s19, s19, 2
	s_waitcnt lgkmcnt(4)
	v_fma_f32 v11, -v16, v41, v11
	ds_read2_b32 v[50:51], v12 offset1:1
	v_mov_b32_e32 v15, s19
	s_add_i32 s19, s41, s23
	s_waitcnt lgkmcnt(4)
	v_fma_f32 v11, -v17, v43, v11
	s_add_i32 s20, s41, s20
	s_lshl_b32 s19, s19, 2
	s_waitcnt lgkmcnt(3)
	v_fma_f32 v11, -v19, v45, v11
	s_lshl_b32 s20, s20, 2
	v_mov_b32_e32 v23, s19
	s_add_i32 s19, s41, s21
	s_waitcnt lgkmcnt(2)
	v_fma_f32 v11, -v21, v47, v11
	v_mov_b32_e32 v12, s20
	s_lshl_b32 s19, s19, 2
	s_waitcnt lgkmcnt(1)
	v_fma_f32 v11, -v24, v49, v11
	v_mov_b32_e32 v27, s19
	ds_read2_b32 v[52:53], v12 offset1:1
	ds_read2_b32 v[54:55], v15 offset1:1
	;; [unrolled: 1-line block ×4, first 2 shown]
	s_add_i32 s18, s41, s18
	s_waitcnt lgkmcnt(4)
	v_fma_f32 v11, -v25, v51, v11
	s_lshl_b32 s18, s18, 2
	s_add_i32 s15, s41, s15
	s_add_i32 s14, s41, s14
	;; [unrolled: 1-line block ×3, first 2 shown]
	s_waitcnt lgkmcnt(3)
	v_fma_f32 v11, -v30, v53, v11
	v_mov_b32_e32 v12, s18
	s_lshl_b32 s15, s15, 2
	s_lshl_b32 s14, s14, 2
	;; [unrolled: 1-line block ×3, first 2 shown]
	s_add_i32 s41, s41, s8
	s_waitcnt lgkmcnt(2)
	v_fma_f32 v11, -v31, v55, v11
	v_mov_b32_e32 v15, s15
	v_mov_b32_e32 v23, s14
	ds_read2_b32 v[60:61], v12 offset1:1
	ds_read2_b32 v[62:63], v15 offset1:1
	;; [unrolled: 1-line block ×3, first 2 shown]
	v_mov_b32_e32 v12, s9
	s_lshl_b32 s8, s41, 2
	s_waitcnt lgkmcnt(4)
	v_fma_f32 v11, -v32, v57, v11
	ds_read2_b32 v[66:67], v12 offset1:1
	v_mov_b32_e32 v12, s8
	s_waitcnt lgkmcnt(4)
	v_fma_f32 v11, -v28, v59, v11
	ds_read2_b32 v[68:69], v12 offset1:1
	s_waitcnt lgkmcnt(4)
	v_fma_f32 v11, -v33, v61, v11
	s_waitcnt lgkmcnt(3)
	v_fma_f32 v11, -v29, v63, v11
	;; [unrolled: 2-line block ×4, first 2 shown]
	s_waitcnt lgkmcnt(0)
	v_mul_f32_e32 v11, v69, v11
	ds_write_b32 v2, v11 offset:2304
	v_fma_f32 v2, -v4, v72, v3
	v_fma_f32 v2, -v5, v74, v2
	;; [unrolled: 1-line block ×16, first 2 shown]
	s_add_i32 s8, s40, 0xfffff6a0
	v_fma_f32 v2, -v32, v56, v2
	v_mov_b32_e32 v12, s8
	v_fma_f32 v2, -v28, v58, v2
	ds_read_b32 v12, v12
	v_fma_f32 v2, -v33, v60, v2
	v_fma_f32 v2, -v29, v62, v2
	;; [unrolled: 1-line block ×5, first 2 shown]
	s_waitcnt lgkmcnt(0)
	v_mul_f32_e32 v2, v12, v2
	s_sub_i32 s8, s26, 25
	ds_write_b32 v1, v2 offset:2304
.LBB26_51:
	s_cmp_gt_i32 s8, -1
	s_cbranch_scc0 .LBB26_70
; %bb.52:
	s_cmp_lt_u32 s8, 19
	s_cbranch_scc1 .LBB26_57
; %bb.53:
	s_mul_i32 s9, s8, 24
	v_add_lshl_u32 v1, s9, v0, 2
	s_sub_i32 s14, s9, 24
	v_add_u32_e32 v2, 0x600, v1
	v_add_lshl_u32 v22, s14, v0, 2
	ds_read_b32 v21, v1 offset:2304
	ds_read_b32 v20, v22 offset:2304
	ds_read2_b32 v[18:19], v2 offset0:120 offset1:144
	v_add_u32_e32 v2, 0x400, v1
	ds_read2_b32 v[16:17], v2 offset0:200 offset1:224
	ds_read2_b32 v[14:15], v2 offset0:152 offset1:176
	;; [unrolled: 1-line block ×8, first 2 shown]
	s_cmp_le_i32 s6, s8
	s_cbranch_scc1 .LBB26_56
; %bb.54:
	s_mul_i32 s18, s26, 0x60
	s_lshl_b32 s15, s8, 2
	s_add_i32 s15, s18, s15
	v_lshl_add_u32 v23, v0, 2, s18
	s_addk_i32 s15, 0xff54
	v_add_u32_e32 v23, 0x8a0, v23
	s_mov_b32 s18, s6
.LBB26_55:                              ; =>This Inner Loop Header: Depth=1
	v_mov_b32_e32 v25, s15
	ds_read_b32 v24, v23
	ds_read2_b32 v[26:27], v25 offset0:18 offset1:19
	ds_read2_b32 v[28:29], v25 offset0:16 offset1:17
	;; [unrolled: 1-line block ×9, first 2 shown]
	ds_read2_b32 v[44:45], v25 offset1:1
	s_add_i32 s18, s18, -1
	s_addk_i32 s15, 0xffa0
	v_add_u32_e32 v23, 0xffffffa0, v23
	s_cmp_gt_i32 s18, s8
	s_waitcnt lgkmcnt(9)
	v_pk_fma_f32 v[20:21], v[24:25], v[26:27], v[20:21] op_sel_hi:[0,1,1] neg_lo:[1,0,0] neg_hi:[1,0,0]
	s_waitcnt lgkmcnt(8)
	v_pk_fma_f32 v[18:19], v[24:25], v[28:29], v[18:19] op_sel_hi:[0,1,1] neg_lo:[1,0,0] neg_hi:[1,0,0]
	;; [unrolled: 2-line block ×10, first 2 shown]
	s_cbranch_scc1 .LBB26_55
.LBB26_56:
	s_mul_i32 s15, s8, 0x64
	s_add_i32 s18, s15, -4
	v_add_u32_e32 v23, 0x900, v1
	v_mov_b32_e32 v1, s18
	s_add_i32 s18, s15, 0xffffff9c
	s_add_i32 s19, s8, -3
	v_mov_b32_e32 v26, s18
	s_add_i32 s18, s19, s9
	ds_read2_b32 v[24:25], v1 offset1:1
	s_lshl_b32 s18, s18, 2
	v_mov_b32_e32 v27, s18
	s_add_i32 s18, s19, s14
	s_lshl_b32 s18, s18, 2
	v_mov_b32_e32 v1, s18
	ds_read_b32 v30, v26
	ds_read2_b32 v[26:27], v27 offset1:1
	ds_read2_b32 v[28:29], v1 offset1:1
	s_sub_i32 s18, s14, 24
	s_waitcnt lgkmcnt(3)
	v_mul_f32_e32 v1, v25, v21
	s_add_i32 s19, s19, s18
	v_fma_f32 v20, -v1, v24, v20
	s_lshl_b32 s19, s19, 2
	v_add_u32_e32 v22, 0x900, v22
	s_waitcnt lgkmcnt(2)
	v_mul_f32_e32 v20, v30, v20
	v_mov_b32_e32 v21, s19
	s_add_i32 s19, s15, 0xfffffed4
	s_add_i32 s21, s8, -5
	ds_write_b32 v23, v1
	ds_write_b32 v22, v20
	v_mov_b32_e32 v24, s19
	s_add_i32 s19, s21, s9
	ds_read2_b32 v[22:23], v21 offset1:1
	s_lshl_b32 s19, s19, 2
	v_mov_b32_e32 v25, s19
	s_add_i32 s19, s21, s14
	s_waitcnt lgkmcnt(4)
	v_fma_f32 v19, -v1, v27, v19
	s_lshl_b32 s19, s19, 2
	s_waitcnt lgkmcnt(3)
	v_fma_f32 v19, -v20, v29, v19
	v_mov_b32_e32 v21, s19
	ds_read_b32 v27, v24
	ds_read2_b32 v[24:25], v25 offset1:1
	ds_read2_b32 v[30:31], v21 offset1:1
	v_fma_f32 v18, -v1, v26, v18
	s_waitcnt lgkmcnt(3)
	v_mul_f32_e32 v19, v23, v19
	v_fma_f32 v18, -v20, v28, v18
	v_add_lshl_u32 v21, s18, v0, 2
	v_fma_f32 v18, -v19, v22, v18
	s_sub_i32 s19, s14, 48
	s_add_i32 s20, s21, s18
	ds_write_b32 v21, v19 offset:2304
	s_waitcnt lgkmcnt(3)
	v_mul_f32_e32 v18, v27, v18
	v_add_lshl_u32 v21, s19, v0, 2
	s_lshl_b32 s20, s20, 2
	ds_write_b32 v21, v18 offset:2304
	v_mov_b32_e32 v21, s20
	s_add_i32 s20, s21, s19
	s_lshl_b32 s20, s20, 2
	s_waitcnt lgkmcnt(3)
	v_fma_f32 v17, -v1, v25, v17
	v_mov_b32_e32 v25, s20
	s_add_i32 s20, s14, 0xffffffb8
	s_add_i32 s21, s21, s20
	s_lshl_b32 s21, s21, 2
	v_mov_b32_e32 v28, s21
	s_add_i32 s21, s15, 0xfffffe0c
	ds_read2_b32 v[22:23], v21 offset1:1
	ds_read2_b32 v[26:27], v25 offset1:1
	;; [unrolled: 1-line block ×3, first 2 shown]
	v_mov_b32_e32 v21, s21
	s_waitcnt lgkmcnt(5)
	v_fma_f32 v17, -v20, v31, v17
	ds_read_b32 v21, v21
	v_fma_f32 v16, -v1, v24, v16
	s_waitcnt lgkmcnt(3)
	v_fma_f32 v17, -v19, v23, v17
	v_fma_f32 v16, -v20, v30, v16
	s_waitcnt lgkmcnt(2)
	v_fma_f32 v17, -v18, v27, v17
	v_fma_f32 v16, -v19, v22, v16
	s_waitcnt lgkmcnt(1)
	v_mul_f32_e32 v17, v29, v17
	v_fma_f32 v16, -v18, v26, v16
	s_add_i32 s24, s8, -7
	v_fma_f32 v16, -v17, v28, v16
	s_add_i32 s21, s14, 0xffffffa0
	s_add_i32 s23, s24, s9
	s_waitcnt lgkmcnt(0)
	v_mul_f32_e32 v16, v21, v16
	v_add_lshl_u32 v21, s21, v0, 2
	s_lshl_b32 s23, s23, 2
	ds_write_b32 v21, v16 offset:2304
	v_mov_b32_e32 v21, s23
	s_add_i32 s23, s24, s14
	s_lshl_b32 s23, s23, 2
	v_mov_b32_e32 v24, s23
	s_add_i32 s23, s24, s18
	s_lshl_b32 s23, s23, 2
	v_add_lshl_u32 v23, s20, v0, 2
	v_mov_b32_e32 v26, s23
	s_add_i32 s23, s24, s19
	ds_write_b32 v23, v17 offset:2304
	s_lshl_b32 s23, s23, 2
	ds_read2_b32 v[22:23], v21 offset1:1
	ds_read2_b32 v[24:25], v24 offset1:1
	;; [unrolled: 1-line block ×3, first 2 shown]
	v_mov_b32_e32 v21, s23
	s_add_i32 s23, s24, s20
	s_lshl_b32 s23, s23, 2
	ds_read2_b32 v[28:29], v21 offset1:1
	v_mov_b32_e32 v21, s23
	s_add_i32 s23, s24, s21
	s_lshl_b32 s23, s23, 2
	s_waitcnt lgkmcnt(3)
	v_fma_f32 v15, -v1, v23, v15
	v_mov_b32_e32 v23, s23
	s_add_i32 s23, s15, 0xfffffda8
	ds_read2_b32 v[30:31], v21 offset1:1
	ds_read2_b32 v[32:33], v23 offset1:1
	v_mov_b32_e32 v21, s23
	s_waitcnt lgkmcnt(4)
	v_fma_f32 v15, -v20, v25, v15
	ds_read_b32 v21, v21
	s_waitcnt lgkmcnt(4)
	v_fma_f32 v15, -v19, v27, v15
	s_waitcnt lgkmcnt(3)
	v_fma_f32 v15, -v18, v29, v15
	;; [unrolled: 2-line block ×3, first 2 shown]
	s_add_i32 s23, s14, 0xffffff88
	s_waitcnt lgkmcnt(1)
	v_fma_f32 v15, -v16, v33, v15
	s_add_i32 s24, s24, s23
	s_waitcnt lgkmcnt(0)
	v_mul_f32_e32 v15, v21, v15
	v_add_lshl_u32 v21, s23, v0, 2
	s_lshl_b32 s24, s24, 2
	ds_write_b32 v21, v15 offset:2304
	v_fma_f32 v14, -v1, v22, v14
	v_mov_b32_e32 v21, s24
	s_add_i32 s24, s15, 0xfffffd44
	v_fma_f32 v14, -v20, v24, v14
	ds_read_b32 v21, v21
	v_mov_b32_e32 v22, s24
	v_fma_f32 v14, -v19, v26, v14
	ds_read_b32 v22, v22
	v_fma_f32 v14, -v18, v28, v14
	v_fma_f32 v14, -v17, v30, v14
	s_add_i32 s27, s8, -9
	v_fma_f32 v14, -v16, v32, v14
	s_add_i32 s25, s27, s9
	s_waitcnt lgkmcnt(1)
	v_fma_f32 v14, -v15, v21, v14
	s_lshl_b32 s25, s25, 2
	s_waitcnt lgkmcnt(0)
	v_mul_f32_e32 v14, v22, v14
	v_mov_b32_e32 v22, s25
	s_add_i32 s25, s27, s14
	s_lshl_b32 s25, s25, 2
	v_mov_b32_e32 v24, s25
	s_add_i32 s25, s27, s18
	s_lshl_b32 s25, s25, 2
	;; [unrolled: 3-line block ×3, first 2 shown]
	s_add_i32 s24, s14, 0xffffff70
	v_mov_b32_e32 v28, s25
	s_add_i32 s25, s27, s20
	v_add_lshl_u32 v21, s24, v0, 2
	s_lshl_b32 s25, s25, 2
	ds_read2_b32 v[22:23], v22 offset1:1
	ds_read2_b32 v[24:25], v24 offset1:1
	;; [unrolled: 1-line block ×4, first 2 shown]
	ds_write_b32 v21, v14 offset:2304
	v_mov_b32_e32 v21, s25
	s_add_i32 s25, s27, s21
	s_lshl_b32 s25, s25, 2
	s_waitcnt lgkmcnt(4)
	v_fma_f32 v13, -v1, v23, v13
	v_mov_b32_e32 v23, s25
	s_add_i32 s25, s27, s23
	s_lshl_b32 s25, s25, 2
	s_waitcnt lgkmcnt(3)
	v_fma_f32 v13, -v20, v25, v13
	v_mov_b32_e32 v25, s25
	s_add_i32 s25, s27, s24
	ds_read2_b32 v[30:31], v21 offset1:1
	s_lshl_b32 s25, s25, 2
	v_mov_b32_e32 v21, s25
	s_add_i32 s25, s15, 0xfffffce0
	s_waitcnt lgkmcnt(3)
	v_fma_f32 v13, -v19, v27, v13
	ds_read2_b32 v[32:33], v23 offset1:1
	ds_read2_b32 v[34:35], v25 offset1:1
	ds_read2_b32 v[36:37], v21 offset1:1
	v_mov_b32_e32 v21, s25
	s_waitcnt lgkmcnt(5)
	v_fma_f32 v13, -v18, v29, v13
	ds_read_b32 v21, v21
	s_waitcnt lgkmcnt(4)
	v_fma_f32 v13, -v17, v31, v13
	s_waitcnt lgkmcnt(3)
	v_fma_f32 v13, -v16, v33, v13
	;; [unrolled: 2-line block ×3, first 2 shown]
	s_add_i32 s25, s14, 0xffffff58
	s_waitcnt lgkmcnt(1)
	v_fma_f32 v13, -v14, v37, v13
	v_fma_f32 v12, -v1, v22, v12
	s_add_i32 s27, s27, s25
	s_waitcnt lgkmcnt(0)
	v_mul_f32_e32 v13, v21, v13
	v_add_lshl_u32 v21, s25, v0, 2
	v_fma_f32 v12, -v20, v24, v12
	s_lshl_b32 s27, s27, 2
	ds_write_b32 v21, v13 offset:2304
	v_fma_f32 v12, -v19, v26, v12
	v_mov_b32_e32 v21, s27
	s_add_i32 s27, s15, 0xfffffc7c
	v_fma_f32 v12, -v18, v28, v12
	ds_read_b32 v21, v21
	v_mov_b32_e32 v22, s27
	v_fma_f32 v12, -v17, v30, v12
	ds_read_b32 v22, v22
	v_fma_f32 v12, -v16, v32, v12
	v_fma_f32 v12, -v15, v34, v12
	;; [unrolled: 1-line block ×3, first 2 shown]
	s_add_i32 s29, s8, -11
	s_waitcnt lgkmcnt(1)
	v_fma_f32 v12, -v13, v21, v12
	s_add_i32 s27, s14, 0xffffff40
	s_add_i32 s28, s29, s9
	s_waitcnt lgkmcnt(0)
	v_mul_f32_e32 v12, v22, v12
	v_add_lshl_u32 v21, s27, v0, 2
	s_lshl_b32 s28, s28, 2
	ds_write_b32 v21, v12 offset:2304
	v_mov_b32_e32 v21, s28
	s_add_i32 s28, s29, s14
	s_lshl_b32 s28, s28, 2
	v_mov_b32_e32 v24, s28
	s_add_i32 s28, s29, s18
	s_lshl_b32 s28, s28, 2
	;; [unrolled: 3-line block ×3, first 2 shown]
	ds_read2_b32 v[22:23], v21 offset1:1
	ds_read2_b32 v[24:25], v24 offset1:1
	;; [unrolled: 1-line block ×3, first 2 shown]
	v_mov_b32_e32 v21, s28
	s_add_i32 s28, s29, s20
	s_lshl_b32 s28, s28, 2
	ds_read2_b32 v[28:29], v21 offset1:1
	v_mov_b32_e32 v21, s28
	s_add_i32 s28, s29, s21
	s_lshl_b32 s28, s28, 2
	s_waitcnt lgkmcnt(3)
	v_fma_f32 v11, -v1, v23, v11
	v_mov_b32_e32 v23, s28
	s_add_i32 s28, s29, s23
	s_lshl_b32 s28, s28, 2
	s_waitcnt lgkmcnt(2)
	v_fma_f32 v11, -v20, v25, v11
	;; [unrolled: 5-line block ×3, first 2 shown]
	v_mov_b32_e32 v27, s28
	s_add_i32 s28, s29, s25
	s_lshl_b32 s28, s28, 2
	ds_read2_b32 v[30:31], v21 offset1:1
	ds_read2_b32 v[32:33], v23 offset1:1
	;; [unrolled: 1-line block ×4, first 2 shown]
	v_mov_b32_e32 v21, s28
	s_add_i32 s28, s29, s27
	s_lshl_b32 s28, s28, 2
	v_fma_f32 v10, -v1, v22, v10
	v_mov_b32_e32 v23, s28
	s_add_i32 s28, s9, 0xffffff10
	v_fma_f32 v10, -v20, v24, v10
	s_add_i32 s31, s8, -13
	s_waitcnt lgkmcnt(4)
	v_fma_f32 v11, -v18, v29, v11
	s_add_i32 s29, s29, s28
	v_fma_f32 v10, -v19, v26, v10
	s_add_i32 s30, s31, s9
	s_waitcnt lgkmcnt(3)
	v_fma_f32 v11, -v17, v31, v11
	s_lshl_b32 s29, s29, 2
	v_fma_f32 v10, -v18, v28, v10
	s_lshl_b32 s30, s30, 2
	s_waitcnt lgkmcnt(2)
	v_fma_f32 v11, -v16, v33, v11
	v_mov_b32_e32 v25, s29
	s_add_i32 s29, s15, 0xfffffbb4
	ds_read2_b32 v[38:39], v21 offset1:1
	ds_read2_b32 v[40:41], v23 offset1:1
	;; [unrolled: 1-line block ×3, first 2 shown]
	v_fma_f32 v10, -v17, v30, v10
	v_mov_b32_e32 v22, s30
	s_add_i32 s30, s31, s14
	s_waitcnt lgkmcnt(4)
	v_fma_f32 v11, -v15, v35, v11
	v_mov_b32_e32 v21, s29
	v_fma_f32 v10, -v16, v32, v10
	s_lshl_b32 s30, s30, 2
	s_waitcnt lgkmcnt(3)
	v_fma_f32 v11, -v14, v37, v11
	ds_read_b32 v21, v21
	v_fma_f32 v10, -v15, v34, v10
	v_mov_b32_e32 v24, s30
	s_add_i32 s30, s31, s18
	s_waitcnt lgkmcnt(3)
	v_fma_f32 v11, -v13, v39, v11
	v_fma_f32 v10, -v14, v36, v10
	s_lshl_b32 s30, s30, 2
	s_waitcnt lgkmcnt(2)
	v_fma_f32 v11, -v12, v41, v11
	v_fma_f32 v10, -v13, v38, v10
	v_mov_b32_e32 v26, s30
	s_add_i32 s30, s31, s19
	s_waitcnt lgkmcnt(1)
	v_mul_f32_e32 v11, v43, v11
	v_fma_f32 v10, -v12, v40, v10
	s_lshl_b32 s30, s30, 2
	v_add_lshl_u32 v23, s28, v0, 2
	v_fma_f32 v10, -v11, v42, v10
	s_add_i32 s29, s9, 0xfffffef8
	v_mov_b32_e32 v28, s30
	s_add_i32 s30, s31, s20
	ds_write_b32 v23, v11 offset:2304
	s_waitcnt lgkmcnt(1)
	v_mul_f32_e32 v10, v21, v10
	v_add_lshl_u32 v21, s29, v0, 2
	s_lshl_b32 s30, s30, 2
	ds_read2_b32 v[22:23], v22 offset1:1
	ds_read2_b32 v[24:25], v24 offset1:1
	;; [unrolled: 1-line block ×4, first 2 shown]
	ds_write_b32 v21, v10 offset:2304
	v_mov_b32_e32 v21, s30
	s_add_i32 s30, s31, s21
	s_lshl_b32 s30, s30, 2
	s_waitcnt lgkmcnt(4)
	v_fma_f32 v9, -v1, v23, v9
	v_mov_b32_e32 v23, s30
	s_add_i32 s30, s31, s23
	s_lshl_b32 s30, s30, 2
	s_waitcnt lgkmcnt(3)
	v_fma_f32 v9, -v20, v25, v9
	v_mov_b32_e32 v25, s30
	s_add_i32 s30, s31, s24
	s_lshl_b32 s30, s30, 2
	ds_read2_b32 v[30:31], v21 offset1:1
	ds_read2_b32 v[32:33], v23 offset1:1
	;; [unrolled: 1-line block ×3, first 2 shown]
	v_mov_b32_e32 v21, s30
	s_add_i32 s30, s31, s25
	s_lshl_b32 s30, s30, 2
	ds_read2_b32 v[36:37], v21 offset1:1
	v_mov_b32_e32 v21, s30
	s_add_i32 s30, s31, s27
	s_lshl_b32 s30, s30, 2
	v_mov_b32_e32 v23, s30
	s_add_i32 s30, s31, s28
	s_lshl_b32 s30, s30, 2
	v_mov_b32_e32 v25, s30
	s_add_i32 s30, s31, s29
	v_fma_f32 v8, -v1, v22, v8
	s_waitcnt lgkmcnt(6)
	v_fma_f32 v9, -v19, v27, v9
	s_lshl_b32 s30, s30, 2
	v_fma_f32 v8, -v20, v24, v8
	s_waitcnt lgkmcnt(5)
	v_fma_f32 v9, -v18, v29, v9
	v_mov_b32_e32 v27, s30
	s_add_i32 s30, s9, 0xfffffee0
	v_fma_f32 v8, -v19, v26, v8
	s_waitcnt lgkmcnt(3)
	v_fma_f32 v9, -v17, v31, v9
	s_add_i32 s31, s31, s30
	v_fma_f32 v8, -v18, v28, v8
	s_waitcnt lgkmcnt(2)
	v_fma_f32 v9, -v16, v33, v9
	s_lshl_b32 s31, s31, 2
	v_fma_f32 v8, -v17, v30, v8
	s_waitcnt lgkmcnt(1)
	v_fma_f32 v9, -v15, v35, v9
	ds_read2_b32 v[38:39], v21 offset1:1
	ds_read2_b32 v[40:41], v23 offset1:1
	;; [unrolled: 1-line block ×4, first 2 shown]
	v_mov_b32_e32 v21, s31
	s_add_i32 s31, s15, 0xfffffaec
	s_add_i32 s34, s8, -15
	v_fma_f32 v8, -v16, v32, v8
	s_waitcnt lgkmcnt(4)
	v_fma_f32 v9, -v14, v37, v9
	v_mov_b32_e32 v23, s31
	s_add_i32 s31, s34, s9
	ds_read2_b32 v[46:47], v21 offset1:1
	v_fma_f32 v8, -v15, v34, v8
	s_waitcnt lgkmcnt(4)
	v_fma_f32 v9, -v13, v39, v9
	s_lshl_b32 s31, s31, 2
	v_fma_f32 v8, -v14, v36, v8
	s_waitcnt lgkmcnt(3)
	v_fma_f32 v9, -v12, v41, v9
	v_mov_b32_e32 v25, s31
	s_add_i32 s31, s34, s14
	v_fma_f32 v8, -v13, v38, v8
	s_waitcnt lgkmcnt(2)
	v_fma_f32 v9, -v11, v43, v9
	s_lshl_b32 s31, s31, 2
	v_fma_f32 v8, -v12, v40, v8
	s_waitcnt lgkmcnt(1)
	v_fma_f32 v9, -v10, v45, v9
	v_mov_b32_e32 v21, s31
	ds_read_b32 v23, v23
	ds_read2_b32 v[48:49], v25 offset1:1
	ds_read2_b32 v[50:51], v21 offset1:1
	v_fma_f32 v8, -v11, v42, v8
	s_waitcnt lgkmcnt(3)
	v_mul_f32_e32 v21, v47, v9
	v_fma_f32 v8, -v10, v44, v8
	v_fma_f32 v8, -v21, v46, v8
	s_add_i32 s31, s9, 0xfffffec8
	s_add_i32 s33, s34, s18
	s_waitcnt lgkmcnt(2)
	v_mul_f32_e32 v54, v23, v8
	v_add_lshl_u32 v8, s31, v0, 2
	s_lshl_b32 s33, s33, 2
	ds_write_b32 v8, v54 offset:2304
	v_mov_b32_e32 v8, s33
	s_add_i32 s33, s34, s19
	s_lshl_b32 s33, s33, 2
	v_mov_b32_e32 v22, s33
	s_add_i32 s33, s34, s20
	s_lshl_b32 s33, s33, 2
	v_mov_b32_e32 v24, s33
	s_add_i32 s33, s34, s21
	v_add_lshl_u32 v9, s30, v0, 2
	s_lshl_b32 s33, s33, 2
	ds_write_b32 v9, v21 offset:2304
	v_mov_b32_e32 v26, s33
	s_waitcnt lgkmcnt(3)
	v_fma_f32 v7, -v1, v49, v7
	ds_read2_b32 v[8:9], v8 offset1:1
	ds_read2_b32 v[22:23], v22 offset1:1
	;; [unrolled: 1-line block ×4, first 2 shown]
	s_add_i32 s33, s34, s23
	s_waitcnt lgkmcnt(6)
	v_fma_f32 v7, -v20, v51, v7
	s_lshl_b32 s33, s33, 2
	s_waitcnt lgkmcnt(3)
	v_fma_f32 v7, -v19, v9, v7
	v_mov_b32_e32 v9, s33
	s_add_i32 s33, s34, s24
	s_lshl_b32 s33, s33, 2
	s_waitcnt lgkmcnt(2)
	v_fma_f32 v7, -v18, v23, v7
	v_mov_b32_e32 v23, s33
	s_add_i32 s33, s34, s25
	;; [unrolled: 5-line block ×3, first 2 shown]
	s_lshl_b32 s33, s33, 2
	ds_read2_b32 v[28:29], v9 offset1:1
	ds_read2_b32 v[30:31], v23 offset1:1
	;; [unrolled: 1-line block ×3, first 2 shown]
	v_mov_b32_e32 v9, s33
	s_add_i32 s33, s34, s28
	s_lshl_b32 s33, s33, 2
	ds_read2_b32 v[34:35], v9 offset1:1
	v_mov_b32_e32 v9, s33
	s_add_i32 s33, s34, s29
	s_lshl_b32 s33, s33, 2
	v_mov_b32_e32 v23, s33
	s_add_i32 s33, s34, s30
	v_fma_f32 v6, -v1, v48, v6
	s_lshl_b32 s33, s33, 2
	v_fma_f32 v6, -v20, v50, v6
	v_mov_b32_e32 v25, s33
	s_add_i32 s33, s34, s31
	v_fma_f32 v6, -v19, v8, v6
	s_lshl_b32 s33, s33, 2
	v_fma_f32 v6, -v18, v22, v6
	s_waitcnt lgkmcnt(4)
	v_fma_f32 v7, -v16, v27, v7
	v_mov_b32_e32 v27, s33
	s_add_i32 s33, s9, 0xfffffeb0
	v_fma_f32 v6, -v17, v24, v6
	s_waitcnt lgkmcnt(3)
	v_fma_f32 v7, -v15, v29, v7
	s_add_i32 s34, s34, s33
	v_fma_f32 v6, -v16, v26, v6
	s_waitcnt lgkmcnt(2)
	v_fma_f32 v7, -v14, v31, v7
	s_lshl_b32 s34, s34, 2
	v_fma_f32 v6, -v15, v28, v6
	s_waitcnt lgkmcnt(1)
	v_fma_f32 v7, -v13, v33, v7
	ds_read2_b32 v[36:37], v9 offset1:1
	ds_read2_b32 v[38:39], v23 offset1:1
	;; [unrolled: 1-line block ×4, first 2 shown]
	v_mov_b32_e32 v9, s34
	s_add_i32 s34, s15, 0xfffffa24
	s_sub_i32 s35, s8, 17
	v_fma_f32 v6, -v14, v30, v6
	s_waitcnt lgkmcnt(4)
	v_fma_f32 v7, -v12, v35, v7
	v_mov_b32_e32 v23, s34
	s_add_i32 s34, s35, s9
	ds_read2_b32 v[44:45], v9 offset1:1
	v_fma_f32 v6, -v13, v32, v6
	s_waitcnt lgkmcnt(4)
	v_fma_f32 v7, -v11, v37, v7
	s_lshl_b32 s34, s34, 2
	v_fma_f32 v6, -v12, v34, v6
	s_waitcnt lgkmcnt(3)
	v_fma_f32 v7, -v10, v39, v7
	v_mov_b32_e32 v25, s34
	s_add_i32 s34, s35, s14
	v_fma_f32 v6, -v11, v36, v6
	s_waitcnt lgkmcnt(2)
	v_fma_f32 v7, -v21, v41, v7
	s_lshl_b32 s34, s34, 2
	v_fma_f32 v6, -v10, v38, v6
	s_waitcnt lgkmcnt(1)
	v_fma_f32 v7, -v54, v43, v7
	v_mov_b32_e32 v9, s34
	ds_read_b32 v23, v23
	ds_read2_b32 v[46:47], v25 offset1:1
	ds_read2_b32 v[52:53], v9 offset1:1
	v_fma_f32 v6, -v21, v40, v6
	s_waitcnt lgkmcnt(3)
	v_mul_f32_e32 v55, v45, v7
	v_fma_f32 v6, -v54, v42, v6
	v_fma_f32 v6, -v55, v44, v6
	s_add_i32 s34, s9, 0xfffffe98
	s_add_i32 s36, s35, s18
	s_waitcnt lgkmcnt(2)
	v_mul_f32_e32 v56, v23, v6
	v_add_lshl_u32 v6, s34, v0, 2
	s_lshl_b32 s36, s36, 2
	ds_write_b32 v6, v56 offset:2304
	v_mov_b32_e32 v6, s36
	s_add_i32 s36, s35, s19
	s_lshl_b32 s36, s36, 2
	v_mov_b32_e32 v8, s36
	s_add_i32 s36, s35, s20
	s_lshl_b32 s36, s36, 2
	v_mov_b32_e32 v22, s36
	s_add_i32 s36, s35, s21
	v_add_lshl_u32 v7, s33, v0, 2
	s_lshl_b32 s36, s36, 2
	ds_write_b32 v7, v55 offset:2304
	v_mov_b32_e32 v24, s36
	s_waitcnt lgkmcnt(3)
	v_fma_f32 v5, -v1, v47, v5
	ds_read2_b32 v[6:7], v6 offset1:1
	ds_read2_b32 v[8:9], v8 offset1:1
	;; [unrolled: 1-line block ×4, first 2 shown]
	s_add_i32 s36, s35, s23
	s_waitcnt lgkmcnt(6)
	v_fma_f32 v5, -v20, v53, v5
	s_lshl_b32 s36, s36, 2
	s_waitcnt lgkmcnt(3)
	v_fma_f32 v5, -v19, v7, v5
	v_mov_b32_e32 v7, s36
	s_add_i32 s36, s35, s24
	s_lshl_b32 s36, s36, 2
	s_waitcnt lgkmcnt(2)
	v_fma_f32 v5, -v18, v9, v5
	v_mov_b32_e32 v9, s36
	s_add_i32 s36, s35, s25
	;; [unrolled: 5-line block ×3, first 2 shown]
	s_lshl_b32 s36, s36, 2
	ds_read2_b32 v[26:27], v7 offset1:1
	ds_read2_b32 v[28:29], v9 offset1:1
	;; [unrolled: 1-line block ×3, first 2 shown]
	v_mov_b32_e32 v7, s36
	s_add_i32 s36, s35, s28
	s_lshl_b32 s36, s36, 2
	ds_read2_b32 v[32:33], v7 offset1:1
	v_mov_b32_e32 v7, s36
	s_add_i32 s36, s35, s29
	s_lshl_b32 s36, s36, 2
	v_mov_b32_e32 v9, s36
	s_add_i32 s36, s35, s30
	s_lshl_b32 s36, s36, 2
	v_fma_f32 v4, -v1, v46, v4
	v_mov_b32_e32 v23, s36
	s_add_i32 s36, s35, s31
	v_fma_f32 v4, -v20, v52, v4
	s_lshl_b32 s36, s36, 2
	v_fma_f32 v4, -v19, v6, v4
	s_waitcnt lgkmcnt(4)
	v_fma_f32 v5, -v16, v25, v5
	v_mov_b32_e32 v25, s36
	s_add_i32 s36, s35, s33
	v_fma_f32 v4, -v18, v8, v4
	s_lshl_b32 s36, s36, 2
	v_fma_f32 v4, -v17, v22, v4
	s_waitcnt lgkmcnt(3)
	v_fma_f32 v5, -v15, v27, v5
	ds_read2_b32 v[34:35], v7 offset1:1
	ds_read2_b32 v[36:37], v9 offset1:1
	;; [unrolled: 1-line block ×4, first 2 shown]
	v_mov_b32_e32 v7, s36
	s_add_i32 s36, s35, s34
	v_fma_f32 v4, -v16, v24, v4
	s_waitcnt lgkmcnt(6)
	v_fma_f32 v5, -v14, v29, v5
	s_lshl_b32 s36, s36, 2
	v_fma_f32 v4, -v15, v26, v4
	s_waitcnt lgkmcnt(5)
	v_fma_f32 v5, -v13, v31, v5
	v_mov_b32_e32 v9, s36
	s_add_i32 s36, s9, 0xfffffe80
	v_fma_f32 v4, -v14, v28, v4
	s_waitcnt lgkmcnt(4)
	v_fma_f32 v5, -v12, v33, v5
	s_add_i32 s35, s35, s36
	v_fma_f32 v4, -v13, v30, v4
	s_waitcnt lgkmcnt(3)
	v_fma_f32 v5, -v11, v35, v5
	s_lshl_b32 s35, s35, 2
	v_fma_f32 v4, -v12, v32, v4
	s_waitcnt lgkmcnt(2)
	v_fma_f32 v5, -v10, v37, v5
	v_mov_b32_e32 v23, s35
	s_add_i32 s35, s15, 0xfffff95c
	ds_read2_b32 v[42:43], v7 offset1:1
	ds_read2_b32 v[44:45], v9 offset1:1
	;; [unrolled: 1-line block ×3, first 2 shown]
	v_fma_f32 v4, -v11, v34, v4
	s_waitcnt lgkmcnt(4)
	v_fma_f32 v5, -v21, v39, v5
	v_mov_b32_e32 v7, s35
	v_fma_f32 v4, -v10, v36, v4
	s_waitcnt lgkmcnt(3)
	v_fma_f32 v5, -v54, v41, v5
	ds_read_b32 v7, v7
	v_fma_f32 v4, -v21, v38, v4
	s_waitcnt lgkmcnt(3)
	v_fma_f32 v5, -v55, v43, v5
	v_fma_f32 v4, -v54, v40, v4
	s_sub_i32 s37, s8, 19
	s_waitcnt lgkmcnt(2)
	v_fma_f32 v5, -v56, v45, v5
	v_fma_f32 v4, -v55, v42, v4
	s_add_i32 s14, s37, s14
	s_waitcnt lgkmcnt(1)
	v_mul_f32_e32 v57, v49, v5
	v_fma_f32 v4, -v56, v44, v4
	s_lshl_b32 s14, s14, 2
	v_fma_f32 v4, -v57, v48, v4
	s_add_i32 s35, s9, 0xfffffe68
	s_add_i32 s38, s37, s9
	v_mov_b32_e32 v6, s14
	s_add_i32 s14, s37, s18
	v_add_lshl_u32 v5, s36, v0, 2
	s_waitcnt lgkmcnt(0)
	v_mul_f32_e32 v58, v7, v4
	v_add_lshl_u32 v4, s35, v0, 2
	s_lshl_b32 s38, s38, 2
	s_lshl_b32 s14, s14, 2
	ds_write_b32 v5, v57 offset:2304
	ds_write_b32 v4, v58 offset:2304
	v_mov_b32_e32 v4, s38
	v_mov_b32_e32 v8, s14
	s_add_i32 s14, s37, s19
	s_lshl_b32 s14, s14, 2
	ds_read2_b32 v[4:5], v4 offset1:1
	ds_read2_b32 v[6:7], v6 offset1:1
	;; [unrolled: 1-line block ×3, first 2 shown]
	v_mov_b32_e32 v22, s14
	s_add_i32 s14, s37, s20
	s_lshl_b32 s14, s14, 2
	s_waitcnt lgkmcnt(2)
	v_fma_f32 v3, -v1, v5, v3
	v_mov_b32_e32 v5, s14
	s_add_i32 s14, s37, s21
	s_lshl_b32 s14, s14, 2
	s_waitcnt lgkmcnt(1)
	v_fma_f32 v3, -v20, v7, v3
	;; [unrolled: 5-line block ×3, first 2 shown]
	v_mov_b32_e32 v9, s14
	s_add_i32 s14, s37, s24
	s_lshl_b32 s14, s14, 2
	v_mov_b32_e32 v30, s14
	s_add_i32 s14, s37, s25
	s_lshl_b32 s14, s14, 2
	ds_read2_b32 v[22:23], v22 offset1:1
	ds_read2_b32 v[24:25], v5 offset1:1
	;; [unrolled: 1-line block ×5, first 2 shown]
	v_mov_b32_e32 v5, s14
	s_add_i32 s14, s37, s27
	s_lshl_b32 s14, s14, 2
	v_mov_b32_e32 v7, s14
	s_add_i32 s14, s37, s28
	s_lshl_b32 s14, s14, 2
	;; [unrolled: 3-line block ×3, first 2 shown]
	ds_read2_b32 v[32:33], v5 offset1:1
	ds_read2_b32 v[34:35], v7 offset1:1
	;; [unrolled: 1-line block ×3, first 2 shown]
	v_mov_b32_e32 v5, s14
	s_add_i32 s14, s37, s30
	s_lshl_b32 s14, s14, 2
	ds_read2_b32 v[38:39], v5 offset1:1
	v_mov_b32_e32 v5, s14
	s_add_i32 s14, s37, s31
	s_lshl_b32 s14, s14, 2
	v_fma_f32 v1, -v1, v4, v2
	v_mov_b32_e32 v7, s14
	s_add_i32 s14, s37, s33
	v_fma_f32 v1, -v20, v6, v1
	s_waitcnt lgkmcnt(8)
	v_fma_f32 v3, -v18, v23, v3
	s_lshl_b32 s14, s14, 2
	v_fma_f32 v1, -v19, v8, v1
	s_waitcnt lgkmcnt(7)
	v_fma_f32 v3, -v17, v25, v3
	v_mov_b32_e32 v9, s14
	s_add_i32 s14, s37, s34
	v_fma_f32 v1, -v18, v22, v1
	s_waitcnt lgkmcnt(6)
	v_fma_f32 v3, -v16, v27, v3
	s_lshl_b32 s14, s14, 2
	v_fma_f32 v1, -v17, v24, v1
	s_waitcnt lgkmcnt(5)
	;; [unrolled: 9-line block ×3, first 2 shown]
	v_fma_f32 v3, -v13, v33, v3
	ds_read2_b32 v[40:41], v5 offset1:1
	ds_read2_b32 v[42:43], v7 offset1:1
	;; [unrolled: 1-line block ×4, first 2 shown]
	v_mov_b32_e32 v5, s14
	s_add_i32 s14, s37, s35
	v_fma_f32 v1, -v14, v30, v1
	s_waitcnt lgkmcnt(6)
	v_fma_f32 v3, -v12, v35, v3
	s_lshl_b32 s14, s14, 2
	v_fma_f32 v1, -v13, v32, v1
	s_waitcnt lgkmcnt(5)
	v_fma_f32 v3, -v11, v37, v3
	v_mov_b32_e32 v7, s14
	s_add_i32 s14, s9, 0xfffffe50
	v_fma_f32 v1, -v12, v34, v1
	s_waitcnt lgkmcnt(4)
	v_fma_f32 v3, -v10, v39, v3
	s_add_i32 s37, s37, s14
	v_fma_f32 v1, -v11, v36, v1
	s_waitcnt lgkmcnt(3)
	v_fma_f32 v3, -v21, v41, v3
	s_lshl_b32 s18, s37, 2
	v_fma_f32 v1, -v10, v38, v1
	s_waitcnt lgkmcnt(2)
	v_fma_f32 v3, -v54, v43, v3
	v_mov_b32_e32 v9, s18
	s_addk_i32 s15, 0xf894
	ds_read2_b32 v[48:49], v5 offset1:1
	ds_read2_b32 v[50:51], v7 offset1:1
	;; [unrolled: 1-line block ×3, first 2 shown]
	v_fma_f32 v1, -v21, v40, v1
	s_waitcnt lgkmcnt(4)
	v_fma_f32 v3, -v55, v45, v3
	v_mov_b32_e32 v5, s15
	v_fma_f32 v1, -v54, v42, v1
	s_waitcnt lgkmcnt(3)
	v_fma_f32 v3, -v56, v47, v3
	ds_read_b32 v5, v5
	v_fma_f32 v1, -v55, v44, v1
	s_waitcnt lgkmcnt(3)
	v_fma_f32 v3, -v57, v49, v3
	v_fma_f32 v1, -v56, v46, v1
	s_waitcnt lgkmcnt(2)
	v_fma_f32 v3, -v58, v51, v3
	v_fma_f32 v1, -v57, v48, v1
	s_waitcnt lgkmcnt(1)
	v_mul_f32_e32 v3, v53, v3
	v_fma_f32 v1, -v58, v50, v1
	v_fma_f32 v1, -v3, v52, v1
	s_addk_i32 s9, 0xfe38
	v_add_lshl_u32 v7, s14, v0, 2
	s_waitcnt lgkmcnt(0)
	v_mul_f32_e32 v1, v5, v1
	v_add_lshl_u32 v2, s9, v0, 2
	s_sub_i32 s8, s8, 20
	ds_write_b32 v7, v3 offset:2304
	ds_write_b32 v2, v1 offset:2304
.LBB26_57:
	s_cmp_lt_i32 s8, 0
	s_cbranch_scc1 .LBB26_70
; %bb.58:
	s_bitcmp1_b32 s8, 0
	s_cselect_b64 s[14:15], -1, 0
	s_and_b64 vcc, exec, s[14:15]
	s_mov_b32 s9, s8
	s_cbranch_vccnz .LBB26_63
; %bb.59:
	s_mul_i32 s9, s8, 24
	v_add_lshl_u32 v2, s9, v0, 2
	ds_read_b32 v1, v2 offset:2304
	s_cmp_le_i32 s6, s8
	s_cbranch_scc1 .LBB26_62
; %bb.60:
	s_mul_i32 s14, s26, 0x60
	s_lshl_b32 s9, s8, 2
	s_add_i32 s9, s14, s9
	v_lshl_add_u32 v3, v0, 2, s14
	s_addk_i32 s9, 0xffa0
	v_add_u32_e32 v3, 0x8a0, v3
	s_mov_b32 s14, s6
.LBB26_61:                              ; =>This Inner Loop Header: Depth=1
	v_mov_b32_e32 v5, s9
	ds_read_b32 v4, v3
	ds_read_b32 v5, v5
	s_add_i32 s14, s14, -1
	s_addk_i32 s9, 0xffa0
	v_add_u32_e32 v3, 0xffffffa0, v3
	s_cmp_gt_i32 s14, s8
	s_waitcnt lgkmcnt(0)
	v_fma_f32 v1, -v4, v5, v1
	s_cbranch_scc1 .LBB26_61
.LBB26_62:
	s_mul_i32 s9, s8, 0x64
	v_mov_b32_e32 v3, s9
	ds_read_b32 v3, v3
	v_add_u32_e32 v2, 0x900, v2
	s_add_i32 s9, s8, -1
	s_waitcnt lgkmcnt(0)
	v_mul_f32_e32 v1, v3, v1
	ds_write_b32 v2, v1
.LBB26_63:
	s_cmp_eq_u32 s8, 0
	s_cbranch_scc1 .LBB26_70
; %bb.64:
	s_mul_i32 s14, s26, 0x60
	s_lshl_b32 s8, s9, 2
	s_add_i32 s15, s14, s8
	v_lshl_add_u32 v1, v0, 2, s14
	s_add_i32 s8, s15, 0xffffffa0
	v_add_u32_e32 v1, 0x8a0, v1
	s_add_i32 s14, s15, 0xffffff9c
	s_branch .LBB26_66
.LBB26_65:                              ;   in Loop: Header=BB26_66 Depth=1
	s_addk_i32 s15, 0xff9c
	v_mov_b32_e32 v3, s15
	ds_read_b32 v3, v3
	s_add_i32 s15, s9, -2
	s_add_i32 s8, s8, -8
	;; [unrolled: 1-line block ×3, first 2 shown]
	s_cmp_lt_i32 s9, 2
	s_waitcnt lgkmcnt(0)
	v_mul_f32_e32 v3, v3, v4
	s_mov_b32 s9, s15
	ds_write_b32 v2, v3
	s_cbranch_scc1 .LBB26_70
.LBB26_66:                              ; =>This Loop Header: Depth=1
                                        ;     Child Loop BB26_67 Depth 2
                                        ;     Child Loop BB26_69 Depth 2
	s_mul_i32 s15, s9, 24
	v_add_lshl_u32 v2, s15, v0, 2
	ds_read_b32 v3, v2 offset:2304
	s_cmp_le_i32 s6, s9
	v_mov_b32_e32 v4, v1
	s_mov_b32 s15, s8
	s_mov_b32 s18, s6
	s_cbranch_scc1 .LBB26_68
.LBB26_67:                              ;   Parent Loop BB26_66 Depth=1
                                        ; =>  This Inner Loop Header: Depth=2
	v_mov_b32_e32 v6, s15
	ds_read_b32 v5, v4
	ds_read_b32 v6, v6
	s_add_i32 s18, s18, -1
	s_addk_i32 s15, 0xffa0
	v_add_u32_e32 v4, 0xffffffa0, v4
	s_cmp_gt_i32 s18, s9
	s_waitcnt lgkmcnt(0)
	v_fma_f32 v3, -v5, v6, v3
	s_cbranch_scc1 .LBB26_67
.LBB26_68:                              ;   in Loop: Header=BB26_66 Depth=1
	s_mul_i32 s15, s9, 0x64
	v_add_u32_e32 v6, 0x900, v2
	v_mov_b32_e32 v2, s15
	ds_read_b32 v7, v2
	v_add_u32_e32 v2, 0xffffffa0, v6
	ds_read_b32 v4, v2
	s_cmp_le_i32 s26, s9
	v_mov_b32_e32 v5, v1
	s_waitcnt lgkmcnt(1)
	v_mul_f32_e32 v3, v7, v3
	s_mov_b32 s18, s14
	s_mov_b32 s19, s26
	ds_write_b32 v6, v3
	s_cbranch_scc1 .LBB26_65
.LBB26_69:                              ;   Parent Loop BB26_66 Depth=1
                                        ; =>  This Inner Loop Header: Depth=2
	v_mov_b32_e32 v6, s18
	ds_read_b32 v3, v5
	ds_read_b32 v6, v6
	s_add_i32 s19, s19, -1
	s_addk_i32 s18, 0xffa0
	v_add_u32_e32 v5, 0xffffffa0, v5
	s_cmp_gt_i32 s19, s9
	s_waitcnt lgkmcnt(0)
	v_fma_f32 v4, -v3, v6, v4
	s_cbranch_scc1 .LBB26_69
	s_branch .LBB26_65
.LBB26_70:
	s_waitcnt lgkmcnt(0)
	; wave barrier
	s_waitcnt lgkmcnt(0)
	s_and_saveexec_b64 s[8:9], s[12:13]
	s_cbranch_execz .LBB26_82
; %bb.71:
	s_cmp_lt_i32 s10, 2
	s_cbranch_scc1 .LBB26_79
; %bb.72:
	s_add_i32 s8, s26, -2
	s_lshr_b32 s9, s8, 1
	s_add_i32 s9, s9, 1
	s_mov_b32 s10, 0
	s_mov_b32 s6, 1
	s_cmp_lt_u32 s8, 14
	s_mov_b32 s8, s10
	s_cbranch_scc1 .LBB26_75
; %bb.73:
	s_mul_i32 s8, s1, s7
	s_mul_hi_u32 s10, s0, s7
	s_add_i32 s15, s10, s8
	s_mul_i32 s14, s0, s7
	s_lshl_b64 s[18:19], s[4:5], 2
	v_lshlrev_b32_e32 v1, 2, v0
	s_and_b32 s12, s9, -8
	s_lshl_b64 s[14:15], s[14:15], 2
	v_mov_b32_e32 v2, s19
	v_add_co_u32_e32 v1, vcc, s18, v1
	s_lshl_b64 s[18:19], s[16:17], 2
	s_add_u32 s8, s2, s18
	s_addc_u32 s10, s3, s19
	s_add_u32 s14, s8, s14
	s_addc_u32 s15, s10, s15
	v_addc_co_u32_e32 v4, vcc, 0, v2, vcc
	v_pk_mov_b32 v[2:3], s[14:15], s[14:15] op_sel:[0,1]
	v_mad_u64_u32 v[2:3], s[14:15], v1, s22, v[2:3]
	v_mul_lo_u32 v1, v1, s11
	v_mul_lo_u32 v4, v4, s22
	v_add3_u32 v1, v4, v3, v1
	v_add_co_u32_e32 v2, vcc, 56, v2
	v_addc_co_u32_e32 v3, vcc, 0, v1, vcc
	s_mov_b32 s8, 0
	s_mov_b32 s10, 0
.LBB26_74:                              ; =>This Inner Loop Header: Depth=1
	s_mul_i32 s13, s6, 24
	s_mul_i32 s14, s10, 24
	v_add_lshl_u32 v1, s14, v0, 2
	v_add_lshl_u32 v5, s13, v0, 2
	s_add_i32 s15, s13, 48
	s_add_i32 s18, s14, 48
	;; [unrolled: 1-line block ×12, first 2 shown]
	s_addk_i32 s13, 0x150
	s_addk_i32 s14, 0x150
	v_add_lshl_u32 v6, s18, v0, 2
	v_add_lshl_u32 v7, s15, v0, 2
	;; [unrolled: 1-line block ×14, first 2 shown]
	ds_read_b32 v4, v1 offset:2304
	ds_read_b32 v5, v5 offset:2304
	;; [unrolled: 1-line block ×16, first 2 shown]
	s_add_i32 s8, s8, 16
	s_add_i32 s6, s6, 16
	;; [unrolled: 1-line block ×3, first 2 shown]
	s_add_i32 s12, s12, -8
	s_waitcnt lgkmcnt(12)
	global_store_dwordx4 v[2:3], v[4:7], off offset:-56
	s_waitcnt lgkmcnt(8)
	global_store_dwordx4 v[2:3], v[8:11], off offset:-40
	;; [unrolled: 2-line block ×4, first 2 shown]
	v_add_co_u32_e32 v2, vcc, 64, v2
	s_cmp_lg_u32 s12, 0
	v_addc_co_u32_e32 v3, vcc, 0, v3, vcc
	s_cbranch_scc1 .LBB26_74
.LBB26_75:
	s_and_b32 s12, s9, 7
	s_cmp_eq_u32 s12, 0
	s_mov_b32 s9, 0
	s_cbranch_scc1 .LBB26_78
; %bb.76:
	s_mul_i32 s13, s1, s7
	s_mul_hi_u32 s14, s0, s7
	s_add_i32 s15, s14, s13
	s_mul_i32 s14, s0, s7
	s_lshl_b64 s[18:19], s[4:5], 2
	v_lshlrev_b32_e32 v1, 2, v0
	s_lshl_b64 s[14:15], s[14:15], 2
	v_mov_b32_e32 v2, s19
	v_add_co_u32_e32 v1, vcc, s18, v1
	s_lshl_b64 s[18:19], s[16:17], 2
	s_lshl_b64 s[8:9], s[8:9], 2
	s_add_u32 s8, s2, s8
	s_addc_u32 s9, s3, s9
	s_add_u32 s8, s8, s18
	s_addc_u32 s9, s9, s19
	;; [unrolled: 2-line block ×3, first 2 shown]
	v_addc_co_u32_e32 v4, vcc, 0, v2, vcc
	v_pk_mov_b32 v[2:3], s[8:9], s[8:9] op_sel:[0,1]
	v_mad_u64_u32 v[2:3], s[8:9], v1, s22, v[2:3]
	v_mul_lo_u32 v1, v1, s11
	v_mul_lo_u32 v4, v4, s22
	v_add3_u32 v3, v4, v3, v1
	s_lshl_b32 s8, s12, 3
.LBB26_77:                              ; =>This Inner Loop Header: Depth=1
	s_mul_i32 s9, s6, 24
	s_mul_i32 s12, s10, 24
	v_add_lshl_u32 v1, s12, v0, 2
	v_add_lshl_u32 v5, s9, v0, 2
	ds_read_b32 v4, v1 offset:2304
	ds_read_b32 v5, v5 offset:2304
	s_add_i32 s6, s6, 2
	s_add_i32 s10, s10, 2
	s_add_i32 s8, s8, -8
	s_cmp_lg_u32 s8, 0
	s_waitcnt lgkmcnt(0)
	global_store_dwordx2 v[2:3], v[4:5], off
	v_add_co_u32_e32 v2, vcc, 8, v2
	v_addc_co_u32_e32 v3, vcc, 0, v3, vcc
	s_cbranch_scc1 .LBB26_77
.LBB26_78:
	s_and_b32 s10, s26, 30
	s_cmp_lg_u32 s26, s10
	s_cselect_b64 s[8:9], -1, 0
	s_and_b64 vcc, exec, s[8:9]
	s_cbranch_vccnz .LBB26_80
	s_branch .LBB26_82
.LBB26_79:
	s_mov_b32 s10, 0
	s_cbranch_execz .LBB26_82
.LBB26_80:
	s_mul_i32 s8, s10, 0x60
	v_lshl_add_u32 v1, v0, 2, s8
	s_mul_i32 s1, s1, s7
	s_mul_hi_u32 s8, s0, s7
	s_add_i32 s1, s8, s1
	s_mul_i32 s0, s0, s7
	s_lshl_b64 s[4:5], s[4:5], 2
	v_lshlrev_b32_e32 v0, 2, v0
	s_sub_i32 s6, s26, s10
	v_add_u32_e32 v2, 0x900, v1
	s_lshl_b64 s[0:1], s[0:1], 2
	v_mov_b32_e32 v1, s5
	v_add_co_u32_e32 v3, vcc, s4, v0
	s_lshl_b64 s[4:5], s[16:17], 2
	s_lshl_b32 s7, s10, 2
	s_add_u32 s2, s2, s7
	s_addc_u32 s3, s3, 0
	s_add_u32 s2, s2, s4
	s_addc_u32 s3, s3, s5
	;; [unrolled: 2-line block ×3, first 2 shown]
	v_addc_co_u32_e32 v4, vcc, 0, v1, vcc
	v_pk_mov_b32 v[0:1], s[0:1], s[0:1] op_sel:[0,1]
	v_mad_u64_u32 v[0:1], s[0:1], v3, s22, v[0:1]
	v_mul_lo_u32 v3, v3, s11
	v_mul_lo_u32 v4, v4, s22
	v_add3_u32 v1, v4, v1, v3
.LBB26_81:                              ; =>This Inner Loop Header: Depth=1
	ds_read_b32 v3, v2
	s_add_i32 s6, s6, -1
	v_add_u32_e32 v2, 0x60, v2
	s_cmp_lg_u32 s6, 0
	s_waitcnt lgkmcnt(0)
	global_store_dword v[0:1], v3, off
	v_add_co_u32_e32 v0, vcc, 4, v0
	v_addc_co_u32_e32 v1, vcc, 0, v1, vcc
	s_cbranch_scc1 .LBB26_81
.LBB26_82:
	s_endpgm
	.section	.rodata,"a",@progbits
	.p2align	6, 0x0
	.amdhsa_kernel _ZL38rocblas_trsm_small_left_device_sharedBILi24ELi24ELb0EffPKfPfEv13rocblas_fill_18rocblas_operation_17rocblas_diagonal_iiT3_T4_lilT5_lili
		.amdhsa_group_segment_fixed_size 4608
		.amdhsa_private_segment_fixed_size 0
		.amdhsa_kernarg_size 352
		.amdhsa_user_sgpr_count 6
		.amdhsa_user_sgpr_private_segment_buffer 1
		.amdhsa_user_sgpr_dispatch_ptr 0
		.amdhsa_user_sgpr_queue_ptr 0
		.amdhsa_user_sgpr_kernarg_segment_ptr 1
		.amdhsa_user_sgpr_dispatch_id 0
		.amdhsa_user_sgpr_flat_scratch_init 0
		.amdhsa_user_sgpr_kernarg_preload_length 0
		.amdhsa_user_sgpr_kernarg_preload_offset 0
		.amdhsa_user_sgpr_private_segment_size 0
		.amdhsa_uses_dynamic_stack 0
		.amdhsa_system_sgpr_private_segment_wavefront_offset 0
		.amdhsa_system_sgpr_workgroup_id_x 1
		.amdhsa_system_sgpr_workgroup_id_y 0
		.amdhsa_system_sgpr_workgroup_id_z 1
		.amdhsa_system_sgpr_workgroup_info 0
		.amdhsa_system_vgpr_workitem_id 0
		.amdhsa_next_free_vgpr 76
		.amdhsa_next_free_sgpr 43
		.amdhsa_accum_offset 76
		.amdhsa_reserve_vcc 1
		.amdhsa_reserve_flat_scratch 0
		.amdhsa_float_round_mode_32 0
		.amdhsa_float_round_mode_16_64 0
		.amdhsa_float_denorm_mode_32 3
		.amdhsa_float_denorm_mode_16_64 3
		.amdhsa_dx10_clamp 1
		.amdhsa_ieee_mode 1
		.amdhsa_fp16_overflow 0
		.amdhsa_tg_split 0
		.amdhsa_exception_fp_ieee_invalid_op 0
		.amdhsa_exception_fp_denorm_src 0
		.amdhsa_exception_fp_ieee_div_zero 0
		.amdhsa_exception_fp_ieee_overflow 0
		.amdhsa_exception_fp_ieee_underflow 0
		.amdhsa_exception_fp_ieee_inexact 0
		.amdhsa_exception_int_div_zero 0
	.end_amdhsa_kernel
	.section	.text._ZL38rocblas_trsm_small_left_device_sharedBILi24ELi24ELb0EffPKfPfEv13rocblas_fill_18rocblas_operation_17rocblas_diagonal_iiT3_T4_lilT5_lili,"axG",@progbits,_ZL38rocblas_trsm_small_left_device_sharedBILi24ELi24ELb0EffPKfPfEv13rocblas_fill_18rocblas_operation_17rocblas_diagonal_iiT3_T4_lilT5_lili,comdat
.Lfunc_end26:
	.size	_ZL38rocblas_trsm_small_left_device_sharedBILi24ELi24ELb0EffPKfPfEv13rocblas_fill_18rocblas_operation_17rocblas_diagonal_iiT3_T4_lilT5_lili, .Lfunc_end26-_ZL38rocblas_trsm_small_left_device_sharedBILi24ELi24ELb0EffPKfPfEv13rocblas_fill_18rocblas_operation_17rocblas_diagonal_iiT3_T4_lilT5_lili
                                        ; -- End function
	.section	.AMDGPU.csdata,"",@progbits
; Kernel info:
; codeLenInByte = 23676
; NumSgprs: 47
; NumVgprs: 76
; NumAgprs: 0
; TotalNumVgprs: 76
; ScratchSize: 0
; MemoryBound: 0
; FloatMode: 240
; IeeeMode: 1
; LDSByteSize: 4608 bytes/workgroup (compile time only)
; SGPRBlocks: 5
; VGPRBlocks: 9
; NumSGPRsForWavesPerEU: 47
; NumVGPRsForWavesPerEU: 76
; AccumOffset: 76
; Occupancy: 4
; WaveLimiterHint : 0
; COMPUTE_PGM_RSRC2:SCRATCH_EN: 0
; COMPUTE_PGM_RSRC2:USER_SGPR: 6
; COMPUTE_PGM_RSRC2:TRAP_HANDLER: 0
; COMPUTE_PGM_RSRC2:TGID_X_EN: 1
; COMPUTE_PGM_RSRC2:TGID_Y_EN: 0
; COMPUTE_PGM_RSRC2:TGID_Z_EN: 1
; COMPUTE_PGM_RSRC2:TIDIG_COMP_CNT: 0
; COMPUTE_PGM_RSRC3_GFX90A:ACCUM_OFFSET: 18
; COMPUTE_PGM_RSRC3_GFX90A:TG_SPLIT: 0
	.section	.text._ZL30rocblas_trsm_small_left_deviceILi24ELi24ELb0EffPKfPfEv13rocblas_fill_18rocblas_operation_17rocblas_diagonal_iiT3_T4_lilT5_lili,"axG",@progbits,_ZL30rocblas_trsm_small_left_deviceILi24ELi24ELb0EffPKfPfEv13rocblas_fill_18rocblas_operation_17rocblas_diagonal_iiT3_T4_lilT5_lili,comdat
	.globl	_ZL30rocblas_trsm_small_left_deviceILi24ELi24ELb0EffPKfPfEv13rocblas_fill_18rocblas_operation_17rocblas_diagonal_iiT3_T4_lilT5_lili ; -- Begin function _ZL30rocblas_trsm_small_left_deviceILi24ELi24ELb0EffPKfPfEv13rocblas_fill_18rocblas_operation_17rocblas_diagonal_iiT3_T4_lilT5_lili
	.p2align	8
	.type	_ZL30rocblas_trsm_small_left_deviceILi24ELi24ELb0EffPKfPfEv13rocblas_fill_18rocblas_operation_17rocblas_diagonal_iiT3_T4_lilT5_lili,@function
_ZL30rocblas_trsm_small_left_deviceILi24ELi24ELb0EffPKfPfEv13rocblas_fill_18rocblas_operation_17rocblas_diagonal_iiT3_T4_lilT5_lili: ; @_ZL30rocblas_trsm_small_left_deviceILi24ELi24ELb0EffPKfPfEv13rocblas_fill_18rocblas_operation_17rocblas_diagonal_iiT3_T4_lilT5_lili
; %bb.0:
	s_load_dwordx4 s[8:11], s[4:5], 0x4
	s_load_dword s16, s[4:5], 0x14
	s_load_dwordx4 s[0:3], s[4:5], 0x30
	s_load_dwordx2 s[20:21], s[4:5], 0x40
	s_mov_b32 s19, 0
	s_waitcnt lgkmcnt(0)
	s_min_i32 s18, s10, 24
	v_cmp_gt_i32_e32 vcc, s18, v0
	s_and_saveexec_b64 s[22:23], vcc
	s_cbranch_execz .LBB27_15
; %bb.1:
	s_load_dword s24, s[4:5], 0x28
	s_load_dwordx4 s[12:15], s[4:5], 0x18
	s_cmp_gt_u32 s18, 1
	s_cselect_b64 s[26:27], -1, 0
	s_mov_b32 s17, 1
	s_waitcnt lgkmcnt(0)
	s_cmp_eq_u32 s24, 1
	s_cselect_b64 s[28:29], -1, 0
	s_and_b64 s[28:29], s[26:27], s[28:29]
	s_mov_b64 s[26:27], -1
	s_and_b64 vcc, exec, s[28:29]
	s_cbranch_vccz .LBB27_9
; %bb.2:
	s_add_i32 s26, s18, -2
	s_lshr_b32 s25, s26, 1
	s_add_i32 s25, s25, 1
	s_cmp_lt_u32 s26, 14
	s_mov_b32 s26, s19
	s_cbranch_scc1 .LBB27_5
; %bb.3:
	s_mul_i32 s17, s1, s7
	s_mul_hi_u32 s19, s0, s7
	s_add_i32 s29, s19, s17
	s_mul_i32 s28, s0, s7
	s_and_b32 s27, s25, -8
	s_lshl_b64 s[28:29], s[28:29], 2
	s_lshl_b64 s[30:31], s[14:15], 2
	s_add_u32 s17, s28, s30
	s_addc_u32 s19, s29, s31
	s_add_u32 s17, s12, s17
	v_lshlrev_b32_e32 v1, 2, v0
	s_addc_u32 s19, s13, s19
	v_mov_b32_e32 v2, s19
	v_add_co_u32_e32 v1, vcc, s17, v1
	v_addc_co_u32_e32 v3, vcc, 0, v2, vcc
	v_add_co_u32_e32 v2, vcc, 56, v1
	v_addc_co_u32_e32 v3, vcc, 0, v3, vcc
	s_mov_b32 s17, 1
	s_mov_b32 s26, 0
	;; [unrolled: 1-line block ×3, first 2 shown]
.LBB27_4:                               ; =>This Inner Loop Header: Depth=1
	global_load_dwordx4 v[4:7], v[2:3], off offset:-56
	global_load_dwordx4 v[8:11], v[2:3], off offset:-40
	;; [unrolled: 1-line block ×4, first 2 shown]
	s_mul_i32 s28, s17, 24
	s_mul_i32 s29, s19, 24
	s_add_i32 s26, s26, 16
	s_add_i32 s17, s17, 16
	;; [unrolled: 1-line block ×3, first 2 shown]
	s_add_i32 s27, s27, -8
	v_add_co_u32_e32 v2, vcc, 64, v2
	v_add_lshl_u32 v1, s29, v0, 2
	v_add_lshl_u32 v20, s28, v0, 2
	s_add_i32 s30, s28, 48
	s_add_i32 s31, s29, 48
	;; [unrolled: 1-line block ×12, first 2 shown]
	s_addk_i32 s28, 0x150
	s_addk_i32 s29, 0x150
	v_addc_co_u32_e32 v3, vcc, 0, v3, vcc
	s_cmp_lg_u32 s27, 0
	v_add_lshl_u32 v21, s31, v0, 2
	v_add_lshl_u32 v22, s30, v0, 2
	;; [unrolled: 1-line block ×14, first 2 shown]
	s_waitcnt vmcnt(3)
	ds_write_b32 v1, v4
	ds_write_b32 v20, v5
	ds_write_b32 v21, v6
	ds_write_b32 v22, v7
	s_waitcnt vmcnt(2)
	ds_write_b32 v23, v8
	ds_write_b32 v24, v9
	ds_write_b32 v25, v10
	ds_write_b32 v26, v11
	;; [unrolled: 5-line block ×4, first 2 shown]
	s_cbranch_scc1 .LBB27_4
.LBB27_5:
	s_and_b32 s25, s25, 7
	s_cmp_eq_u32 s25, 0
	s_mov_b32 s27, 0
	s_cbranch_scc1 .LBB27_8
; %bb.6:
	s_mul_i32 s28, s1, s7
	s_mul_hi_u32 s29, s0, s7
	s_add_i32 s29, s29, s28
	s_mul_i32 s28, s0, s7
	s_lshl_b64 s[28:29], s[28:29], 2
	s_lshl_b64 s[30:31], s[14:15], 2
	s_add_u32 s28, s28, s30
	s_addc_u32 s29, s29, s31
	s_lshl_b64 s[26:27], s[26:27], 2
	s_add_u32 s26, s12, s26
	s_addc_u32 s27, s13, s27
	s_add_u32 s26, s26, s28
	v_lshlrev_b32_e32 v1, 2, v0
	s_addc_u32 s27, s27, s29
	v_mov_b32_e32 v3, s27
	v_add_co_u32_e32 v2, vcc, s26, v1
	v_addc_co_u32_e32 v3, vcc, 0, v3, vcc
	s_lshl_b32 s25, s25, 3
.LBB27_7:                               ; =>This Inner Loop Header: Depth=1
	global_load_dwordx2 v[4:5], v[2:3], off
	s_mul_i32 s26, s17, 24
	s_mul_i32 s27, s19, 24
	s_add_i32 s17, s17, 2
	s_add_i32 s19, s19, 2
	v_add_co_u32_e32 v2, vcc, 8, v2
	s_add_i32 s25, s25, -8
	v_addc_co_u32_e32 v3, vcc, 0, v3, vcc
	v_add_lshl_u32 v1, s27, v0, 2
	s_cmp_lg_u32 s25, 0
	v_add_lshl_u32 v6, s26, v0, 2
	s_waitcnt vmcnt(0)
	ds_write_b32 v1, v4
	ds_write_b32 v6, v5
	s_cbranch_scc1 .LBB27_7
.LBB27_8:
	s_and_b32 s19, s18, -2
	s_cmp_lg_u32 s18, s19
	s_cselect_b64 s[26:27], -1, 0
.LBB27_9:
	s_and_b64 vcc, exec, s[26:27]
	s_cbranch_vccz .LBB27_12
; %bb.10:
	s_ashr_i32 s25, s24, 31
	s_mul_i32 s1, s1, s7
	s_mul_hi_u32 s17, s0, s7
	s_add_i32 s1, s17, s1
	s_mul_hi_u32 s17, s24, s19
	s_mul_i32 s26, s25, s19
	s_mul_i32 s0, s0, s7
	s_add_i32 s27, s17, s26
	s_mul_i32 s26, s24, s19
	s_lshl_b64 s[0:1], s[0:1], 2
	s_lshl_b64 s[26:27], s[26:27], 2
	s_add_u32 s17, s0, s26
	s_addc_u32 s26, s1, s27
	s_lshl_b64 s[0:1], s[14:15], 2
	s_add_u32 s0, s17, s0
	s_addc_u32 s1, s26, s1
	s_add_u32 s0, s12, s0
	v_lshlrev_b32_e32 v1, 2, v0
	s_addc_u32 s1, s13, s1
	v_mov_b32_e32 v3, s1
	v_add_co_u32_e32 v2, vcc, s0, v1
	s_lshl_b64 s[0:1], s[24:25], 2
	s_mul_i32 s13, s19, 0x60
	v_addc_co_u32_e32 v3, vcc, 0, v3, vcc
	s_sub_i32 s12, s18, s19
	v_lshl_add_u32 v1, v0, 2, s13
	v_mov_b32_e32 v4, s1
.LBB27_11:                              ; =>This Inner Loop Header: Depth=1
	global_load_dword v5, v[2:3], off
	v_add_co_u32_e32 v2, vcc, s0, v2
	s_add_i32 s12, s12, -1
	v_addc_co_u32_e32 v3, vcc, v3, v4, vcc
	s_cmp_eq_u32 s12, 0
	s_waitcnt vmcnt(0)
	ds_write_b32 v1, v5
	v_add_u32_e32 v1, 0x60, v1
	s_cbranch_scc0 .LBB27_11
.LBB27_12:
	v_mul_u32_u24_e32 v1, 25, v0
	s_cmpk_lg_i32 s9, 0x84
	v_lshlrev_b32_e32 v1, 2, v1
	v_mov_b32_e32 v2, 1.0
	s_cbranch_scc0 .LBB27_14
; %bb.13:
	ds_read_b32 v2, v1
	s_waitcnt lgkmcnt(0)
	v_div_scale_f32 v3, s[0:1], v2, v2, 1.0
	v_rcp_f32_e32 v4, v3
	v_div_scale_f32 v5, vcc, 1.0, v2, 1.0
	v_fma_f32 v6, -v3, v4, 1.0
	v_fmac_f32_e32 v4, v6, v4
	v_mul_f32_e32 v6, v5, v4
	v_fma_f32 v7, -v3, v6, v5
	v_fmac_f32_e32 v6, v7, v4
	v_fma_f32 v3, -v3, v6, v5
	v_div_fmas_f32 v3, v3, v4, v6
	v_div_fixup_f32 v2, v3, v2, 1.0
.LBB27_14:
	ds_write_b32 v1, v2
.LBB27_15:
	s_or_b64 exec, exec, s[22:23]
	s_load_dword s0, s[4:5], 0x60
	s_mul_i32 s1, s6, 0xffffffe8
	s_add_i32 s1, s1, s11
	s_waitcnt lgkmcnt(0)
	; wave barrier
	s_waitcnt lgkmcnt(0)
	s_add_i32 s0, s0, -1
	s_cmp_ge_u32 s6, s0
	s_cselect_b32 s0, s1, 24
	v_cmp_gt_i32_e32 vcc, s0, v0
	s_and_saveexec_b64 s[0:1], vcc
	s_cbranch_execz .LBB27_59
; %bb.16:
	s_load_dwordx2 s[0:1], s[4:5], 0x50
	s_load_dword s9, s[4:5], 0x48
	s_waitcnt lgkmcnt(0)
	s_mul_i32 s1, s7, s1
	s_mul_hi_u32 s4, s7, s0
	s_mul_i32 s0, s7, s0
	s_add_i32 s1, s4, s1
	s_lshl_b64 s[0:1], s[0:1], 2
	s_add_u32 s7, s2, s0
	s_addc_u32 s11, s3, s1
	s_lshl_b64 s[4:5], s[20:21], 2
	s_add_u32 s12, s7, s4
	v_mad_u64_u32 v[0:1], s[6:7], s6, 24, v[0:1]
	v_mad_i64_i32 v[0:1], s[6:7], s9, v0, 0
	s_addc_u32 s11, s11, s5
	v_lshlrev_b64 v[26:27], 2, v[0:1]
	v_mov_b32_e32 v0, s11
	v_add_co_u32_e32 v24, vcc, s12, v26
	v_addc_co_u32_e32 v25, vcc, v0, v27, vcc
	s_cmpk_eq_i32 s8, 0x6f
	s_mov_b64 s[6:7], -1
	s_cbranch_scc1 .LBB27_37
; %bb.17:
	s_cmp_gt_i32 s10, 23
	s_cselect_b64 s[8:9], -1, 0
	s_mov_b32 s6, 0
	s_and_b64 vcc, exec, s[8:9]
	s_cbranch_vccz .LBB27_19
; %bb.18:
	global_load_dwordx4 v[4:7], v[24:25], off
	global_load_dwordx4 v[8:11], v[24:25], off offset:16
	global_load_dwordx4 v[12:15], v[24:25], off offset:32
	;; [unrolled: 1-line block ×5, first 2 shown]
	v_mov_b32_e32 v28, 0
	ds_read_b32 v29, v28
	ds_read_b64 v[54:55], v28 offset:96
	ds_read_b96 v[50:52], v28 offset:192
	ds_read_b128 v[30:33], v28 offset:288
	ds_read_b128 v[34:37], v28 offset:384
	ds_read_b32 v61, v28 offset:400
	ds_read_b128 v[38:41], v28 offset:480
	ds_read_b64 v[62:63], v28 offset:496
	ds_read_b128 v[42:45], v28 offset:576
	ds_read_b96 v[58:60], v28 offset:592
	ds_read_b32 v64, v28 offset:800
	s_mov_b32 s6, 24
	s_waitcnt vmcnt(5)
	v_mul_f32_e32 v4, s16, v4
	s_waitcnt lgkmcnt(10)
	v_mul_f32_e32 v4, v29, v4
	s_waitcnt lgkmcnt(9)
	;; [unrolled: 2-line block ×3, first 2 shown]
	v_mul_f32_e32 v46, v4, v50
	v_fma_f32 v5, v5, s16, -v29
	s_waitcnt lgkmcnt(7)
	v_mul_f32_e32 v30, v4, v30
	v_fma_f32 v6, v6, s16, -v46
	ds_read_b128 v[46:49], v28 offset:672
	v_mul_f32_e32 v5, v55, v5
	v_fma_f32 v7, v7, s16, -v30
	v_fma_f32 v6, -v5, v51, v6
	s_waitcnt lgkmcnt(7)
	v_mul_f32_e32 v29, v4, v34
	v_mul_f32_e32 v6, v52, v6
	ds_read_b128 v[50:53], v28 offset:688
	v_fma_f32 v7, -v5, v31, v7
	s_waitcnt vmcnt(4)
	v_fma_f32 v8, v8, s16, -v29
	v_fma_f32 v7, -v6, v32, v7
	s_waitcnt lgkmcnt(6)
	v_mul_f32_e32 v34, v4, v38
	v_fma_f32 v8, -v5, v35, v8
	v_mul_f32_e32 v7, v33, v7
	v_fma_f32 v9, v9, s16, -v34
	v_fma_f32 v8, -v6, v36, v8
	s_waitcnt lgkmcnt(4)
	v_mul_f32_e32 v38, v4, v42
	s_waitcnt lgkmcnt(1)
	v_mul_f32_e32 v42, v4, v46
	v_fma_f32 v46, -v7, v37, v8
	v_fma_f32 v8, -v5, v39, v9
	;; [unrolled: 1-line block ×3, first 2 shown]
	ds_read_b128 v[30:33], v28 offset:768
	ds_read_b128 v[54:57], v28 offset:784
	v_fma_f32 v29, v10, s16, -v38
	v_fma_f32 v38, v11, s16, -v42
	v_fma_f32 v65, -v7, v41, v8
	ds_read_b128 v[8:11], v28 offset:864
	v_fma_f32 v38, -v5, v47, v38
	v_fma_f32 v29, -v5, v43, v29
	;; [unrolled: 1-line block ×4, first 2 shown]
	ds_read_b128 v[34:37], v28 offset:880
	ds_read_b64 v[42:43], v28 offset:896
	v_fma_f32 v44, -v7, v49, v38
	ds_read_b128 v[38:41], v28 offset:960
	s_waitcnt lgkmcnt(5)
	v_mul_f32_e32 v30, v4, v30
	s_waitcnt lgkmcnt(3)
	v_mul_f32_e32 v8, v4, v8
	s_waitcnt vmcnt(3)
	v_fma_f32 v12, v12, s16, -v30
	v_fma_f32 v8, v13, s16, -v8
	v_fma_f32 v12, -v5, v31, v12
	v_fma_f32 v8, -v5, v9, v8
	;; [unrolled: 1-line block ×5, first 2 shown]
	ds_read_b128 v[30:33], v28 offset:976
	v_fma_f32 v9, -v7, v11, v8
	s_waitcnt lgkmcnt(1)
	v_mul_f32_e32 v8, v4, v38
	v_fma_f32 v8, v14, s16, -v8
	v_fma_f32 v8, -v5, v39, v8
	v_fma_f32 v8, -v6, v40, v8
	;; [unrolled: 1-line block ×3, first 2 shown]
	v_mul_f32_e32 v8, v61, v46
	v_fma_f32 v29, -v7, v45, v29
	v_fma_f32 v11, -v8, v62, v65
	;; [unrolled: 1-line block ×4, first 2 shown]
	v_mul_f32_e32 v9, v63, v11
	v_fma_f32 v14, -v8, v50, v44
	s_waitcnt lgkmcnt(0)
	v_fma_f32 v30, -v8, v30, v10
	v_fma_f32 v10, -v9, v59, v13
	;; [unrolled: 1-line block ×3, first 2 shown]
	v_mul_f32_e32 v10, v60, v10
	v_fma_f32 v11, -v10, v52, v11
	v_fma_f32 v14, -v9, v31, v30
	v_mul_f32_e32 v11, v53, v11
	v_fma_f32 v14, -v10, v32, v14
	ds_read_b96 v[38:40], v28 offset:992
	v_fma_f32 v14, -v11, v33, v14
	ds_read_b128 v[30:33], v28 offset:1056
	v_fma_f32 v13, -v9, v35, v29
	v_fma_f32 v13, -v10, v36, v13
	;; [unrolled: 1-line block ×3, first 2 shown]
	ds_read_b128 v[34:37], v28 offset:1072
	s_waitcnt lgkmcnt(1)
	v_mul_f32_e32 v29, v4, v30
	v_fma_f32 v15, v15, s16, -v29
	v_fma_f32 v15, -v5, v31, v15
	v_fma_f32 v12, -v8, v54, v12
	;; [unrolled: 1-line block ×5, first 2 shown]
	ds_read_b128 v[30:33], v28 offset:1088
	v_fma_f32 v12, -v10, v56, v12
	s_waitcnt lgkmcnt(1)
	v_fma_f32 v15, -v8, v34, v15
	v_fma_f32 v12, -v11, v57, v12
	;; [unrolled: 1-line block ×3, first 2 shown]
	v_mul_f32_e32 v12, v64, v12
	v_fma_f32 v15, -v10, v36, v15
	v_fma_f32 v13, -v12, v42, v13
	;; [unrolled: 1-line block ×3, first 2 shown]
	ds_read_b128 v[34:37], v28 offset:1152
	v_mul_f32_e32 v13, v43, v13
	v_fma_f32 v14, -v12, v38, v14
	v_fma_f32 v14, -v13, v39, v14
	s_waitcnt lgkmcnt(1)
	v_fma_f32 v15, -v12, v30, v15
	v_mul_f32_e32 v14, v40, v14
	v_fma_f32 v15, -v13, v31, v15
	v_fma_f32 v15, -v14, v32, v15
	v_mul_f32_e32 v15, v33, v15
	ds_read_b128 v[30:33], v28 offset:1168
	s_waitcnt lgkmcnt(1)
	v_mul_f32_e32 v29, v4, v34
	s_waitcnt vmcnt(2)
	v_fma_f32 v20, v20, s16, -v29
	v_fma_f32 v20, -v5, v35, v20
	v_fma_f32 v20, -v6, v36, v20
	;; [unrolled: 1-line block ×3, first 2 shown]
	ds_read_b128 v[34:37], v28 offset:1184
	s_waitcnt lgkmcnt(1)
	v_fma_f32 v20, -v8, v30, v20
	v_fma_f32 v20, -v9, v31, v20
	global_store_dwordx4 v[24:25], v[4:7], off
	global_store_dwordx4 v[24:25], v[8:11], off offset:16
	global_store_dwordx4 v[24:25], v[12:15], off offset:32
	v_fma_f32 v20, -v10, v32, v20
	v_fma_f32 v20, -v11, v33, v20
	ds_read_b32 v29, v28 offset:1200
	ds_read_b128 v[30:33], v28 offset:1248
	s_waitcnt lgkmcnt(2)
	v_fma_f32 v20, -v12, v34, v20
	v_fma_f32 v20, -v13, v35, v20
	;; [unrolled: 1-line block ×4, first 2 shown]
	s_waitcnt lgkmcnt(1)
	v_mul_f32_e32 v20, v29, v20
	s_waitcnt lgkmcnt(0)
	v_mul_f32_e32 v29, v4, v30
	ds_read_b128 v[34:37], v28 offset:1264
	v_fma_f32 v21, v21, s16, -v29
	v_fma_f32 v21, -v5, v31, v21
	v_fma_f32 v21, -v6, v32, v21
	;; [unrolled: 1-line block ×3, first 2 shown]
	ds_read_b128 v[30:33], v28 offset:1280
	s_waitcnt lgkmcnt(1)
	v_fma_f32 v21, -v8, v34, v21
	v_fma_f32 v21, -v9, v35, v21
	;; [unrolled: 1-line block ×4, first 2 shown]
	ds_read_b64 v[38:39], v28 offset:1296
	ds_read_b128 v[34:37], v28 offset:1344
	s_waitcnt lgkmcnt(2)
	v_fma_f32 v21, -v12, v30, v21
	v_fma_f32 v21, -v13, v31, v21
	;; [unrolled: 1-line block ×4, first 2 shown]
	s_waitcnt lgkmcnt(0)
	v_mul_f32_e32 v29, v4, v34
	ds_read_b128 v[30:33], v28 offset:1360
	v_fma_f32 v22, v22, s16, -v29
	v_fma_f32 v22, -v5, v35, v22
	v_fma_f32 v22, -v6, v36, v22
	;; [unrolled: 1-line block ×3, first 2 shown]
	ds_read_b128 v[34:37], v28 offset:1376
	s_waitcnt lgkmcnt(1)
	v_fma_f32 v22, -v8, v30, v22
	v_fma_f32 v22, -v9, v31, v22
	;; [unrolled: 1-line block ×4, first 2 shown]
	v_mul_f32_e32 v21, v39, v21
	v_fma_f32 v22, -v11, v33, v22
	ds_read_b96 v[38:40], v28 offset:1392
	ds_read_b128 v[30:33], v28 offset:1440
	s_waitcnt lgkmcnt(2)
	v_fma_f32 v22, -v12, v34, v22
	v_fma_f32 v22, -v13, v35, v22
	v_fma_f32 v22, -v14, v36, v22
	v_fma_f32 v22, -v15, v37, v22
	s_waitcnt lgkmcnt(0)
	v_mul_f32_e32 v29, v4, v30
	ds_read_b128 v[34:37], v28 offset:1456
	v_fma_f32 v23, v23, s16, -v29
	v_fma_f32 v23, -v5, v31, v23
	v_fma_f32 v23, -v6, v32, v23
	;; [unrolled: 1-line block ×3, first 2 shown]
	ds_read_b128 v[30:33], v28 offset:1472
	s_waitcnt lgkmcnt(1)
	v_fma_f32 v23, -v8, v34, v23
	v_fma_f32 v23, -v9, v35, v23
	;; [unrolled: 1-line block ×4, first 2 shown]
	ds_read_b128 v[34:37], v28 offset:1488
	s_waitcnt lgkmcnt(1)
	v_fma_f32 v23, -v12, v30, v23
	v_fma_f32 v23, -v13, v31, v23
	;; [unrolled: 1-line block ×5, first 2 shown]
	ds_read_b128 v[30:33], v28 offset:1536
	v_fma_f32 v22, -v21, v39, v22
	s_waitcnt lgkmcnt(1)
	v_fma_f32 v23, -v20, v34, v23
	v_mul_f32_e32 v22, v40, v22
	v_fma_f32 v23, -v21, v35, v23
	v_fma_f32 v23, -v22, v36, v23
	v_mul_f32_e32 v23, v37, v23
	global_store_dwordx4 v[24:25], v[20:23], off offset:48
	s_waitcnt lgkmcnt(0)
	v_mul_f32_e32 v29, v4, v30
	ds_read_b128 v[34:37], v28 offset:1552
	ds_read_b128 v[38:41], v28 offset:1568
	s_waitcnt vmcnt(4)
	v_fma_f32 v16, v16, s16, -v29
	v_fma_f32 v16, -v5, v31, v16
	v_fma_f32 v16, -v6, v32, v16
	;; [unrolled: 1-line block ×3, first 2 shown]
	s_waitcnt lgkmcnt(1)
	v_fma_f32 v16, -v8, v34, v16
	v_fma_f32 v16, -v9, v35, v16
	;; [unrolled: 1-line block ×4, first 2 shown]
	ds_read_b128 v[30:33], v28 offset:1584
	ds_read_b32 v29, v28 offset:1600
	s_waitcnt lgkmcnt(2)
	v_fma_f32 v16, -v12, v38, v16
	v_fma_f32 v16, -v13, v39, v16
	;; [unrolled: 1-line block ×4, first 2 shown]
	ds_read_b128 v[34:37], v28 offset:1632
	s_waitcnt lgkmcnt(2)
	v_fma_f32 v16, -v20, v30, v16
	v_fma_f32 v16, -v21, v31, v16
	;; [unrolled: 1-line block ×4, first 2 shown]
	ds_read_b128 v[30:33], v28 offset:1648
	s_waitcnt lgkmcnt(2)
	v_mul_f32_e32 v16, v29, v16
	s_waitcnt lgkmcnt(1)
	v_mul_f32_e32 v29, v4, v34
	v_fma_f32 v17, v17, s16, -v29
	v_fma_f32 v17, -v5, v35, v17
	v_fma_f32 v17, -v6, v36, v17
	v_fma_f32 v17, -v7, v37, v17
	ds_read_b128 v[34:37], v28 offset:1664
	s_waitcnt lgkmcnt(1)
	v_fma_f32 v17, -v8, v30, v17
	v_fma_f32 v17, -v9, v31, v17
	;; [unrolled: 1-line block ×4, first 2 shown]
	ds_read_b128 v[30:33], v28 offset:1680
	s_waitcnt lgkmcnt(1)
	v_fma_f32 v17, -v12, v34, v17
	v_fma_f32 v17, -v13, v35, v17
	;; [unrolled: 1-line block ×4, first 2 shown]
	ds_read_b64 v[38:39], v28 offset:1696
	ds_read_b128 v[34:37], v28 offset:1728
	s_waitcnt lgkmcnt(2)
	v_fma_f32 v17, -v20, v30, v17
	v_fma_f32 v17, -v21, v31, v17
	v_fma_f32 v17, -v22, v32, v17
	v_fma_f32 v17, -v23, v33, v17
	s_waitcnt lgkmcnt(0)
	v_mul_f32_e32 v29, v4, v34
	ds_read_b128 v[30:33], v28 offset:1744
	v_fma_f32 v18, v18, s16, -v29
	v_fma_f32 v18, -v5, v35, v18
	v_fma_f32 v18, -v6, v36, v18
	;; [unrolled: 1-line block ×3, first 2 shown]
	ds_read_b128 v[34:37], v28 offset:1760
	s_waitcnt lgkmcnt(1)
	v_fma_f32 v18, -v8, v30, v18
	v_fma_f32 v18, -v9, v31, v18
	;; [unrolled: 1-line block ×4, first 2 shown]
	ds_read_b128 v[30:33], v28 offset:1776
	s_waitcnt lgkmcnt(1)
	v_fma_f32 v18, -v12, v34, v18
	v_fma_f32 v18, -v13, v35, v18
	;; [unrolled: 1-line block ×3, first 2 shown]
	ds_read_b96 v[34:36], v28 offset:1792
	v_fma_f32 v18, -v15, v37, v18
	s_waitcnt lgkmcnt(1)
	v_fma_f32 v18, -v20, v30, v18
	v_fma_f32 v18, -v21, v31, v18
	;; [unrolled: 1-line block ×4, first 2 shown]
	ds_read_b128 v[30:33], v28 offset:1824
	v_fma_f32 v17, -v16, v38, v17
	v_mul_f32_e32 v17, v39, v17
	s_waitcnt lgkmcnt(1)
	v_fma_f32 v18, -v16, v34, v18
	v_fma_f32 v18, -v17, v35, v18
	v_mul_f32_e32 v18, v36, v18
	ds_read_b128 v[34:37], v28 offset:1840
	s_waitcnt lgkmcnt(1)
	v_mul_f32_e32 v29, v4, v30
	v_fma_f32 v19, v19, s16, -v29
	v_fma_f32 v19, -v5, v31, v19
	v_fma_f32 v19, -v6, v32, v19
	v_fma_f32 v19, -v7, v33, v19
	ds_read_b128 v[30:33], v28 offset:1856
	s_waitcnt lgkmcnt(1)
	v_fma_f32 v19, -v8, v34, v19
	v_fma_f32 v19, -v9, v35, v19
	v_fma_f32 v19, -v10, v36, v19
	v_fma_f32 v19, -v11, v37, v19
	ds_read_b128 v[34:37], v28 offset:1872
	s_waitcnt lgkmcnt(1)
	v_fma_f32 v19, -v12, v30, v19
	;; [unrolled: 6-line block ×4, first 2 shown]
	v_fma_f32 v19, -v17, v31, v19
	v_fma_f32 v19, -v18, v32, v19
	v_mul_f32_e32 v19, v33, v19
	global_store_dwordx4 v[24:25], v[16:19], off offset:64
	s_waitcnt lgkmcnt(0)
	v_mul_f32_e32 v29, v4, v34
	ds_read_b128 v[30:33], v28 offset:1936
	ds_read_b128 v[38:41], v28 offset:1952
	v_fma_f32 v0, v0, s16, -v29
	v_fma_f32 v0, -v5, v35, v0
	v_fma_f32 v0, -v6, v36, v0
	;; [unrolled: 1-line block ×3, first 2 shown]
	s_waitcnt lgkmcnt(1)
	v_fma_f32 v0, -v8, v30, v0
	v_fma_f32 v0, -v9, v31, v0
	;; [unrolled: 1-line block ×4, first 2 shown]
	ds_read_b128 v[30:33], v28 offset:1968
	ds_read_b128 v[34:37], v28 offset:1984
	s_waitcnt lgkmcnt(2)
	v_fma_f32 v0, -v12, v38, v0
	v_fma_f32 v0, -v13, v39, v0
	;; [unrolled: 1-line block ×4, first 2 shown]
	s_waitcnt lgkmcnt(1)
	v_fma_f32 v0, -v20, v30, v0
	v_fma_f32 v0, -v21, v31, v0
	;; [unrolled: 1-line block ×4, first 2 shown]
	ds_read_b32 v29, v28 offset:2000
	ds_read_b128 v[30:33], v28 offset:2016
	s_waitcnt lgkmcnt(2)
	v_fma_f32 v0, -v16, v34, v0
	v_fma_f32 v0, -v17, v35, v0
	v_fma_f32 v0, -v18, v36, v0
	v_fma_f32 v0, -v19, v37, v0
	s_waitcnt lgkmcnt(1)
	v_mul_f32_e32 v0, v29, v0
	s_waitcnt lgkmcnt(0)
	v_mul_f32_e32 v29, v4, v30
	ds_read_b128 v[34:37], v28 offset:2032
	v_fma_f32 v1, v1, s16, -v29
	v_fma_f32 v1, -v5, v31, v1
	v_fma_f32 v1, -v6, v32, v1
	v_fma_f32 v1, -v7, v33, v1
	ds_read_b128 v[30:33], v28 offset:2048
	s_waitcnt lgkmcnt(1)
	v_fma_f32 v1, -v8, v34, v1
	v_fma_f32 v1, -v9, v35, v1
	v_fma_f32 v1, -v10, v36, v1
	v_fma_f32 v1, -v11, v37, v1
	ds_read_b128 v[34:37], v28 offset:2064
	s_waitcnt lgkmcnt(1)
	v_fma_f32 v1, -v12, v30, v1
	;; [unrolled: 6-line block ×3, first 2 shown]
	v_fma_f32 v1, -v21, v35, v1
	v_fma_f32 v1, -v22, v36, v1
	;; [unrolled: 1-line block ×3, first 2 shown]
	ds_read_b64 v[38:39], v28 offset:2096
	ds_read_b128 v[34:37], v28 offset:2112
	s_waitcnt lgkmcnt(2)
	v_fma_f32 v1, -v16, v30, v1
	v_fma_f32 v1, -v17, v31, v1
	;; [unrolled: 1-line block ×4, first 2 shown]
	s_waitcnt lgkmcnt(0)
	v_mul_f32_e32 v29, v4, v34
	ds_read_b128 v[30:33], v28 offset:2128
	v_fma_f32 v2, v2, s16, -v29
	v_fma_f32 v2, -v5, v35, v2
	v_fma_f32 v2, -v6, v36, v2
	v_fma_f32 v2, -v7, v37, v2
	ds_read_b128 v[34:37], v28 offset:2144
	s_waitcnt lgkmcnt(1)
	v_fma_f32 v2, -v8, v30, v2
	v_fma_f32 v2, -v9, v31, v2
	v_fma_f32 v2, -v10, v32, v2
	v_fma_f32 v2, -v11, v33, v2
	ds_read_b128 v[30:33], v28 offset:2160
	s_waitcnt lgkmcnt(1)
	v_fma_f32 v2, -v12, v34, v2
	;; [unrolled: 6-line block ×3, first 2 shown]
	v_fma_f32 v2, -v21, v31, v2
	v_fma_f32 v1, -v0, v38, v1
	;; [unrolled: 1-line block ×3, first 2 shown]
	v_mul_f32_e32 v1, v39, v1
	v_fma_f32 v2, -v23, v33, v2
	ds_read_b96 v[38:40], v28 offset:2192
	ds_read_b128 v[30:33], v28 offset:2208
	s_waitcnt lgkmcnt(2)
	v_fma_f32 v2, -v16, v34, v2
	v_fma_f32 v2, -v17, v35, v2
	;; [unrolled: 1-line block ×4, first 2 shown]
	s_waitcnt lgkmcnt(0)
	v_mul_f32_e32 v4, v4, v30
	ds_read_b128 v[34:37], v28 offset:2224
	v_fma_f32 v3, v3, s16, -v4
	v_fma_f32 v3, -v5, v31, v3
	v_fma_f32 v3, -v6, v32, v3
	v_fma_f32 v3, -v7, v33, v3
	ds_read_b128 v[4:7], v28 offset:2240
	s_waitcnt lgkmcnt(1)
	v_fma_f32 v3, -v8, v34, v3
	v_fma_f32 v3, -v9, v35, v3
	v_fma_f32 v3, -v10, v36, v3
	v_fma_f32 v3, -v11, v37, v3
	ds_read_b128 v[8:11], v28 offset:2256
	s_waitcnt lgkmcnt(1)
	v_fma_f32 v3, -v12, v4, v3
	;; [unrolled: 6-line block ×4, first 2 shown]
	v_fma_f32 v3, -v17, v5, v3
	v_fma_f32 v3, -v18, v6, v3
	;; [unrolled: 1-line block ×5, first 2 shown]
	s_waitcnt lgkmcnt(0)
	v_fma_f32 v3, -v0, v8, v3
	v_mul_f32_e32 v2, v40, v2
	v_fma_f32 v3, -v1, v9, v3
	v_fma_f32 v3, -v2, v10, v3
	v_mul_f32_e32 v3, v11, v3
	global_store_dwordx4 v[24:25], v[0:3], off offset:80
.LBB27_19:
	s_cmp_lt_i32 s6, s18
	s_cbranch_scc0 .LBB27_36
; %bb.20:
	s_add_i32 s7, s6, 19
	s_cmp_ge_u32 s7, s18
	s_cbranch_scc1 .LBB27_25
; %bb.21:
	s_lshl_b32 s11, s6, 2
	v_add_co_u32_e32 v12, vcc, s11, v24
	v_addc_co_u32_e32 v13, vcc, 0, v25, vcc
	global_load_dwordx4 v[0:3], v[12:13], off
	global_load_dwordx4 v[4:7], v[12:13], off offset:16
	global_load_dwordx4 v[8:11], v[12:13], off offset:32
	;; [unrolled: 1-line block ×4, first 2 shown]
	s_mov_b32 s11, 0
	s_andn2_b64 vcc, exec, s[8:9]
	s_waitcnt vmcnt(4)
	v_pk_mul_f32 v[0:1], v[0:1], s[16:17] op_sel_hi:[1,0]
	v_pk_mul_f32 v[2:3], v[2:3], s[16:17] op_sel_hi:[1,0]
	s_waitcnt vmcnt(3)
	v_pk_mul_f32 v[4:5], v[4:5], s[16:17] op_sel_hi:[1,0]
	v_pk_mul_f32 v[6:7], v[6:7], s[16:17] op_sel_hi:[1,0]
	s_waitcnt vmcnt(2)
	v_pk_mul_f32 v[8:9], v[8:9], s[16:17] op_sel_hi:[1,0]
	v_pk_mul_f32 v[10:11], v[10:11], s[16:17] op_sel_hi:[1,0]
	s_waitcnt vmcnt(1)
	v_pk_mul_f32 v[20:21], v[14:15], s[16:17] op_sel_hi:[1,0]
	v_pk_mul_f32 v[18:19], v[16:17], s[16:17] op_sel_hi:[1,0]
	s_waitcnt vmcnt(0)
	v_pk_mul_f32 v[16:17], v[28:29], s[16:17] op_sel_hi:[1,0]
	v_pk_mul_f32 v[14:15], v[30:31], s[16:17] op_sel_hi:[1,0]
	s_cbranch_vccnz .LBB27_24
; %bb.22:
	s_mul_i32 s8, s6, 0x60
	v_pk_mov_b32 v[22:23], v[24:25], v[24:25] op_sel:[0,1]
.LBB27_23:                              ; =>This Inner Loop Header: Depth=1
	global_load_dword v28, v[22:23], off
	v_mov_b32_e32 v29, s8
	v_add_u32_e32 v40, 0x200, v29
	ds_read2_b32 v[30:31], v29 offset1:24
	ds_read2_b32 v[32:33], v29 offset0:48 offset1:72
	ds_read2_b32 v[34:35], v29 offset0:96 offset1:120
	;; [unrolled: 1-line block ×4, first 2 shown]
	v_add_u32_e32 v29, 0x400, v29
	ds_read2_b32 v[40:41], v40 offset0:112 offset1:136
	ds_read2_b32 v[42:43], v29 offset0:32 offset1:56
	;; [unrolled: 1-line block ×5, first 2 shown]
	s_add_i32 s11, s11, 1
	s_add_i32 s8, s8, 4
	v_add_co_u32_e32 v22, vcc, 4, v22
	v_addc_co_u32_e32 v23, vcc, 0, v23, vcc
	s_cmp_lt_u32 s11, s6
	s_waitcnt vmcnt(0) lgkmcnt(9)
	v_pk_fma_f32 v[0:1], v[28:29], v[30:31], v[0:1] op_sel_hi:[0,1,1] neg_lo:[1,0,0] neg_hi:[1,0,0]
	s_waitcnt lgkmcnt(8)
	v_pk_fma_f32 v[2:3], v[28:29], v[32:33], v[2:3] op_sel_hi:[0,1,1] neg_lo:[1,0,0] neg_hi:[1,0,0]
	s_waitcnt lgkmcnt(7)
	;; [unrolled: 2-line block ×9, first 2 shown]
	v_pk_fma_f32 v[14:15], v[28:29], v[48:49], v[14:15] op_sel_hi:[0,1,1] neg_lo:[1,0,0] neg_hi:[1,0,0]
	s_cbranch_scc1 .LBB27_23
.LBB27_24:
	s_mul_i32 s8, s6, 0x64
	v_mov_b32_e32 v46, s8
	s_or_b32 s8, s6, 1
	s_mul_i32 s9, s8, 24
	s_add_i32 s8, s9, s6
	ds_read2_b32 v[22:23], v46 offset1:100
	s_lshl_b32 s8, s8, 2
	v_mov_b32_e32 v31, s8
	ds_read_b64 v[32:33], v31
	ds_read_b96 v[28:30], v31 offset:96
	s_add_i32 s11, s9, 0x48
	s_waitcnt lgkmcnt(2)
	v_mul_f32_e32 v0, v22, v0
	s_or_b32 s12, s11, s6
	s_waitcnt lgkmcnt(1)
	v_fma_f32 v1, -v0, v32, v1
	v_mul_f32_e32 v1, v33, v1
	s_waitcnt lgkmcnt(0)
	v_fma_f32 v2, -v0, v28, v2
	v_fma_f32 v2, -v1, v29, v2
	v_mul_f32_e32 v2, v30, v2
	ds_read_b128 v[28:31], v31 offset:192
	s_lshl_b32 s12, s12, 2
	v_mov_b32_e32 v22, s12
	ds_read_b128 v[32:35], v22
	s_add_i32 s11, s11, s6
	s_waitcnt lgkmcnt(1)
	v_fma_f32 v3, -v0, v28, v3
	v_fma_f32 v3, -v1, v29, v3
	s_lshl_b32 s11, s11, 2
	v_fma_f32 v3, -v2, v30, v3
	v_mov_b32_e32 v40, s11
	v_mul_f32_e32 v3, v31, v3
	ds_read_b128 v[28:31], v40 offset:96
	s_waitcnt lgkmcnt(1)
	v_fma_f32 v4, -v0, v32, v4
	v_fma_f32 v4, -v1, v33, v4
	global_store_dwordx4 v[12:13], v[0:3], off
	v_fma_f32 v4, -v2, v34, v4
	v_fma_f32 v4, -v3, v35, v4
	ds_read2_b64 v[32:35], v40 offset0:14 offset1:26
	ds_read_b128 v[36:39], v40 offset:192
	s_waitcnt lgkmcnt(2)
	v_fma_f32 v5, -v0, v28, v5
	v_fma_f32 v5, -v1, v29, v5
	;; [unrolled: 1-line block ×4, first 2 shown]
	ds_read_b128 v[28:31], v40 offset:288
	s_waitcnt lgkmcnt(1)
	v_fma_f32 v6, -v0, v36, v6
	v_mul_f32_e32 v4, v23, v4
	v_fma_f32 v6, -v1, v37, v6
	ds_read2_b32 v[22:23], v46 offset0:150 offset1:175
	v_fma_f32 v6, -v2, v38, v6
	v_fma_f32 v5, -v4, v32, v5
	;; [unrolled: 1-line block ×3, first 2 shown]
	s_add_i32 s11, s9, 0xa8
	v_mul_f32_e32 v5, v33, v5
	v_fma_f32 v6, -v4, v34, v6
	ds_read_b96 v[32:34], v40 offset:304
	s_waitcnt lgkmcnt(2)
	v_fma_f32 v7, -v0, v28, v7
	s_or_b32 s12, s11, s6
	v_fma_f32 v6, -v5, v35, v6
	v_fma_f32 v7, -v1, v29, v7
	s_lshl_b32 s12, s12, 2
	s_waitcnt lgkmcnt(1)
	v_mul_f32_e32 v6, v22, v6
	v_fma_f32 v7, -v2, v30, v7
	v_mov_b32_e32 v22, s12
	v_fma_f32 v7, -v3, v31, v7
	ds_read_b128 v[28:31], v22
	s_waitcnt lgkmcnt(1)
	v_fma_f32 v7, -v4, v32, v7
	v_fma_f32 v7, -v5, v33, v7
	;; [unrolled: 1-line block ×3, first 2 shown]
	ds_read_b128 v[32:35], v22 offset:16
	s_waitcnt lgkmcnt(1)
	v_fma_f32 v8, -v0, v28, v8
	s_add_i32 s11, s11, s6
	v_fma_f32 v8, -v1, v29, v8
	s_lshl_b32 s11, s11, 2
	v_fma_f32 v8, -v2, v30, v8
	v_mov_b32_e32 v38, s11
	v_fma_f32 v8, -v3, v31, v8
	ds_read_b128 v[28:31], v38 offset:96
	s_waitcnt lgkmcnt(1)
	v_fma_f32 v8, -v4, v32, v8
	v_fma_f32 v8, -v5, v33, v8
	v_mul_f32_e32 v7, v23, v7
	ds_read2_b32 v[22:23], v46 offset0:200 offset1:225
	v_fma_f32 v8, -v6, v34, v8
	v_fma_f32 v8, -v7, v35, v8
	ds_read_b128 v[32:35], v38 offset:112
	s_waitcnt lgkmcnt(2)
	v_fma_f32 v9, -v0, v28, v9
	v_fma_f32 v9, -v1, v29, v9
	;; [unrolled: 1-line block ×3, first 2 shown]
	s_waitcnt lgkmcnt(1)
	v_mul_f32_e32 v8, v22, v8
	v_fma_f32 v9, -v3, v31, v9
	ds_read_b32 v22, v38 offset:128
	ds_read_b128 v[28:31], v38 offset:192
	s_waitcnt lgkmcnt(2)
	v_fma_f32 v9, -v4, v32, v9
	v_fma_f32 v9, -v5, v33, v9
	;; [unrolled: 1-line block ×4, first 2 shown]
	ds_read_b128 v[32:35], v38 offset:208
	s_waitcnt lgkmcnt(1)
	v_fma_f32 v10, -v0, v28, v10
	v_fma_f32 v10, -v1, v29, v10
	;; [unrolled: 1-line block ×3, first 2 shown]
	v_add_u32_e32 v28, 0x200, v46
	v_fma_f32 v9, -v8, v22, v9
	v_fma_f32 v10, -v3, v31, v10
	ds_read2_b32 v[36:37], v28 offset0:122 offset1:147
	ds_read_b128 v[28:31], v38 offset:288
	v_mul_f32_e32 v9, v23, v9
	ds_read_b64 v[22:23], v38 offset:224
	s_waitcnt lgkmcnt(3)
	v_fma_f32 v10, -v4, v32, v10
	v_fma_f32 v10, -v5, v33, v10
	;; [unrolled: 1-line block ×4, first 2 shown]
	ds_read_b128 v[32:35], v38 offset:304
	s_waitcnt lgkmcnt(2)
	v_fma_f32 v11, -v0, v28, v11
	s_addk_i32 s9, 0x108
	v_fma_f32 v11, -v1, v29, v11
	s_or_b32 s11, s9, s6
	v_fma_f32 v11, -v2, v30, v11
	s_lshl_b32 s11, s11, 2
	s_waitcnt lgkmcnt(1)
	v_fma_f32 v10, -v8, v22, v10
	v_fma_f32 v11, -v3, v31, v11
	v_mov_b32_e32 v22, s11
	ds_read_b128 v[28:31], v22
	s_waitcnt lgkmcnt(1)
	v_fma_f32 v11, -v4, v32, v11
	v_fma_f32 v11, -v5, v33, v11
	;; [unrolled: 1-line block ×3, first 2 shown]
	ds_read_b96 v[32:34], v38 offset:320
	v_fma_f32 v11, -v7, v35, v11
	v_fma_f32 v10, -v9, v23, v10
	v_mul_f32_e32 v10, v36, v10
	global_store_dwordx4 v[12:13], v[4:7], off offset:16
	s_waitcnt lgkmcnt(0)
	v_fma_f32 v11, -v8, v32, v11
	v_fma_f32 v11, -v9, v33, v11
	;; [unrolled: 1-line block ×3, first 2 shown]
	v_mul_f32_e32 v11, v37, v11
	global_store_dwordx4 v[12:13], v[8:11], off offset:32
	ds_read_b128 v[32:35], v22 offset:16
	ds_read_b128 v[36:39], v22 offset:32
	v_fma_f32 v20, -v0, v28, v20
	v_fma_f32 v20, -v1, v29, v20
	;; [unrolled: 1-line block ×3, first 2 shown]
	s_add_i32 s9, s9, s6
	v_fma_f32 v20, -v3, v31, v20
	v_add_u32_e32 v22, 0x400, v46
	s_lshl_b32 s9, s9, 2
	s_waitcnt lgkmcnt(1)
	v_fma_f32 v20, -v4, v32, v20
	ds_read2_b32 v[44:45], v22 offset0:44 offset1:144
	v_mov_b32_e32 v22, s9
	v_fma_f32 v20, -v5, v33, v20
	ds_read_b128 v[28:31], v22 offset:96
	v_fma_f32 v20, -v6, v34, v20
	v_fma_f32 v20, -v7, v35, v20
	s_waitcnt lgkmcnt(2)
	v_fma_f32 v20, -v8, v36, v20
	v_fma_f32 v20, -v9, v37, v20
	;; [unrolled: 1-line block ×3, first 2 shown]
	s_waitcnt lgkmcnt(0)
	v_fma_f32 v21, -v0, v28, v21
	v_fma_f32 v20, -v11, v39, v20
	ds_read_b128 v[32:35], v22 offset:112
	ds_read_b128 v[36:39], v22 offset:128
	ds_read_b64 v[22:23], v22 offset:144
	v_fma_f32 v21, -v1, v29, v21
	v_fma_f32 v21, -v2, v30, v21
	v_fma_f32 v21, -v3, v31, v21
	ds_read_b128 v[28:31], v46 offset:1344
	s_waitcnt lgkmcnt(3)
	v_fma_f32 v21, -v4, v32, v21
	v_fma_f32 v21, -v5, v33, v21
	v_fma_f32 v21, -v6, v34, v21
	v_fma_f32 v21, -v7, v35, v21
	ds_read_b128 v[32:35], v46 offset:1360
	s_waitcnt lgkmcnt(1)
	v_fma_f32 v18, -v0, v28, v18
	;; [unrolled: 6-line block ×3, first 2 shown]
	v_fma_f32 v18, -v5, v33, v18
	v_fma_f32 v18, -v6, v34, v18
	ds_read_b96 v[32:34], v46 offset:1392
	v_fma_f32 v18, -v7, v35, v18
	v_fma_f32 v21, -v8, v36, v21
	s_waitcnt lgkmcnt(1)
	v_fma_f32 v18, -v8, v28, v18
	v_fma_f32 v21, -v9, v37, v21
	;; [unrolled: 1-line block ×5, first 2 shown]
	v_mul_f32_e32 v20, v44, v20
	v_fma_f32 v21, -v11, v39, v21
	v_fma_f32 v18, -v11, v31, v18
	ds_read_b128 v[28:31], v46 offset:1440
	v_fma_f32 v21, -v20, v22, v21
	v_mul_f32_e32 v21, v23, v21
	s_waitcnt lgkmcnt(1)
	v_fma_f32 v18, -v20, v32, v18
	v_fma_f32 v18, -v21, v33, v18
	v_mul_f32_e32 v22, v34, v18
	ds_read_b128 v[32:35], v46 offset:1456
	s_waitcnt lgkmcnt(1)
	v_fma_f32 v18, -v0, v28, v19
	v_fma_f32 v18, -v1, v29, v18
	v_fma_f32 v18, -v2, v30, v18
	v_fma_f32 v18, -v3, v31, v18
	ds_read_b128 v[28:31], v46 offset:1472
	s_waitcnt lgkmcnt(1)
	v_fma_f32 v18, -v4, v32, v18
	v_fma_f32 v18, -v5, v33, v18
	v_fma_f32 v18, -v6, v34, v18
	v_fma_f32 v18, -v7, v35, v18
	;; [unrolled: 6-line block ×3, first 2 shown]
	ds_read_b128 v[28:31], v46 offset:1536
	s_waitcnt lgkmcnt(1)
	v_fma_f32 v18, -v20, v32, v18
	v_fma_f32 v18, -v21, v33, v18
	v_fma_f32 v18, -v22, v34, v18
	v_mul_f32_e32 v23, v35, v18
	global_store_dwordx4 v[12:13], v[20:23], off offset:48
	s_waitcnt lgkmcnt(0)
	v_fma_f32 v16, -v0, v28, v16
	ds_read_b128 v[32:35], v46 offset:1552
	ds_read_b128 v[36:39], v46 offset:1568
	;; [unrolled: 1-line block ×3, first 2 shown]
	v_fma_f32 v16, -v1, v29, v16
	v_fma_f32 v16, -v2, v30, v16
	v_fma_f32 v16, -v3, v31, v16
	ds_read_b128 v[28:31], v46 offset:1632
	s_waitcnt lgkmcnt(3)
	v_fma_f32 v16, -v4, v32, v16
	v_fma_f32 v16, -v5, v33, v16
	v_fma_f32 v16, -v6, v34, v16
	v_fma_f32 v16, -v7, v35, v16
	ds_read_b128 v[32:35], v46 offset:1648
	s_waitcnt lgkmcnt(1)
	v_fma_f32 v17, -v0, v28, v17
	;; [unrolled: 6-line block ×4, first 2 shown]
	v_fma_f32 v17, -v9, v29, v17
	v_fma_f32 v17, -v10, v30, v17
	;; [unrolled: 1-line block ×3, first 2 shown]
	ds_read_b64 v[18:19], v46 offset:1696
	ds_read_b128 v[28:31], v46 offset:1728
	s_waitcnt lgkmcnt(2)
	v_fma_f32 v17, -v20, v32, v17
	v_fma_f32 v17, -v21, v33, v17
	;; [unrolled: 1-line block ×4, first 2 shown]
	ds_read_b128 v[32:35], v46 offset:1744
	s_waitcnt lgkmcnt(1)
	v_fma_f32 v14, -v0, v28, v14
	v_fma_f32 v16, -v8, v36, v16
	;; [unrolled: 1-line block ×7, first 2 shown]
	ds_read_b128 v[28:31], v46 offset:1760
	v_fma_f32 v16, -v11, v39, v16
	s_waitcnt lgkmcnt(1)
	v_fma_f32 v14, -v4, v32, v14
	v_fma_f32 v16, -v20, v40, v16
	v_fma_f32 v14, -v5, v33, v14
	v_fma_f32 v16, -v21, v41, v16
	v_fma_f32 v14, -v6, v34, v14
	v_fma_f32 v16, -v22, v42, v16
	v_fma_f32 v14, -v7, v35, v14
	ds_read_b128 v[32:35], v46 offset:1776
	v_fma_f32 v16, -v23, v43, v16
	s_waitcnt lgkmcnt(1)
	v_fma_f32 v14, -v8, v28, v14
	s_mul_i32 s7, s7, 24
	v_mul_f32_e32 v16, v45, v16
	v_fma_f32 v14, -v9, v29, v14
	s_add_i32 s7, s7, s6
	s_add_i32 s8, s6, 20
	v_fma_f32 v17, -v16, v18, v17
	v_fma_f32 v14, -v10, v30, v14
	s_lshl_b32 s6, s7, 2
	v_mul_f32_e32 v17, v19, v17
	v_fma_f32 v14, -v11, v31, v14
	ds_read_b96 v[36:38], v46 offset:1792
	v_mov_b32_e32 v19, s6
	ds_read_b128 v[28:31], v19
	s_waitcnt lgkmcnt(2)
	v_fma_f32 v14, -v20, v32, v14
	v_fma_f32 v14, -v21, v33, v14
	;; [unrolled: 1-line block ×4, first 2 shown]
	s_waitcnt lgkmcnt(1)
	v_fma_f32 v14, -v16, v36, v14
	v_fma_f32 v14, -v17, v37, v14
	s_waitcnt lgkmcnt(0)
	v_fma_f32 v0, -v0, v28, v15
	v_mul_f32_e32 v18, v38, v14
	ds_read_b128 v[32:35], v19 offset:16
	ds_read_b128 v[36:39], v19 offset:32
	;; [unrolled: 1-line block ×3, first 2 shown]
	v_fma_f32 v0, -v1, v29, v0
	v_fma_f32 v0, -v2, v30, v0
	;; [unrolled: 1-line block ×3, first 2 shown]
	s_waitcnt lgkmcnt(2)
	v_fma_f32 v0, -v4, v32, v0
	v_fma_f32 v0, -v5, v33, v0
	;; [unrolled: 1-line block ×4, first 2 shown]
	s_waitcnt lgkmcnt(1)
	v_fma_f32 v0, -v8, v36, v0
	v_fma_f32 v0, -v9, v37, v0
	;; [unrolled: 1-line block ×4, first 2 shown]
	ds_read_b128 v[0:3], v19 offset:64
	s_waitcnt lgkmcnt(1)
	v_fma_f32 v4, -v20, v40, v4
	v_fma_f32 v4, -v21, v41, v4
	v_fma_f32 v4, -v22, v42, v4
	v_fma_f32 v4, -v23, v43, v4
	s_waitcnt lgkmcnt(0)
	v_fma_f32 v0, -v16, v0, v4
	v_fma_f32 v0, -v17, v1, v0
	;; [unrolled: 1-line block ×3, first 2 shown]
	v_mul_f32_e32 v19, v3, v0
	s_mov_b32 s6, s8
	global_store_dwordx4 v[12:13], v[16:19], off offset:64
.LBB27_25:
	s_cmp_ge_i32 s6, s18
	s_cbranch_scc1 .LBB27_36
; %bb.26:
	s_add_i32 s11, s6, -1
	s_add_u32 s7, s2, s4
	s_addc_u32 s8, s3, s5
	s_add_u32 s7, s7, s0
	s_addc_u32 s8, s8, s1
	v_mov_b32_e32 v0, s8
	v_add_co_u32_e32 v6, vcc, s7, v26
	v_addc_co_u32_e32 v7, vcc, v0, v27, vcc
	v_add_co_u32_e32 v0, vcc, 28, v6
	s_mul_i32 s12, s6, 0x60
	v_addc_co_u32_e32 v1, vcc, 0, v7, vcc
	s_mov_b32 s9, 0
	s_mov_b32 s14, s6
	;; [unrolled: 1-line block ×3, first 2 shown]
	s_branch .LBB27_28
.LBB27_27:                              ;   in Loop: Header=BB27_28 Depth=1
	s_mul_i32 s7, s6, 0x64
	v_mov_b32_e32 v4, s7
	ds_read_b32 v4, v4
	s_add_i32 s6, s6, 1
	s_add_i32 s13, s13, 1
	s_addk_i32 s12, 0x60
	v_add_u16_e64 v5, s14, 1
	s_waitcnt lgkmcnt(0)
	v_mul_f32_e32 v4, v4, v8
	s_cmp_ge_i32 s6, s18
	v_readfirstlane_b32 s14, v5
	global_store_dword v[2:3], v4, off
	s_cbranch_scc1 .LBB27_36
.LBB27_28:                              ; =>This Loop Header: Depth=1
                                        ;     Child Loop BB27_31 Depth 2
                                        ;     Child Loop BB27_35 Depth 2
	s_ashr_i32 s7, s6, 31
	s_lshl_b64 s[20:21], s[6:7], 2
	v_mov_b32_e32 v3, s21
	v_add_co_u32_e32 v2, vcc, s20, v24
	v_addc_co_u32_e32 v3, vcc, v25, v3, vcc
	global_load_dword v4, v[2:3], off
	s_cmp_eq_u32 s6, 0
	s_waitcnt vmcnt(0)
	v_mul_f32_e32 v8, s16, v4
	s_cbranch_scc1 .LBB27_27
; %bb.29:                               ;   in Loop: Header=BB27_28 Depth=1
	s_add_i32 s7, s11, s13
	s_cmp_lt_u32 s7, 7
	s_cbranch_scc1 .LBB27_33
; %bb.30:                               ;   in Loop: Header=BB27_28 Depth=1
	s_and_b32 s8, s6, -8
	s_mov_b32 s7, 0
	v_pk_mov_b32 v[4:5], v[0:1], v[0:1] op_sel:[0,1]
	s_mov_b32 s15, s12
.LBB27_31:                              ;   Parent Loop BB27_28 Depth=1
                                        ; =>  This Inner Loop Header: Depth=2
	global_load_dwordx4 v[10:13], v[4:5], off offset:-28
	global_load_dwordx4 v[14:17], v[4:5], off offset:-12
	v_mov_b32_e32 v9, s15
	ds_read_b128 v[18:21], v9
	ds_read_b128 v[28:31], v9 offset:16
	s_add_i32 s7, s7, 8
	s_add_i32 s15, s15, 32
	v_add_co_u32_e32 v4, vcc, 32, v4
	v_addc_co_u32_e32 v5, vcc, 0, v5, vcc
	s_cmp_lg_u32 s8, s7
	s_waitcnt vmcnt(1) lgkmcnt(1)
	v_fma_f32 v8, -v10, v18, v8
	v_fma_f32 v8, -v11, v19, v8
	;; [unrolled: 1-line block ×4, first 2 shown]
	s_waitcnt vmcnt(0) lgkmcnt(0)
	v_fma_f32 v8, -v14, v28, v8
	v_fma_f32 v8, -v15, v29, v8
	;; [unrolled: 1-line block ×4, first 2 shown]
	s_cbranch_scc1 .LBB27_31
; %bb.32:                               ;   in Loop: Header=BB27_28 Depth=1
	s_and_b32 s7, s6, 7
	s_cmp_eq_u32 s7, 0
	s_cbranch_scc0 .LBB27_34
	s_branch .LBB27_27
.LBB27_33:                              ;   in Loop: Header=BB27_28 Depth=1
	s_mov_b32 s8, 0
	s_and_b32 s7, s6, 7
	s_cmp_eq_u32 s7, 0
	s_cbranch_scc1 .LBB27_27
.LBB27_34:                              ;   in Loop: Header=BB27_28 Depth=1
	s_lshl_b64 s[20:21], s[8:9], 2
	v_mov_b32_e32 v5, s21
	v_add_co_u32_e32 v4, vcc, s20, v6
	s_and_b32 s7, s14, 7
	s_lshl_b32 s15, s8, 2
	v_addc_co_u32_e32 v5, vcc, v7, v5, vcc
.LBB27_35:                              ;   Parent Loop BB27_28 Depth=1
                                        ; =>  This Inner Loop Header: Depth=2
	global_load_dword v9, v[4:5], off
	s_add_i32 s8, s12, s15
	v_mov_b32_e32 v10, s8
	ds_read_b32 v10, v10
	s_add_i32 s15, s15, 4
	v_add_co_u32_e32 v4, vcc, 4, v4
	s_add_i32 s7, s7, -1
	v_addc_co_u32_e32 v5, vcc, 0, v5, vcc
	s_cmp_lg_u32 s7, 0
	s_waitcnt vmcnt(0) lgkmcnt(0)
	v_fma_f32 v8, -v9, v10, v8
	s_cbranch_scc1 .LBB27_35
	s_branch .LBB27_27
.LBB27_36:
	s_mov_b64 s[6:7], 0
.LBB27_37:
	s_and_b64 vcc, exec, s[6:7]
	s_cbranch_vccz .LBB27_59
; %bb.38:
	s_add_i32 s6, s18, -1
	s_cmp_gt_i32 s10, 23
	s_mov_b32 s8, s6
	s_cbranch_scc0 .LBB27_40
; %bb.39:
	s_ashr_i32 s19, s18, 31
	s_lshl_b64 s[8:9], s[18:19], 2
	v_mov_b32_e32 v0, s9
	v_add_co_u32_e32 v28, vcc, s8, v24
	v_addc_co_u32_e32 v29, vcc, v25, v0, vcc
	global_load_dword v7, v[28:29], off offset:-4
	s_mov_b32 s19, 0
	s_lshl_b64 s[8:9], s[18:19], 2
	v_mov_b32_e32 v0, s9
	v_add_co_u32_e32 v30, vcc, s8, v24
	v_addc_co_u32_e32 v31, vcc, v25, v0, vcc
	global_load_dwordx3 v[4:6], v[30:31], off offset:-16
	global_load_dwordx4 v[8:11], v[30:31], off offset:-32
	global_load_dwordx4 v[0:3], v[30:31], off offset:-96
	;; [unrolled: 1-line block ×5, first 2 shown]
	s_mul_i32 s8, s6, 0x64
	s_mul_i32 s7, s6, 24
	s_add_i32 s9, s18, -4
	s_add_i32 s11, s18, -6
	s_add_i32 s12, s18, s7
	s_add_i32 s13, s8, 0xffffff9c
	;; [unrolled: 1-line block ×3, first 2 shown]
	s_sub_i32 s15, s7, 24
	s_sub_i32 s17, s7, 48
	s_add_i32 s19, s8, 0xfffffed4
	s_add_i32 s20, s11, s7
	s_lshl_b32 s12, s12, 2
	v_mov_b32_e32 v32, s13
	s_lshl_b32 s13, s14, 2
	s_add_i32 s14, s9, s15
	s_add_i32 s9, s9, s17
	;; [unrolled: 1-line block ×3, first 2 shown]
	v_mov_b32_e32 v38, s19
	s_lshl_b32 s19, s20, 2
	s_add_i32 s12, s12, -8
	v_mov_b32_e32 v33, s13
	s_lshl_b32 s13, s14, 2
	s_lshl_b32 s9, s9, 2
	;; [unrolled: 1-line block ×3, first 2 shown]
	v_mov_b32_e32 v39, s19
	v_mov_b32_e32 v34, s12
	;; [unrolled: 1-line block ×5, first 2 shown]
	s_add_i32 s11, s11, s17
	ds_read2_b32 v[30:31], v34 offset1:1
	ds_read_b32 v49, v32
	ds_read2_b32 v[32:33], v33 offset1:1
	ds_read2_b32 v[34:35], v35 offset1:1
	;; [unrolled: 1-line block ×3, first 2 shown]
	ds_read_b32 v50, v38
	ds_read2_b32 v[38:39], v39 offset1:1
	ds_read2_b32 v[40:41], v40 offset1:1
	s_lshl_b32 s11, s11, 2
	s_add_i32 s9, s11, 0xffffffa0
	v_mov_b32_e32 v42, s11
	s_addk_i32 s11, 0xff40
	v_mov_b32_e32 v44, s9
	s_add_i32 s9, s7, 0xffffff88
	v_mov_b32_e32 v46, s11
	s_add_i32 s11, s18, s9
	s_add_i32 s21, s8, 0xfffffe0c
	s_lshl_b32 s11, s11, 2
	v_mov_b32_e32 v48, s21
	ds_read2_b32 v[42:43], v42 offset1:1
	ds_read2_b32 v[44:45], v44 offset1:1
	;; [unrolled: 1-line block ×3, first 2 shown]
	ds_read_b32 v48, v48
	s_addk_i32 s8, 0xfda8
	s_sub_i32 s14, s18, 20
	s_waitcnt vmcnt(6)
	v_mul_f32_e32 v7, s16, v7
	s_waitcnt lgkmcnt(11)
	v_mul_f32_e32 v7, v31, v7
	v_mul_f32_e32 v30, v7, v30
	s_waitcnt lgkmcnt(5)
	v_mul_f32_e32 v38, v7, v38
	v_mul_f32_e32 v31, v7, v33
	v_mul_f32_e32 v32, v7, v32
	v_mul_f32_e32 v33, v7, v39
	s_waitcnt vmcnt(5)
	v_fma_f32 v6, v6, s16, -v30
	s_waitcnt vmcnt(4)
	v_fma_f32 v10, v10, s16, -v38
	v_mul_f32_e32 v6, v49, v6
	s_waitcnt lgkmcnt(4)
	v_fma_f32 v10, -v6, v40, v10
	v_mov_b32_e32 v40, s11
	v_fma_f32 v5, v5, s16, -v31
	v_fma_f32 v4, v4, s16, -v32
	;; [unrolled: 1-line block ×3, first 2 shown]
	ds_read2_b32 v[30:31], v40 offset0:112 offset1:113
	ds_read2_b32 v[32:33], v40 offset0:88 offset1:89
	v_fma_f32 v5, -v6, v35, v5
	s_sub_i32 s11, s11, 32
	v_fma_f32 v4, -v6, v34, v4
	v_mul_f32_e32 v5, v37, v5
	v_mov_b32_e32 v34, s11
	v_fma_f32 v4, -v5, v36, v4
	ds_read2_b32 v[34:35], v34 offset1:1
	ds_read2_b32 v[36:37], v40 offset0:64 offset1:65
	s_waitcnt lgkmcnt(3)
	v_mul_f32_e32 v31, v7, v31
	v_fma_f32 v9, v9, s16, -v31
	v_mov_b32_e32 v31, s8
	s_add_i32 s8, s18, -9
	v_fma_f32 v11, -v6, v41, v11
	ds_read2_b32 v[38:39], v40 offset0:40 offset1:41
	ds_read2_b32 v[40:41], v40 offset0:16 offset1:17
	s_add_i32 s11, s9, s8
	v_fma_f32 v11, -v5, v43, v11
	v_mul_f32_e32 v4, v50, v4
	s_lshl_b32 s11, s11, 2
	v_fma_f32 v10, -v5, v42, v10
	v_fma_f32 v11, -v4, v45, v11
	s_waitcnt lgkmcnt(4)
	v_fma_f32 v9, -v6, v33, v9
	ds_read_b32 v31, v31
	v_mul_f32_e32 v30, v7, v30
	s_addk_i32 s11, 0xffa0
	v_mul_f32_e32 v11, v47, v11
	v_fma_f32 v10, -v4, v44, v10
	s_waitcnt lgkmcnt(3)
	v_fma_f32 v9, -v5, v37, v9
	v_fma_f32 v8, v8, s16, -v30
	v_mov_b32_e32 v30, s11
	s_add_i32 s11, s7, 0xffffff58
	v_fma_f32 v10, -v11, v46, v10
	s_waitcnt lgkmcnt(2)
	v_fma_f32 v9, -v4, v39, v9
	s_add_i32 s8, s8, s11
	v_mul_f32_e32 v10, v48, v10
	s_waitcnt lgkmcnt(1)
	v_fma_f32 v9, -v11, v41, v9
	s_lshl_b32 s8, s8, 2
	v_fma_f32 v9, -v10, v35, v9
	v_fma_f32 v8, -v6, v32, v8
	v_mov_b32_e32 v32, s8
	s_waitcnt lgkmcnt(0)
	v_mul_f32_e32 v9, v31, v9
	v_fma_f32 v8, -v5, v36, v8
	ds_read2_b32 v[30:31], v30 offset1:1
	ds_read2_b32 v[32:33], v32 offset1:1
	s_add_i32 s8, s18, -10
	v_fma_f32 v8, -v4, v38, v8
	s_add_i32 s11, s11, s8
	v_fma_f32 v8, -v11, v40, v8
	s_lshl_b32 s11, s11, 2
	s_add_i32 s8, s8, s9
	v_fma_f32 v8, -v10, v34, v8
	v_mov_b32_e32 v44, s11
	s_lshl_b32 s8, s8, 2
	ds_read2_b32 v[34:35], v44 offset0:96 offset1:97
	ds_read2_b32 v[36:37], v44 offset0:72 offset1:73
	s_waitcnt lgkmcnt(3)
	v_fma_f32 v8, -v9, v31, v8
	v_mov_b32_e32 v31, s8
	ds_read2_b32 v[38:39], v44 offset0:168 offset1:169
	ds_read2_b32 v[40:41], v31 offset1:1
	ds_read2_b32 v[42:43], v44 offset0:144 offset1:145
	ds_read2_b32 v[44:45], v44 offset0:120 offset1:121
	s_mul_i32 s8, s18, 0x64
	s_waitcnt lgkmcnt(3)
	v_mul_f32_e32 v31, v7, v39
	s_waitcnt vmcnt(0)
	v_fma_f32 v15, v15, s16, -v31
	s_waitcnt lgkmcnt(1)
	v_fma_f32 v15, -v6, v43, v15
	s_waitcnt lgkmcnt(0)
	v_fma_f32 v15, -v5, v45, v15
	v_fma_f32 v15, -v4, v35, v15
	;; [unrolled: 1-line block ×4, first 2 shown]
	s_add_i32 s11, s8, 0xfffffc7c
	v_fma_f32 v15, -v9, v30, v15
	v_mov_b32_e32 v30, s11
	ds_read_b32 v35, v30
	v_mul_f32_e32 v8, v33, v8
	s_add_i32 s11, s18, -11
	v_fma_f32 v15, -v8, v32, v15
	s_add_i32 s12, s9, s11
	s_lshl_b32 s12, s12, 2
	s_waitcnt lgkmcnt(0)
	v_mul_f32_e32 v15, v35, v15
	v_mul_f32_e32 v35, v7, v38
	s_add_i32 s13, s12, 0xffffffa0
	v_fma_f32 v14, v14, s16, -v35
	v_mov_b32_e32 v31, s13
	s_add_i32 s13, s12, 0xffffff40
	v_fma_f32 v14, -v6, v42, v14
	v_mov_b32_e32 v32, s13
	s_addk_i32 s12, 0xfee0
	v_fma_f32 v14, -v5, v44, v14
	v_mov_b32_e32 v37, s12
	ds_read2_b32 v[30:31], v31 offset1:1
	ds_read2_b32 v[32:33], v32 offset1:1
	;; [unrolled: 1-line block ×3, first 2 shown]
	v_fma_f32 v14, -v4, v34, v14
	s_add_i32 s12, s7, 0xffffff28
	v_fma_f32 v14, -v11, v36, v14
	s_add_i32 s11, s11, s12
	v_fma_f32 v14, -v10, v40, v14
	s_lshl_b32 s11, s11, 2
	s_waitcnt lgkmcnt(2)
	v_fma_f32 v14, -v9, v31, v14
	v_mov_b32_e32 v31, s11
	s_add_i32 s11, s18, -12
	s_add_i32 s12, s12, s11
	s_add_i32 s11, s11, s9
	s_lshl_b32 s11, s11, 2
	s_waitcnt lgkmcnt(1)
	v_fma_f32 v14, -v8, v33, v14
	v_mov_b32_e32 v33, s11
	s_add_i32 s11, s8, 0xfffffbb4
	s_lshl_b32 s12, s12, 2
	v_mov_b32_e32 v38, s11
	ds_read2_b32 v[34:35], v31 offset1:1
	v_mov_b32_e32 v31, s12
	ds_read2_b32 v[36:37], v33 offset1:1
	ds_read_b32 v33, v38
	ds_read2_b32 v[38:39], v31 offset0:216 offset1:217
	ds_read2_b32 v[40:41], v31 offset0:192 offset1:193
	;; [unrolled: 1-line block ×5, first 2 shown]
	s_waitcnt lgkmcnt(4)
	v_mul_f32_e32 v31, v7, v39
	v_fma_f32 v13, v13, s16, -v31
	s_waitcnt lgkmcnt(3)
	v_fma_f32 v13, -v6, v41, v13
	s_waitcnt lgkmcnt(2)
	v_fma_f32 v13, -v5, v43, v13
	;; [unrolled: 2-line block ×4, first 2 shown]
	s_add_i32 s11, s18, -13
	v_fma_f32 v13, -v10, v37, v13
	s_add_i32 s12, s9, s11
	v_fma_f32 v13, -v9, v30, v13
	v_mul_f32_e32 v30, v7, v38
	s_lshl_b32 s12, s12, 2
	v_fma_f32 v12, v12, s16, -v30
	s_add_i32 s13, s12, 0xffffffa0
	v_fma_f32 v14, -v15, v47, v14
	v_fma_f32 v13, -v8, v32, v13
	;; [unrolled: 1-line block ×3, first 2 shown]
	v_mov_b32_e32 v30, s13
	s_add_i32 s13, s12, 0xffffff40
	v_mul_f32_e32 v14, v35, v14
	v_fma_f32 v13, -v15, v46, v13
	v_fma_f32 v12, -v5, v42, v12
	v_mov_b32_e32 v32, s13
	s_add_i32 s13, s12, 0xfffffee0
	v_fma_f32 v13, -v14, v34, v13
	v_fma_f32 v12, -v4, v44, v12
	v_mov_b32_e32 v34, s13
	s_add_i32 s13, s12, 0xfffffe80
	v_mul_f32_e32 v13, v33, v13
	v_fma_f32 v12, -v11, v48, v12
	v_mov_b32_e32 v37, s13
	ds_read2_b32 v[30:31], v30 offset1:1
	ds_read2_b32 v[32:33], v32 offset1:1
	;; [unrolled: 1-line block ×4, first 2 shown]
	v_fma_f32 v12, -v10, v36, v12
	s_addk_i32 s12, 0xfe20
	s_waitcnt lgkmcnt(3)
	v_fma_f32 v12, -v9, v31, v12
	v_mov_b32_e32 v31, s12
	s_add_i32 s12, s7, 0xfffffef8
	s_add_i32 s11, s11, s12
	s_lshl_b32 s11, s11, 2
	s_waitcnt lgkmcnt(2)
	v_fma_f32 v12, -v8, v33, v12
	v_mov_b32_e32 v33, s11
	s_add_i32 s11, s18, -14
	s_add_i32 s12, s12, s11
	s_lshl_b32 s12, s12, 2
	s_add_i32 s13, s12, 0x420
	s_waitcnt lgkmcnt(1)
	v_fma_f32 v12, -v15, v35, v12
	v_mov_b32_e32 v35, s13
	ds_read2_b32 v[36:37], v31 offset1:1
	ds_read2_b32 v[40:41], v33 offset1:1
	v_mov_b32_e32 v31, s12
	ds_read2_b32 v[42:43], v35 offset1:1
	ds_read2_b32 v[44:45], v31 offset0:168 offset1:169
	s_add_i32 s11, s11, s9
	s_lshl_b32 s11, s11, 2
	v_mov_b32_e32 v33, s11
	ds_read2_b32 v[46:47], v33 offset1:1
	ds_read2_b32 v[48:49], v31 offset0:240 offset1:241
	ds_read2_b32 v[50:51], v31 offset0:216 offset1:217
	ds_read2_b32 v[52:53], v31 offset0:192 offset1:193
	s_waitcnt lgkmcnt(5)
	v_mul_f32_e32 v31, v7, v43
	v_fma_f32 v19, v19, s16, -v31
	s_waitcnt lgkmcnt(2)
	v_fma_f32 v19, -v6, v49, v19
	s_waitcnt lgkmcnt(1)
	v_fma_f32 v19, -v5, v51, v19
	;; [unrolled: 2-line block ×3, first 2 shown]
	v_fma_f32 v19, -v11, v45, v19
	v_fma_f32 v19, -v10, v47, v19
	;; [unrolled: 1-line block ×5, first 2 shown]
	s_add_i32 s11, s8, 0xfffffaec
	v_fma_f32 v19, -v14, v38, v19
	v_mov_b32_e32 v30, s11
	v_fma_f32 v19, -v13, v36, v19
	ds_read_b32 v36, v30
	v_fma_f32 v12, -v14, v39, v12
	v_fma_f32 v12, -v13, v37, v12
	s_add_i32 s11, s18, -15
	v_mul_f32_e32 v12, v41, v12
	s_add_i32 s12, s9, s11
	v_fma_f32 v19, -v12, v40, v19
	s_lshl_b32 s12, s12, 2
	s_add_i32 s13, s12, 0xffffffa0
	s_waitcnt lgkmcnt(0)
	v_mul_f32_e32 v19, v36, v19
	v_mul_f32_e32 v36, v7, v42
	v_mov_b32_e32 v31, s13
	s_add_i32 s13, s12, 0xffffff40
	v_fma_f32 v18, v18, s16, -v36
	v_mov_b32_e32 v32, s13
	s_add_i32 s13, s12, 0xfffffee0
	v_fma_f32 v18, -v6, v48, v18
	v_mov_b32_e32 v34, s13
	v_fma_f32 v18, -v5, v50, v18
	ds_read2_b32 v[30:31], v31 offset1:1
	ds_read2_b32 v[32:33], v32 offset1:1
	;; [unrolled: 1-line block ×3, first 2 shown]
	v_fma_f32 v18, -v4, v52, v18
	v_fma_f32 v18, -v11, v44, v18
	;; [unrolled: 1-line block ×3, first 2 shown]
	s_add_i32 s13, s12, 0xfffffe80
	s_waitcnt lgkmcnt(2)
	v_fma_f32 v18, -v9, v31, v18
	v_mov_b32_e32 v31, s13
	s_add_i32 s13, s12, 0xfffffe20
	s_waitcnt lgkmcnt(1)
	v_fma_f32 v18, -v8, v33, v18
	v_mov_b32_e32 v33, s13
	s_add_i32 s13, s12, 0xfffffdc0
	s_addk_i32 s12, 0xfd60
	v_mov_b32_e32 v42, s12
	s_add_i32 s12, s7, 0xfffffec8
	s_add_i32 s11, s11, s12
	v_mov_b32_e32 v40, s13
	s_lshl_b32 s11, s11, 2
	ds_read2_b32 v[36:37], v31 offset1:1
	ds_read2_b32 v[38:39], v33 offset1:1
	;; [unrolled: 1-line block ×4, first 2 shown]
	v_mov_b32_e32 v31, s11
	s_add_i32 s11, s18, -16
	s_add_i32 s12, s12, s11
	s_lshl_b32 s12, s12, 2
	s_add_i32 s13, s12, 0x4e0
	v_mov_b32_e32 v33, s13
	ds_read2_b32 v[44:45], v31 offset1:1
	ds_read2_b32 v[46:47], v33 offset1:1
	s_add_i32 s13, s12, 0x480
	s_waitcnt lgkmcnt(6)
	v_fma_f32 v18, -v15, v35, v18
	v_mov_b32_e32 v35, s13
	s_add_i32 s13, s12, 0x420
	s_add_i32 s11, s11, s9
	v_mov_b32_e32 v31, s13
	ds_read2_b32 v[48:49], v35 offset1:1
	ds_read2_b32 v[50:51], v31 offset1:1
	s_lshl_b32 s11, s11, 2
	v_mov_b32_e32 v35, s11
	s_add_i32 s11, s8, 0xfffffa24
	s_waitcnt lgkmcnt(7)
	v_fma_f32 v18, -v14, v37, v18
	s_waitcnt lgkmcnt(2)
	v_mul_f32_e32 v31, v7, v47
	v_mov_b32_e32 v33, s12
	v_mov_b32_e32 v37, s11
	ds_read2_b32 v[52:53], v35 offset1:1
	ds_read_b32 v35, v37
	ds_read2_b32 v[54:55], v33 offset0:240 offset1:241
	ds_read2_b32 v[56:57], v33 offset0:216 offset1:217
	v_fma_f32 v17, v17, s16, -v31
	s_waitcnt lgkmcnt(5)
	v_fma_f32 v17, -v6, v49, v17
	s_waitcnt lgkmcnt(4)
	v_fma_f32 v17, -v5, v51, v17
	;; [unrolled: 2-line block ×4, first 2 shown]
	v_fma_f32 v17, -v10, v53, v17
	v_fma_f32 v17, -v9, v30, v17
	;; [unrolled: 1-line block ×3, first 2 shown]
	s_sub_i32 s11, s18, 17
	v_fma_f32 v17, -v15, v34, v17
	s_add_i32 s12, s9, s11
	v_fma_f32 v18, -v13, v39, v18
	v_fma_f32 v17, -v14, v36, v17
	s_lshl_b32 s12, s12, 2
	v_fma_f32 v18, -v12, v41, v18
	v_fma_f32 v17, -v13, v38, v17
	v_mul_f32_e32 v30, v7, v46
	s_add_i32 s13, s12, 0xffffffa0
	v_fma_f32 v18, -v19, v43, v18
	v_fma_f32 v17, -v12, v40, v17
	v_fma_f32 v16, v16, s16, -v30
	v_mov_b32_e32 v30, s13
	s_add_i32 s13, s12, 0xffffff40
	v_mul_f32_e32 v18, v45, v18
	v_fma_f32 v17, -v19, v42, v17
	v_fma_f32 v16, -v6, v48, v16
	v_mov_b32_e32 v32, s13
	s_add_i32 s13, s12, 0xfffffee0
	v_fma_f32 v17, -v18, v44, v17
	v_fma_f32 v16, -v5, v50, v16
	v_mov_b32_e32 v34, s13
	v_mul_f32_e32 v17, v35, v17
	v_fma_f32 v16, -v4, v54, v16
	ds_read2_b32 v[30:31], v30 offset1:1
	ds_read2_b32 v[32:33], v32 offset1:1
	;; [unrolled: 1-line block ×3, first 2 shown]
	v_fma_f32 v16, -v11, v56, v16
	s_add_i32 s13, s12, 0xfffffe80
	v_fma_f32 v16, -v10, v52, v16
	v_mov_b32_e32 v36, s13
	s_add_i32 s13, s12, 0xfffffe20
	s_waitcnt lgkmcnt(2)
	v_fma_f32 v16, -v9, v31, v16
	v_mov_b32_e32 v31, s13
	s_add_i32 s13, s12, 0xfffffdc0
	s_waitcnt lgkmcnt(1)
	;; [unrolled: 4-line block ×3, first 2 shown]
	v_fma_f32 v16, -v15, v35, v16
	v_mov_b32_e32 v35, s13
	s_add_i32 s13, s12, 0xfffffd00
	v_mov_b32_e32 v44, s13
	s_addk_i32 s12, 0xfca0
	ds_read2_b32 v[36:37], v36 offset1:1
	ds_read2_b32 v[38:39], v31 offset1:1
	ds_read2_b32 v[40:41], v33 offset1:1
	ds_read2_b32 v[42:43], v35 offset1:1
	ds_read2_b32 v[44:45], v44 offset1:1
	v_mov_b32_e32 v31, s12
	s_add_i32 s12, s7, 0xfffffe98
	s_add_i32 s11, s11, s12
	s_lshl_b32 s11, s11, 2
	v_mov_b32_e32 v33, s11
	s_sub_i32 s11, s18, 18
	s_add_i32 s12, s12, s11
	s_lshl_b32 s12, s12, 2
	s_add_i32 s13, s12, 0x5a0
	v_mov_b32_e32 v35, s13
	ds_read2_b32 v[46:47], v31 offset1:1
	ds_read2_b32 v[48:49], v33 offset1:1
	;; [unrolled: 1-line block ×3, first 2 shown]
	s_add_i32 s13, s12, 0x540
	v_mov_b32_e32 v31, s13
	ds_read2_b32 v[52:53], v31 offset1:1
	s_add_i32 s13, s12, 0x4e0
	s_waitcnt lgkmcnt(1)
	v_mul_f32_e32 v31, v7, v51
	s_add_i32 s11, s11, s9
	v_fma_f32 v23, v23, s16, -v31
	v_mov_b32_e32 v31, s13
	s_add_i32 s13, s12, 0x480
	s_addk_i32 s12, 0x420
	s_lshl_b32 s11, s11, 2
	v_fma_f32 v16, -v14, v37, v16
	v_mov_b32_e32 v33, s13
	v_mov_b32_e32 v35, s12
	;; [unrolled: 1-line block ×3, first 2 shown]
	ds_read2_b32 v[54:55], v31 offset1:1
	ds_read2_b32 v[56:57], v33 offset1:1
	;; [unrolled: 1-line block ×4, first 2 shown]
	s_waitcnt lgkmcnt(4)
	v_fma_f32 v23, -v6, v53, v23
	s_waitcnt lgkmcnt(3)
	v_fma_f32 v23, -v5, v55, v23
	;; [unrolled: 2-line block ×5, first 2 shown]
	v_fma_f32 v23, -v9, v30, v23
	v_fma_f32 v23, -v8, v32, v23
	;; [unrolled: 1-line block ×5, first 2 shown]
	s_add_i32 s11, s8, 0xfffff95c
	v_fma_f32 v16, -v12, v41, v16
	v_fma_f32 v23, -v13, v38, v23
	v_mov_b32_e32 v30, s11
	v_fma_f32 v16, -v19, v43, v16
	v_fma_f32 v23, -v12, v40, v23
	ds_read_b32 v36, v30
	v_fma_f32 v16, -v18, v45, v16
	v_fma_f32 v23, -v19, v42, v23
	;; [unrolled: 1-line block ×4, first 2 shown]
	s_sub_i32 s11, s18, 19
	v_mul_f32_e32 v16, v49, v16
	v_fma_f32 v23, -v17, v46, v23
	s_add_i32 s12, s9, s11
	v_fma_f32 v23, -v16, v48, v23
	s_lshl_b32 s12, s12, 2
	s_add_i32 s13, s12, 0xffffffa0
	s_waitcnt lgkmcnt(0)
	v_mul_f32_e32 v23, v36, v23
	v_mul_f32_e32 v36, v7, v50
	v_mov_b32_e32 v31, s13
	s_add_i32 s13, s12, 0xffffff40
	v_fma_f32 v22, v22, s16, -v36
	v_mov_b32_e32 v32, s13
	s_add_i32 s13, s12, 0xfffffee0
	v_fma_f32 v22, -v6, v52, v22
	v_mov_b32_e32 v34, s13
	v_fma_f32 v22, -v5, v54, v22
	ds_read2_b32 v[30:31], v31 offset1:1
	ds_read2_b32 v[32:33], v32 offset1:1
	;; [unrolled: 1-line block ×3, first 2 shown]
	v_fma_f32 v22, -v4, v56, v22
	v_fma_f32 v22, -v11, v58, v22
	;; [unrolled: 1-line block ×3, first 2 shown]
	s_add_i32 s13, s12, 0xfffffe80
	s_waitcnt lgkmcnt(2)
	v_fma_f32 v22, -v9, v31, v22
	v_mov_b32_e32 v31, s13
	s_add_i32 s13, s12, 0xfffffe20
	s_waitcnt lgkmcnt(1)
	v_fma_f32 v22, -v8, v33, v22
	v_mov_b32_e32 v33, s13
	;; [unrolled: 4-line block ×3, first 2 shown]
	s_add_i32 s13, s12, 0xfffffd60
	ds_read2_b32 v[36:37], v31 offset1:1
	ds_read2_b32 v[38:39], v33 offset1:1
	;; [unrolled: 1-line block ×3, first 2 shown]
	v_mov_b32_e32 v31, s13
	s_add_i32 s13, s12, 0xfffffd00
	ds_read2_b32 v[42:43], v31 offset1:1
	v_mov_b32_e32 v31, s13
	s_add_i32 s13, s12, 0xfffffca0
	v_mov_b32_e32 v33, s13
	s_add_i32 s13, s12, 0xfffffc40
	;; [unrolled: 2-line block ×3, first 2 shown]
	s_add_i32 s15, s13, s14
	s_lshl_b32 s15, s15, 2
	s_add_i32 s17, s15, 0x660
	s_waitcnt lgkmcnt(3)
	v_fma_f32 v22, -v14, v37, v22
	v_mov_b32_e32 v37, s17
	ds_read2_b32 v[44:45], v37 offset1:1
	s_add_i32 s17, s15, 0x600
	s_waitcnt lgkmcnt(3)
	v_fma_f32 v22, -v13, v39, v22
	v_mov_b32_e32 v39, s17
	s_add_i32 s17, s15, 0x5a0
	s_addk_i32 s12, 0xfbe0
	v_mov_b32_e32 v37, s17
	ds_read2_b32 v[46:47], v39 offset1:1
	ds_read2_b32 v[48:49], v37 offset1:1
	v_mov_b32_e32 v37, s12
	s_waitcnt lgkmcnt(2)
	v_mul_f32_e32 v39, v7, v45
	s_add_i32 s12, s15, 0x540
	v_fma_f32 v21, v21, s16, -v39
	v_mov_b32_e32 v39, s12
	s_add_i32 s12, s15, 0x4e0
	s_add_i32 s14, s14, s9
	v_fma_f32 v22, -v12, v41, v22
	v_mov_b32_e32 v41, s12
	s_lshl_b32 s12, s14, 2
	v_mov_b32_e32 v45, s12
	ds_read2_b32 v[50:51], v39 offset1:1
	ds_read2_b32 v[52:53], v41 offset1:1
	ds_read2_b32 v[54:55], v45 offset1:1
	s_waitcnt lgkmcnt(4)
	v_fma_f32 v21, -v6, v47, v21
	s_waitcnt lgkmcnt(3)
	v_fma_f32 v21, -v5, v49, v21
	;; [unrolled: 2-line block ×5, first 2 shown]
	s_add_i32 s12, s8, 0xfffff894
	v_fma_f32 v21, -v9, v30, v21
	v_mov_b32_e32 v39, s12
	v_fma_f32 v21, -v8, v32, v21
	ds_read_b32 v39, v39
	ds_read2_b32 v[30:31], v31 offset1:1
	ds_read2_b32 v[56:57], v33 offset1:1
	ds_read2_b32 v[58:59], v35 offset1:1
	ds_read2_b32 v[60:61], v37 offset1:1
	s_add_i32 s11, s11, s13
	v_fma_f32 v21, -v15, v34, v21
	v_fma_f32 v22, -v19, v43, v22
	s_lshl_b32 s11, s11, 2
	v_fma_f32 v21, -v14, v36, v21
	s_waitcnt lgkmcnt(3)
	v_fma_f32 v22, -v18, v31, v22
	v_mov_b32_e32 v31, s11
	v_fma_f32 v21, -v13, v38, v21
	s_sub_i32 s11, s18, 21
	v_fma_f32 v21, -v12, v40, v21
	s_add_i32 s12, s9, s11
	v_fma_f32 v21, -v19, v42, v21
	s_lshl_b32 s12, s12, 2
	v_fma_f32 v21, -v18, v30, v21
	v_mul_f32_e32 v30, v7, v44
	s_add_i32 s13, s12, 0xffffffa0
	v_fma_f32 v20, v20, s16, -v30
	v_mov_b32_e32 v30, s13
	s_add_i32 s13, s12, 0xffffff40
	v_fma_f32 v20, -v6, v46, v20
	v_mov_b32_e32 v32, s13
	s_add_i32 s13, s12, 0xfffffee0
	ds_read2_b32 v[62:63], v31 offset1:1
	v_fma_f32 v20, -v5, v48, v20
	v_mov_b32_e32 v34, s13
	s_add_i32 s13, s12, 0xfffffe80
	v_fma_f32 v20, -v4, v50, v20
	v_mov_b32_e32 v36, s13
	s_waitcnt lgkmcnt(3)
	v_fma_f32 v22, -v17, v57, v22
	v_fma_f32 v20, -v11, v52, v20
	ds_read2_b32 v[30:31], v30 offset1:1
	ds_read2_b32 v[32:33], v32 offset1:1
	;; [unrolled: 1-line block ×4, first 2 shown]
	s_waitcnt lgkmcnt(6)
	v_fma_f32 v22, -v16, v59, v22
	v_fma_f32 v21, -v17, v56, v21
	;; [unrolled: 1-line block ×3, first 2 shown]
	s_add_i32 s13, s12, 0xfffffe20
	s_waitcnt lgkmcnt(5)
	v_fma_f32 v22, -v23, v61, v22
	v_fma_f32 v21, -v16, v58, v21
	s_waitcnt lgkmcnt(3)
	v_fma_f32 v20, -v9, v31, v20
	v_mov_b32_e32 v31, s13
	s_add_i32 s13, s12, 0xfffffdc0
	v_mul_f32_e32 v22, v63, v22
	v_fma_f32 v21, -v23, v60, v21
	s_waitcnt lgkmcnt(2)
	v_fma_f32 v20, -v8, v33, v20
	v_mov_b32_e32 v33, s13
	s_add_i32 s13, s12, 0xfffffd60
	v_fma_f32 v21, -v22, v62, v21
	s_waitcnt lgkmcnt(1)
	v_fma_f32 v20, -v15, v35, v20
	v_mov_b32_e32 v35, s13
	s_add_i32 s13, s12, 0xfffffd00
	v_mul_f32_e32 v21, v39, v21
	ds_read2_b32 v[38:39], v31 offset1:1
	ds_read2_b32 v[40:41], v33 offset1:1
	;; [unrolled: 1-line block ×3, first 2 shown]
	v_mov_b32_e32 v31, s13
	s_add_i32 s13, s12, 0xfffffca0
	ds_read2_b32 v[44:45], v31 offset1:1
	v_mov_b32_e32 v31, s13
	s_add_i32 s13, s12, 0xfffffc40
	v_mov_b32_e32 v33, s13
	s_add_i32 s13, s12, 0xfffffbe0
	v_mov_b32_e32 v35, s13
	s_add_i32 s13, s12, 0xfffffb80
	s_addk_i32 s12, 0xfb20
	s_waitcnt lgkmcnt(4)
	v_fma_f32 v20, -v14, v37, v20
	v_mov_b32_e32 v37, s12
	s_add_i32 s12, s7, 0xfffffe38
	s_add_i32 s11, s11, s12
	s_lshl_b32 s11, s11, 2
	s_waitcnt lgkmcnt(3)
	v_fma_f32 v20, -v13, v39, v20
	v_mov_b32_e32 v39, s11
	s_sub_i32 s11, s18, 22
	s_add_i32 s12, s12, s11
	s_lshl_b32 s12, s12, 2
	s_add_i32 s14, s12, 0x720
	s_waitcnt lgkmcnt(2)
	v_fma_f32 v20, -v12, v41, v20
	v_mov_b32_e32 v41, s14
	ds_read2_b32 v[46:47], v37 offset1:1
	ds_read2_b32 v[48:49], v39 offset1:1
	;; [unrolled: 1-line block ×3, first 2 shown]
	v_mov_b32_e32 v37, s13
	s_add_i32 s13, s12, 0x6c0
	v_mov_b32_e32 v39, s13
	ds_read2_b32 v[52:53], v39 offset1:1
	s_waitcnt lgkmcnt(1)
	v_mul_f32_e32 v39, v7, v51
	s_add_i32 s13, s12, 0x660
	s_add_i32 s11, s11, s9
	v_fma_f32 v3, v3, s16, -v39
	v_mov_b32_e32 v39, s13
	s_add_i32 s13, s12, 0x600
	s_addk_i32 s12, 0x5a0
	s_lshl_b32 s11, s11, 2
	v_fma_f32 v20, -v19, v43, v20
	v_mov_b32_e32 v41, s13
	v_mov_b32_e32 v43, s12
	;; [unrolled: 1-line block ×3, first 2 shown]
	ds_read2_b32 v[54:55], v39 offset1:1
	ds_read2_b32 v[56:57], v41 offset1:1
	;; [unrolled: 1-line block ×4, first 2 shown]
	s_waitcnt lgkmcnt(4)
	v_fma_f32 v3, -v6, v53, v3
	s_waitcnt lgkmcnt(3)
	v_fma_f32 v3, -v5, v55, v3
	;; [unrolled: 2-line block ×5, first 2 shown]
	v_fma_f32 v3, -v9, v30, v3
	v_fma_f32 v3, -v8, v32, v3
	;; [unrolled: 1-line block ×5, first 2 shown]
	ds_read2_b32 v[30:31], v31 offset1:1
	ds_read2_b32 v[62:63], v33 offset1:1
	;; [unrolled: 1-line block ×4, first 2 shown]
	v_fma_f32 v3, -v12, v40, v3
	v_fma_f32 v20, -v18, v45, v20
	;; [unrolled: 1-line block ×3, first 2 shown]
	s_waitcnt lgkmcnt(3)
	v_fma_f32 v20, -v17, v31, v20
	v_fma_f32 v3, -v18, v44, v3
	s_add_i32 s11, s8, 0xfffff7cc
	s_waitcnt lgkmcnt(2)
	v_fma_f32 v20, -v16, v63, v20
	v_fma_f32 v3, -v17, v30, v3
	v_mov_b32_e32 v30, s11
	s_waitcnt lgkmcnt(1)
	v_fma_f32 v20, -v23, v65, v20
	v_fma_f32 v3, -v16, v62, v3
	ds_read_b32 v36, v30
	s_waitcnt lgkmcnt(1)
	v_fma_f32 v20, -v22, v67, v20
	v_fma_f32 v3, -v23, v64, v3
	;; [unrolled: 1-line block ×4, first 2 shown]
	s_sub_i32 s11, s18, 23
	v_mul_f32_e32 v20, v49, v20
	v_fma_f32 v3, -v21, v46, v3
	s_add_i32 s9, s9, s11
	v_fma_f32 v3, -v20, v48, v3
	s_lshl_b32 s9, s9, 2
	s_add_i32 s12, s9, 0xffffffa0
	s_waitcnt lgkmcnt(0)
	v_mul_f32_e32 v3, v36, v3
	v_mul_f32_e32 v36, v7, v50
	v_mov_b32_e32 v31, s12
	s_add_i32 s12, s9, 0xffffff40
	v_fma_f32 v2, v2, s16, -v36
	v_mov_b32_e32 v32, s12
	s_add_i32 s12, s9, 0xfffffee0
	v_fma_f32 v2, -v6, v52, v2
	v_mov_b32_e32 v34, s12
	v_fma_f32 v2, -v5, v54, v2
	ds_read2_b32 v[30:31], v31 offset1:1
	ds_read2_b32 v[32:33], v32 offset1:1
	;; [unrolled: 1-line block ×3, first 2 shown]
	v_fma_f32 v2, -v4, v56, v2
	v_fma_f32 v2, -v11, v58, v2
	;; [unrolled: 1-line block ×3, first 2 shown]
	s_add_i32 s12, s9, 0xfffffe80
	s_waitcnt lgkmcnt(2)
	v_fma_f32 v2, -v9, v31, v2
	v_mov_b32_e32 v31, s12
	s_add_i32 s12, s9, 0xfffffe20
	s_waitcnt lgkmcnt(1)
	v_fma_f32 v2, -v8, v33, v2
	v_mov_b32_e32 v33, s12
	s_add_i32 s12, s9, 0xfffffdc0
	v_mov_b32_e32 v40, s12
	s_add_i32 s12, s9, 0xfffffd60
	s_addk_i32 s7, 0xfe08
	s_sub_i32 s13, s18, 24
	v_mov_b32_e32 v42, s12
	s_add_i32 s13, s7, s13
	ds_read2_b32 v[36:37], v31 offset1:1
	ds_read2_b32 v[38:39], v33 offset1:1
	;; [unrolled: 1-line block ×4, first 2 shown]
	s_lshl_b32 s13, s13, 2
	s_waitcnt lgkmcnt(4)
	v_fma_f32 v2, -v15, v35, v2
	s_add_i32 s14, s13, 0x7e0
	s_waitcnt lgkmcnt(3)
	v_fma_f32 v2, -v14, v37, v2
	v_mov_b32_e32 v37, s14
	ds_read2_b32 v[44:45], v37 offset1:1
	s_add_i32 s12, s9, 0xfffffd00
	v_mov_b32_e32 v31, s12
	s_add_i32 s12, s9, 0xfffffca0
	s_add_i32 s14, s13, 0x780
	s_waitcnt lgkmcnt(3)
	v_fma_f32 v2, -v13, v39, v2
	v_mov_b32_e32 v33, s12
	s_add_i32 s12, s9, 0xfffffc40
	v_mov_b32_e32 v39, s14
	s_add_i32 s14, s13, 0x720
	;; [unrolled: 2-line block ×3, first 2 shown]
	v_mov_b32_e32 v37, s14
	ds_read2_b32 v[46:47], v39 offset1:1
	ds_read2_b32 v[48:49], v37 offset1:1
	v_mov_b32_e32 v37, s12
	s_waitcnt lgkmcnt(2)
	v_mul_f32_e32 v39, v7, v45
	s_add_i32 s12, s13, 0x6c0
	v_fma_f32 v1, v1, s16, -v39
	v_mov_b32_e32 v39, s12
	s_add_i32 s12, s13, 0x660
	v_fma_f32 v2, -v12, v41, v2
	v_mov_b32_e32 v41, s12
	s_add_i32 s12, s13, 0x600
	v_fma_f32 v2, -v19, v43, v2
	v_mov_b32_e32 v43, s12
	ds_read2_b32 v[50:51], v39 offset1:1
	ds_read2_b32 v[52:53], v41 offset1:1
	;; [unrolled: 1-line block ×3, first 2 shown]
	s_waitcnt lgkmcnt(4)
	v_fma_f32 v1, -v6, v47, v1
	s_waitcnt lgkmcnt(3)
	v_fma_f32 v1, -v5, v49, v1
	s_waitcnt lgkmcnt(2)
	v_fma_f32 v1, -v4, v51, v1
	s_waitcnt lgkmcnt(1)
	v_fma_f32 v1, -v11, v53, v1
	s_add_i32 s12, s8, 0xfffff704
	s_waitcnt lgkmcnt(0)
	v_fma_f32 v1, -v10, v55, v1
	v_mov_b32_e32 v39, s12
	v_fma_f32 v1, -v9, v30, v1
	ds_read_b32 v41, v39
	ds_read2_b32 v[56:57], v31 offset1:1
	ds_read2_b32 v[58:59], v33 offset1:1
	;; [unrolled: 1-line block ×3, first 2 shown]
	v_fma_f32 v1, -v8, v32, v1
	ds_read2_b32 v[30:31], v37 offset1:1
	v_fma_f32 v1, -v15, v34, v1
	v_fma_f32 v1, -v14, v36, v1
	s_waitcnt lgkmcnt(3)
	v_fma_f32 v2, -v18, v57, v2
	s_add_i32 s12, s9, 0xfffffb80
	v_fma_f32 v1, -v13, v38, v1
	s_waitcnt lgkmcnt(2)
	v_fma_f32 v2, -v17, v59, v2
	v_mov_b32_e32 v33, s12
	s_add_i32 s12, s9, 0xfffffb20
	s_add_i32 s11, s11, s7
	v_fma_f32 v1, -v12, v40, v1
	s_waitcnt lgkmcnt(1)
	v_fma_f32 v2, -v16, v61, v2
	v_mov_b32_e32 v35, s12
	s_add_i32 s12, s9, 0xfffffac0
	s_addk_i32 s9, 0xfa60
	s_lshl_b32 s7, s11, 2
	v_fma_f32 v1, -v19, v42, v1
	v_mov_b32_e32 v37, s12
	v_mov_b32_e32 v39, s9
	s_waitcnt lgkmcnt(0)
	v_fma_f32 v2, -v23, v31, v2
	v_mov_b32_e32 v31, s7
	v_fma_f32 v1, -v18, v56, v1
	ds_read2_b32 v[32:33], v33 offset1:1
	ds_read2_b32 v[34:35], v35 offset1:1
	;; [unrolled: 1-line block ×5, first 2 shown]
	global_store_dwordx4 v[28:29], v[4:7], off offset:-16
	global_store_dwordx4 v[28:29], v[8:11], off offset:-32
	;; [unrolled: 1-line block ×5, first 2 shown]
	v_fma_f32 v1, -v17, v58, v1
	v_mul_f32_e32 v7, v7, v44
	v_fma_f32 v1, -v16, v60, v1
	v_fma_f32 v0, v0, s16, -v7
	v_fma_f32 v1, -v23, v30, v1
	v_fma_f32 v0, -v6, v46, v0
	v_mov_b32_e32 v30, s13
	v_fma_f32 v0, -v5, v48, v0
	v_add_u32_e32 v5, 0x400, v30
	ds_read2_b32 v[6:7], v5 offset0:80 offset1:104
	v_fma_f32 v0, -v4, v50, v0
	v_fma_f32 v0, -v11, v52, v0
	;; [unrolled: 1-line block ×3, first 2 shown]
	ds_read2_b32 v[4:5], v5 offset0:32 offset1:56
	s_waitcnt lgkmcnt(1)
	v_fma_f32 v0, -v9, v7, v0
	v_add_u32_e32 v7, 0x200, v30
	ds_read2_b32 v[10:11], v7 offset0:112 offset1:136
	v_fma_f32 v0, -v8, v6, v0
	ds_read2_b32 v[6:7], v30 offset0:192 offset1:216
	s_waitcnt lgkmcnt(2)
	v_fma_f32 v0, -v15, v5, v0
	v_fma_f32 v0, -v14, v4, v0
	ds_read2_b32 v[4:5], v30 offset0:144 offset1:168
	s_waitcnt lgkmcnt(2)
	v_fma_f32 v0, -v13, v11, v0
	;; [unrolled: 4-line block ×4, first 2 shown]
	v_fma_f32 v0, -v16, v4, v0
	s_waitcnt lgkmcnt(1)
	v_fma_f32 v0, -v23, v9, v0
	v_fma_f32 v2, -v22, v33, v2
	v_fma_f32 v0, -v22, v8, v0
	ds_read2_b32 v[4:5], v30 offset1:24
	s_add_i32 s7, s13, 0xffffffa0
	v_fma_f32 v2, -v21, v35, v2
	v_fma_f32 v1, -v22, v32, v1
	s_waitcnt lgkmcnt(1)
	v_fma_f32 v0, -v21, v7, v0
	v_mov_b32_e32 v7, s7
	s_add_i32 s7, s8, 0xfffff6a0
	v_fma_f32 v2, -v20, v37, v2
	v_fma_f32 v1, -v21, v34, v1
	ds_read_b32 v7, v7
	v_mov_b32_e32 v8, s7
	v_fma_f32 v2, -v3, v39, v2
	v_fma_f32 v1, -v20, v36, v1
	ds_read_b32 v8, v8
	v_mul_f32_e32 v2, v63, v2
	v_fma_f32 v1, -v3, v38, v1
	v_fma_f32 v0, -v20, v6, v0
	;; [unrolled: 1-line block ×3, first 2 shown]
	s_waitcnt lgkmcnt(2)
	v_fma_f32 v0, -v3, v5, v0
	v_mul_f32_e32 v1, v41, v1
	v_fma_f32 v0, -v2, v4, v0
	s_waitcnt lgkmcnt(1)
	v_fma_f32 v0, -v1, v7, v0
	s_waitcnt lgkmcnt(0)
	v_mul_f32_e32 v0, v8, v0
	s_sub_i32 s8, s18, 25
	global_store_dwordx4 v[28:29], v[0:3], off offset:-96
.LBB27_40:
	s_cmp_gt_i32 s8, -1
	s_cbranch_scc0 .LBB27_59
; %bb.41:
	s_cmp_lt_u32 s8, 19
	s_cbranch_scc1 .LBB27_46
; %bb.42:
	s_mov_b32 s9, 0
	s_lshl_b64 s[12:13], s[8:9], 2
	v_mov_b32_e32 v0, s13
	v_add_co_u32_e32 v12, vcc, s12, v24
	v_addc_co_u32_e32 v13, vcc, v25, v0, vcc
	global_load_dwordx4 v[0:3], v[12:13], off offset:-12
	global_load_dwordx4 v[4:7], v[12:13], off offset:-28
	;; [unrolled: 1-line block ×5, first 2 shown]
	s_cmp_le_i32 s6, s8
	s_waitcnt vmcnt(4)
	v_pk_mul_f32 v[14:15], v[2:3], s[16:17] op_sel_hi:[1,0]
	v_pk_mul_f32 v[22:23], v[0:1], s[16:17] op_sel_hi:[1,0]
	s_waitcnt vmcnt(3)
	v_pk_mul_f32 v[2:3], v[6:7], s[16:17] op_sel_hi:[1,0]
	v_pk_mul_f32 v[0:1], v[4:5], s[16:17] op_sel_hi:[1,0]
	;; [unrolled: 3-line block ×5, first 2 shown]
	s_cbranch_scc1 .LBB27_45
; %bb.43:
	s_mul_i32 s7, s18, 0x60
	s_lshl_b32 s9, s8, 2
	s_add_i32 s7, s7, s9
	s_add_i32 s9, s7, 0xffffff54
	s_ashr_i32 s7, s6, 31
	s_lshl_b64 s[12:13], s[6:7], 2
	s_add_u32 s7, s2, s12
	s_addc_u32 s11, s3, s13
	s_add_u32 s7, s7, s4
	s_addc_u32 s11, s11, s5
	;; [unrolled: 2-line block ×3, first 2 shown]
	v_mov_b32_e32 v21, s11
	v_add_co_u32_e32 v20, vcc, s7, v26
	v_addc_co_u32_e32 v21, vcc, v21, v27, vcc
	s_mov_b32 s7, s6
.LBB27_44:                              ; =>This Inner Loop Header: Depth=1
	global_load_dword v28, v[20:21], off
	v_mov_b32_e32 v29, s9
	ds_read2_b32 v[30:31], v29 offset0:18 offset1:19
	ds_read2_b32 v[32:33], v29 offset0:16 offset1:17
	;; [unrolled: 1-line block ×9, first 2 shown]
	ds_read2_b32 v[48:49], v29 offset1:1
	s_add_i32 s7, s7, -1
	s_addk_i32 s9, 0xffa0
	v_add_co_u32_e32 v20, vcc, -4, v20
	v_addc_co_u32_e32 v21, vcc, -1, v21, vcc
	s_cmp_gt_i32 s7, s8
	s_waitcnt vmcnt(0) lgkmcnt(9)
	v_pk_fma_f32 v[14:15], v[28:29], v[30:31], v[14:15] op_sel_hi:[0,1,1] neg_lo:[1,0,0] neg_hi:[1,0,0]
	s_waitcnt lgkmcnt(8)
	v_pk_fma_f32 v[22:23], v[28:29], v[32:33], v[22:23] op_sel_hi:[0,1,1] neg_lo:[1,0,0] neg_hi:[1,0,0]
	s_waitcnt lgkmcnt(7)
	;; [unrolled: 2-line block ×9, first 2 shown]
	v_pk_fma_f32 v[16:17], v[28:29], v[48:49], v[16:17] op_sel_hi:[0,1,1] neg_lo:[1,0,0] neg_hi:[1,0,0]
	s_cbranch_scc1 .LBB27_44
.LBB27_45:
	s_mul_i32 s7, s8, 0x64
	s_add_i32 s9, s7, -4
	v_mov_b32_e32 v20, s9
	s_mul_i32 s11, s8, 24
	s_add_i32 s9, s7, 0xffffff9c
	s_add_i32 s13, s8, -3
	v_mov_b32_e32 v28, s9
	s_add_i32 s9, s13, s11
	s_lshl_b32 s9, s9, 2
	s_sub_i32 s12, s11, 24
	ds_read2_b32 v[20:21], v20 offset1:1
	v_mov_b32_e32 v29, s9
	s_add_i32 s9, s13, s12
	s_lshl_b32 s9, s9, 2
	v_mov_b32_e32 v30, s9
	ds_read_b32 v32, v28
	ds_read2_b32 v[28:29], v29 offset1:1
	ds_read2_b32 v[30:31], v30 offset1:1
	s_waitcnt lgkmcnt(3)
	v_mul_f32_e32 v15, v21, v15
	s_ashr_i32 s9, s8, 31
	global_store_dword v[12:13], v15, off
	v_fma_f32 v12, -v15, v20, v14
	s_lshl_b64 s[14:15], s[8:9], 2
	s_sub_i32 s9, s11, 48
	s_waitcnt lgkmcnt(2)
	v_mul_f32_e32 v14, v32, v12
	v_mov_b32_e32 v12, s15
	v_add_co_u32_e32 v20, vcc, s14, v24
	s_add_i32 s13, s13, s9
	v_addc_co_u32_e32 v21, vcc, v25, v12, vcc
	s_waitcnt lgkmcnt(1)
	v_fma_f32 v12, -v15, v29, v23
	s_lshl_b32 s13, s13, 2
	s_waitcnt lgkmcnt(0)
	v_fma_f32 v23, -v14, v31, v12
	v_mov_b32_e32 v12, s13
	s_add_i32 s13, s7, 0xfffffed4
	s_add_i32 s15, s8, -5
	v_mov_b32_e32 v29, s13
	s_add_i32 s13, s15, s11
	ds_read2_b32 v[12:13], v12 offset1:1
	s_lshl_b32 s13, s13, 2
	v_mov_b32_e32 v31, s13
	s_add_i32 s13, s15, s12
	s_lshl_b32 s13, s13, 2
	v_mov_b32_e32 v34, s13
	v_fma_f32 v22, -v15, v28, v22
	s_add_i32 s13, s15, s9
	s_waitcnt lgkmcnt(0)
	v_mul_f32_e32 v13, v13, v23
	v_fma_f32 v22, -v14, v30, v22
	s_lshl_b32 s13, s13, 2
	s_add_i32 s14, s11, 0xffffffb8
	v_fma_f32 v12, -v13, v12, v22
	v_mov_b32_e32 v22, s13
	s_add_i32 s13, s15, s14
	ds_read_b32 v29, v29
	ds_read2_b32 v[32:33], v31 offset1:1
	ds_read2_b32 v[34:35], v34 offset1:1
	s_lshl_b32 s13, s13, 2
	v_mov_b32_e32 v28, s13
	s_add_i32 s13, s11, 0xffffffa0
	s_add_i32 s15, s15, s13
	s_waitcnt lgkmcnt(2)
	v_mul_f32_e32 v12, v29, v12
	s_lshl_b32 s15, s15, 2
	global_store_dwordx3 v[20:21], v[12:14], off offset:-12
	v_mov_b32_e32 v30, s15
	s_add_i32 s15, s7, 0xfffffe0c
	ds_read2_b32 v[22:23], v22 offset1:1
	ds_read2_b32 v[28:29], v28 offset1:1
	;; [unrolled: 1-line block ×3, first 2 shown]
	s_add_i32 s19, s8, -7
	s_waitcnt lgkmcnt(4)
	v_fma_f32 v3, -v15, v33, v3
	v_mov_b32_e32 v33, s15
	v_fma_f32 v2, -v15, v32, v2
	s_add_i32 s15, s19, s11
	s_waitcnt lgkmcnt(3)
	v_fma_f32 v2, -v14, v34, v2
	s_lshl_b32 s15, s15, 2
	v_fma_f32 v3, -v14, v35, v3
	s_waitcnt lgkmcnt(2)
	v_fma_f32 v2, -v13, v22, v2
	v_mov_b32_e32 v22, s15
	s_add_i32 s15, s19, s12
	v_fma_f32 v3, -v13, v23, v3
	s_lshl_b32 s15, s15, 2
	s_waitcnt lgkmcnt(1)
	v_fma_f32 v3, -v12, v29, v3
	v_fma_f32 v2, -v12, v28, v2
	v_mov_b32_e32 v28, s15
	s_add_i32 s15, s19, s9
	s_waitcnt lgkmcnt(0)
	v_mul_f32_e32 v3, v31, v3
	s_lshl_b32 s15, s15, 2
	ds_read_b32 v33, v33
	v_fma_f32 v2, -v3, v30, v2
	v_mov_b32_e32 v30, s15
	s_add_i32 s15, s19, s14
	ds_read2_b32 v[22:23], v22 offset1:1
	ds_read2_b32 v[28:29], v28 offset1:1
	s_lshl_b32 s15, s15, 2
	v_mov_b32_e32 v32, s15
	s_add_i32 s15, s19, s13
	s_lshl_b32 s15, s15, 2
	s_waitcnt lgkmcnt(1)
	v_fma_f32 v1, -v15, v23, v1
	v_mov_b32_e32 v23, s15
	s_add_i32 s15, s11, 0xffffff88
	s_add_i32 s17, s19, s15
	v_mul_f32_e32 v2, v33, v2
	ds_read2_b32 v[30:31], v30 offset1:1
	ds_read2_b32 v[32:33], v32 offset1:1
	s_lshl_b32 s17, s17, 2
	s_waitcnt lgkmcnt(2)
	v_fma_f32 v1, -v14, v29, v1
	v_mov_b32_e32 v29, s17
	s_add_i32 s17, s7, 0xfffffda8
	ds_read2_b32 v[34:35], v23 offset1:1
	ds_read2_b32 v[36:37], v29 offset1:1
	v_mov_b32_e32 v23, s17
	ds_read_b32 v23, v23
	s_waitcnt lgkmcnt(4)
	v_fma_f32 v1, -v13, v31, v1
	s_add_i32 s17, s11, 0xffffff70
	s_waitcnt lgkmcnt(3)
	v_fma_f32 v1, -v12, v33, v1
	s_add_i32 s19, s19, s17
	s_waitcnt lgkmcnt(2)
	v_fma_f32 v1, -v3, v35, v1
	s_lshl_b32 s19, s19, 2
	s_waitcnt lgkmcnt(1)
	v_fma_f32 v1, -v2, v37, v1
	v_fma_f32 v0, -v15, v22, v0
	v_mov_b32_e32 v22, s19
	s_add_i32 s19, s7, 0xfffffd44
	s_add_i32 s21, s8, -9
	s_waitcnt lgkmcnt(0)
	v_mul_f32_e32 v1, v23, v1
	v_mov_b32_e32 v23, s19
	s_add_i32 s19, s21, s11
	s_lshl_b32 s19, s19, 2
	v_fma_f32 v0, -v14, v28, v0
	v_mov_b32_e32 v28, s19
	s_add_i32 s19, s21, s12
	s_lshl_b32 s19, s19, 2
	v_mov_b32_e32 v29, s19
	v_fma_f32 v0, -v13, v30, v0
	ds_read_b32 v30, v22
	ds_read_b32 v31, v23
	ds_read2_b32 v[22:23], v28 offset1:1
	ds_read2_b32 v[28:29], v29 offset1:1
	s_add_i32 s19, s21, s9
	s_lshl_b32 s19, s19, 2
	v_fma_f32 v0, -v12, v32, v0
	s_waitcnt lgkmcnt(1)
	v_fma_f32 v7, -v15, v23, v7
	v_mov_b32_e32 v23, s19
	s_add_i32 s19, s21, s14
	s_lshl_b32 s19, s19, 2
	v_mov_b32_e32 v32, s19
	s_add_i32 s19, s21, s13
	v_fma_f32 v0, -v3, v34, v0
	s_lshl_b32 s19, s19, 2
	v_fma_f32 v0, -v2, v36, v0
	v_mov_b32_e32 v34, s19
	s_add_i32 s19, s21, s15
	v_fma_f32 v0, -v1, v30, v0
	s_lshl_b32 s19, s19, 2
	v_mul_f32_e32 v0, v31, v0
	v_mov_b32_e32 v36, s19
	s_add_i32 s19, s21, s17
	global_store_dwordx4 v[20:21], v[0:3], off offset:-28
	s_lshl_b32 s19, s19, 2
	s_add_i32 s20, s11, 0xffffff58
	ds_read2_b32 v[30:31], v23 offset1:1
	ds_read2_b32 v[32:33], v32 offset1:1
	;; [unrolled: 1-line block ×4, first 2 shown]
	v_mov_b32_e32 v23, s19
	s_add_i32 s19, s21, s20
	s_lshl_b32 s19, s19, 2
	s_waitcnt lgkmcnt(4)
	v_fma_f32 v7, -v14, v29, v7
	v_mov_b32_e32 v29, s19
	s_add_i32 s19, s11, 0xffffff40
	s_add_i32 s21, s21, s19
	s_lshl_b32 s21, s21, 2
	v_fma_f32 v6, -v15, v22, v6
	s_waitcnt lgkmcnt(3)
	v_fma_f32 v7, -v13, v31, v7
	v_mov_b32_e32 v31, s21
	s_add_i32 s21, s7, 0xfffffc7c
	v_fma_f32 v6, -v14, v28, v6
	s_add_i32 s23, s8, -11
	s_waitcnt lgkmcnt(2)
	v_fma_f32 v7, -v12, v33, v7
	ds_read2_b32 v[38:39], v23 offset1:1
	ds_read2_b32 v[40:41], v29 offset1:1
	;; [unrolled: 1-line block ×3, first 2 shown]
	v_mov_b32_e32 v23, s21
	v_fma_f32 v6, -v13, v30, v6
	s_add_i32 s21, s23, s11
	s_waitcnt lgkmcnt(4)
	v_fma_f32 v7, -v3, v35, v7
	v_fma_f32 v6, -v12, v32, v6
	s_lshl_b32 s21, s21, 2
	s_waitcnt lgkmcnt(3)
	v_fma_f32 v7, -v2, v37, v7
	ds_read_b32 v23, v23
	v_fma_f32 v6, -v3, v34, v6
	v_mov_b32_e32 v22, s21
	s_add_i32 s21, s23, s12
	s_waitcnt lgkmcnt(3)
	v_fma_f32 v7, -v1, v39, v7
	v_fma_f32 v6, -v2, v36, v6
	s_lshl_b32 s21, s21, 2
	s_waitcnt lgkmcnt(2)
	v_fma_f32 v7, -v0, v41, v7
	v_fma_f32 v6, -v1, v38, v6
	v_mov_b32_e32 v28, s21
	s_add_i32 s21, s23, s9
	s_waitcnt lgkmcnt(1)
	v_mul_f32_e32 v7, v43, v7
	v_fma_f32 v6, -v0, v40, v6
	s_lshl_b32 s21, s21, 2
	v_fma_f32 v6, -v7, v42, v6
	v_mov_b32_e32 v30, s21
	s_add_i32 s21, s23, s14
	s_waitcnt lgkmcnt(0)
	v_mul_f32_e32 v6, v23, v6
	s_lshl_b32 s21, s21, 2
	ds_read2_b32 v[22:23], v22 offset1:1
	ds_read2_b32 v[28:29], v28 offset1:1
	;; [unrolled: 1-line block ×3, first 2 shown]
	v_mov_b32_e32 v32, s21
	s_add_i32 s21, s23, s13
	s_lshl_b32 s21, s21, 2
	s_waitcnt lgkmcnt(2)
	v_fma_f32 v5, -v15, v23, v5
	v_mov_b32_e32 v23, s21
	s_add_i32 s21, s23, s15
	s_lshl_b32 s21, s21, 2
	s_waitcnt lgkmcnt(1)
	v_fma_f32 v5, -v14, v29, v5
	;; [unrolled: 5-line block ×3, first 2 shown]
	v_mov_b32_e32 v31, s21
	s_add_i32 s21, s23, s20
	s_lshl_b32 s21, s21, 2
	v_mov_b32_e32 v40, s21
	s_add_i32 s21, s23, s19
	s_lshl_b32 s21, s21, 2
	ds_read2_b32 v[32:33], v32 offset1:1
	ds_read2_b32 v[34:35], v23 offset1:1
	;; [unrolled: 1-line block ×5, first 2 shown]
	v_mov_b32_e32 v23, s21
	s_add_i32 s21, s11, 0xffffff28
	s_add_i32 s22, s23, s21
	s_lshl_b32 s22, s22, 2
	v_mov_b32_e32 v29, s22
	s_add_i32 s22, s11, 0xffffff10
	s_add_i32 s23, s23, s22
	s_lshl_b32 s23, s23, 2
	v_fma_f32 v4, -v15, v22, v4
	v_mov_b32_e32 v31, s23
	s_add_i32 s23, s7, 0xfffffbb4
	v_fma_f32 v4, -v14, v28, v4
	s_add_i32 s25, s8, -13
	s_waitcnt lgkmcnt(4)
	v_fma_f32 v5, -v12, v33, v5
	ds_read2_b32 v[42:43], v23 offset1:1
	ds_read2_b32 v[44:45], v29 offset1:1
	ds_read2_b32 v[46:47], v31 offset1:1
	v_mov_b32_e32 v23, s23
	v_fma_f32 v4, -v13, v30, v4
	s_add_i32 s23, s25, s11
	s_waitcnt lgkmcnt(6)
	v_fma_f32 v5, -v3, v35, v5
	v_fma_f32 v4, -v12, v32, v4
	s_lshl_b32 s23, s23, 2
	s_waitcnt lgkmcnt(5)
	v_fma_f32 v5, -v2, v37, v5
	v_fma_f32 v4, -v3, v34, v4
	v_mov_b32_e32 v22, s23
	s_add_i32 s23, s25, s12
	s_waitcnt lgkmcnt(4)
	v_fma_f32 v5, -v1, v39, v5
	v_fma_f32 v4, -v2, v36, v4
	s_lshl_b32 s23, s23, 2
	s_waitcnt lgkmcnt(3)
	v_fma_f32 v5, -v0, v41, v5
	ds_read_b32 v23, v23
	v_fma_f32 v4, -v1, v38, v4
	v_mov_b32_e32 v28, s23
	s_add_i32 s23, s25, s9
	s_waitcnt lgkmcnt(3)
	v_fma_f32 v5, -v7, v43, v5
	v_fma_f32 v4, -v0, v40, v4
	s_lshl_b32 s23, s23, 2
	s_waitcnt lgkmcnt(2)
	v_fma_f32 v5, -v6, v45, v5
	v_fma_f32 v4, -v7, v42, v4
	v_mov_b32_e32 v30, s23
	s_add_i32 s23, s25, s14
	s_waitcnt lgkmcnt(1)
	v_mul_f32_e32 v5, v47, v5
	v_fma_f32 v4, -v6, v44, v4
	s_lshl_b32 s23, s23, 2
	v_fma_f32 v4, -v5, v46, v4
	v_mov_b32_e32 v32, s23
	s_waitcnt lgkmcnt(0)
	v_mul_f32_e32 v4, v23, v4
	ds_read2_b32 v[22:23], v22 offset1:1
	ds_read2_b32 v[28:29], v28 offset1:1
	;; [unrolled: 1-line block ×4, first 2 shown]
	s_add_i32 s23, s25, s13
	s_lshl_b32 s23, s23, 2
	s_waitcnt lgkmcnt(3)
	v_fma_f32 v11, -v15, v23, v11
	v_mov_b32_e32 v23, s23
	s_add_i32 s23, s25, s15
	s_lshl_b32 s23, s23, 2
	s_waitcnt lgkmcnt(2)
	v_fma_f32 v11, -v14, v29, v11
	v_mov_b32_e32 v29, s23
	s_add_i32 s23, s25, s17
	s_lshl_b32 s23, s23, 2
	s_waitcnt lgkmcnt(1)
	v_fma_f32 v11, -v13, v31, v11
	v_mov_b32_e32 v31, s23
	s_add_i32 s23, s25, s20
	global_store_dwordx4 v[20:21], v[4:7], off offset:-44
	s_lshl_b32 s23, s23, 2
	ds_read2_b32 v[34:35], v23 offset1:1
	ds_read2_b32 v[36:37], v29 offset1:1
	ds_read2_b32 v[38:39], v31 offset1:1
	v_mov_b32_e32 v23, s23
	s_add_i32 s23, s25, s19
	s_lshl_b32 s23, s23, 2
	ds_read2_b32 v[40:41], v23 offset1:1
	v_mov_b32_e32 v23, s23
	s_add_i32 s23, s25, s21
	s_lshl_b32 s23, s23, 2
	v_mov_b32_e32 v29, s23
	s_add_i32 s23, s25, s22
	s_lshl_b32 s23, s23, 2
	v_mov_b32_e32 v31, s23
	s_add_i32 s23, s11, 0xfffffef8
	s_add_i32 s24, s25, s23
	s_lshl_b32 s24, s24, 2
	s_waitcnt lgkmcnt(4)
	v_fma_f32 v11, -v12, v33, v11
	v_mov_b32_e32 v33, s24
	s_add_i32 s24, s11, 0xfffffee0
	s_add_i32 s25, s25, s24
	s_lshl_b32 s25, s25, 2
	ds_read2_b32 v[42:43], v23 offset1:1
	ds_read2_b32 v[44:45], v29 offset1:1
	;; [unrolled: 1-line block ×4, first 2 shown]
	v_mov_b32_e32 v23, s25
	s_add_i32 s25, s7, 0xfffffaec
	s_add_i32 s27, s8, -15
	v_mov_b32_e32 v29, s25
	s_add_i32 s25, s27, s11
	v_fma_f32 v10, -v15, v22, v10
	s_lshl_b32 s25, s25, 2
	v_fma_f32 v10, -v14, v28, v10
	v_mov_b32_e32 v31, s25
	s_add_i32 s25, s27, s12
	v_fma_f32 v10, -v13, v30, v10
	s_waitcnt lgkmcnt(7)
	v_fma_f32 v11, -v3, v35, v11
	s_lshl_b32 s25, s25, 2
	v_fma_f32 v10, -v12, v32, v10
	s_waitcnt lgkmcnt(6)
	v_fma_f32 v11, -v2, v37, v11
	ds_read2_b32 v[50:51], v23 offset1:1
	v_mov_b32_e32 v23, s25
	v_fma_f32 v10, -v3, v34, v10
	s_add_i32 s25, s27, s9
	s_waitcnt lgkmcnt(6)
	v_fma_f32 v11, -v1, v39, v11
	v_fma_f32 v10, -v2, v36, v10
	s_lshl_b32 s25, s25, 2
	s_waitcnt lgkmcnt(5)
	v_fma_f32 v11, -v0, v41, v11
	v_fma_f32 v10, -v1, v38, v10
	v_mov_b32_e32 v22, s25
	s_add_i32 s25, s27, s14
	s_waitcnt lgkmcnt(4)
	v_fma_f32 v11, -v7, v43, v11
	v_fma_f32 v10, -v0, v40, v10
	s_lshl_b32 s25, s25, 2
	s_waitcnt lgkmcnt(3)
	v_fma_f32 v11, -v6, v45, v11
	v_fma_f32 v10, -v7, v42, v10
	v_mov_b32_e32 v28, s25
	s_add_i32 s25, s27, s13
	s_waitcnt lgkmcnt(2)
	v_fma_f32 v11, -v5, v47, v11
	ds_read_b32 v29, v29
	ds_read2_b32 v[52:53], v31 offset1:1
	ds_read2_b32 v[54:55], v23 offset1:1
	v_fma_f32 v10, -v6, v44, v10
	s_lshl_b32 s25, s25, 2
	s_waitcnt lgkmcnt(4)
	v_fma_f32 v11, -v4, v49, v11
	v_fma_f32 v10, -v5, v46, v10
	v_mov_b32_e32 v30, s25
	s_add_i32 s25, s27, s15
	s_waitcnt lgkmcnt(3)
	v_mul_f32_e32 v11, v51, v11
	v_fma_f32 v10, -v4, v48, v10
	s_lshl_b32 s25, s25, 2
	v_fma_f32 v10, -v11, v50, v10
	v_mov_b32_e32 v32, s25
	s_waitcnt lgkmcnt(2)
	v_mul_f32_e32 v10, v29, v10
	s_waitcnt lgkmcnt(1)
	v_fma_f32 v9, -v15, v53, v9
	ds_read2_b32 v[22:23], v22 offset1:1
	ds_read2_b32 v[28:29], v28 offset1:1
	;; [unrolled: 1-line block ×4, first 2 shown]
	s_add_i32 s25, s27, s17
	s_waitcnt lgkmcnt(4)
	v_fma_f32 v9, -v14, v55, v9
	s_lshl_b32 s25, s25, 2
	s_waitcnt lgkmcnt(3)
	v_fma_f32 v9, -v13, v23, v9
	v_mov_b32_e32 v23, s25
	s_add_i32 s25, s27, s20
	s_lshl_b32 s25, s25, 2
	s_waitcnt lgkmcnt(2)
	v_fma_f32 v9, -v12, v29, v9
	v_mov_b32_e32 v29, s25
	s_add_i32 s25, s27, s19
	;; [unrolled: 5-line block ×3, first 2 shown]
	s_lshl_b32 s25, s25, 2
	ds_read2_b32 v[34:35], v23 offset1:1
	ds_read2_b32 v[36:37], v29 offset1:1
	;; [unrolled: 1-line block ×3, first 2 shown]
	v_mov_b32_e32 v23, s25
	s_add_i32 s25, s27, s22
	s_lshl_b32 s25, s25, 2
	ds_read2_b32 v[40:41], v23 offset1:1
	v_mov_b32_e32 v23, s25
	s_add_i32 s25, s27, s23
	s_lshl_b32 s25, s25, 2
	v_mov_b32_e32 v29, s25
	s_add_i32 s25, s27, s24
	s_lshl_b32 s25, s25, 2
	v_mov_b32_e32 v31, s25
	s_add_i32 s25, s11, 0xfffffec8
	s_add_i32 s26, s27, s25
	s_lshl_b32 s26, s26, 2
	s_waitcnt lgkmcnt(4)
	v_fma_f32 v9, -v2, v33, v9
	v_mov_b32_e32 v33, s26
	s_add_i32 s26, s11, 0xfffffeb0
	s_add_i32 s27, s27, s26
	v_fma_f32 v8, -v15, v52, v8
	s_lshl_b32 s27, s27, 2
	v_fma_f32 v8, -v14, v54, v8
	ds_read2_b32 v[42:43], v23 offset1:1
	ds_read2_b32 v[44:45], v29 offset1:1
	;; [unrolled: 1-line block ×4, first 2 shown]
	v_mov_b32_e32 v23, s27
	s_add_i32 s27, s7, 0xfffffa24
	v_fma_f32 v8, -v13, v22, v8
	v_mov_b32_e32 v29, s27
	s_sub_i32 s27, s8, 17
	v_fma_f32 v8, -v12, v28, v8
	s_add_i32 s28, s27, s11
	v_fma_f32 v8, -v3, v30, v8
	s_waitcnt lgkmcnt(7)
	v_fma_f32 v9, -v1, v35, v9
	s_lshl_b32 s28, s28, 2
	v_fma_f32 v8, -v2, v32, v8
	s_waitcnt lgkmcnt(6)
	v_fma_f32 v9, -v0, v37, v9
	v_mov_b32_e32 v31, s28
	s_add_i32 s28, s27, s12
	v_fma_f32 v8, -v1, v34, v8
	s_waitcnt lgkmcnt(5)
	v_fma_f32 v9, -v7, v39, v9
	s_lshl_b32 s28, s28, 2
	v_fma_f32 v8, -v0, v36, v8
	s_waitcnt lgkmcnt(4)
	v_fma_f32 v9, -v6, v41, v9
	ds_read2_b32 v[50:51], v23 offset1:1
	v_mov_b32_e32 v23, s28
	v_fma_f32 v8, -v7, v38, v8
	s_add_i32 s28, s27, s9
	s_waitcnt lgkmcnt(4)
	v_fma_f32 v9, -v5, v43, v9
	v_fma_f32 v8, -v6, v40, v8
	s_lshl_b32 s28, s28, 2
	s_waitcnt lgkmcnt(3)
	v_fma_f32 v9, -v4, v45, v9
	v_fma_f32 v8, -v5, v42, v8
	v_mov_b32_e32 v22, s28
	s_add_i32 s28, s27, s14
	s_waitcnt lgkmcnt(2)
	v_fma_f32 v9, -v11, v47, v9
	v_fma_f32 v8, -v4, v44, v8
	s_lshl_b32 s28, s28, 2
	s_waitcnt lgkmcnt(1)
	v_fma_f32 v9, -v10, v49, v9
	ds_read_b32 v29, v29
	ds_read2_b32 v[56:57], v31 offset1:1
	ds_read2_b32 v[58:59], v23 offset1:1
	v_fma_f32 v8, -v11, v46, v8
	v_mov_b32_e32 v28, s28
	s_add_i32 s28, s27, s13
	s_waitcnt lgkmcnt(3)
	v_mul_f32_e32 v9, v51, v9
	v_fma_f32 v8, -v10, v48, v8
	s_lshl_b32 s28, s28, 2
	v_fma_f32 v8, -v9, v50, v8
	v_mov_b32_e32 v30, s28
	s_add_i32 s28, s27, s15
	s_waitcnt lgkmcnt(2)
	v_mul_f32_e32 v8, v29, v8
	s_lshl_b32 s28, s28, 2
	global_store_dwordx4 v[20:21], v[8:11], off offset:-60
	v_mov_b32_e32 v32, s28
	s_waitcnt lgkmcnt(1)
	v_fma_f32 v19, -v15, v57, v19
	ds_read2_b32 v[22:23], v22 offset1:1
	ds_read2_b32 v[28:29], v28 offset1:1
	;; [unrolled: 1-line block ×4, first 2 shown]
	s_add_i32 s28, s27, s17
	s_waitcnt lgkmcnt(4)
	v_fma_f32 v19, -v14, v59, v19
	s_lshl_b32 s28, s28, 2
	s_waitcnt lgkmcnt(3)
	v_fma_f32 v19, -v13, v23, v19
	v_mov_b32_e32 v23, s28
	s_add_i32 s28, s27, s20
	s_lshl_b32 s28, s28, 2
	s_waitcnt lgkmcnt(2)
	v_fma_f32 v19, -v12, v29, v19
	v_mov_b32_e32 v29, s28
	s_add_i32 s28, s27, s19
	;; [unrolled: 5-line block ×3, first 2 shown]
	s_lshl_b32 s28, s28, 2
	ds_read2_b32 v[34:35], v23 offset1:1
	ds_read2_b32 v[36:37], v29 offset1:1
	;; [unrolled: 1-line block ×3, first 2 shown]
	v_mov_b32_e32 v23, s28
	s_add_i32 s28, s27, s22
	s_lshl_b32 s28, s28, 2
	ds_read2_b32 v[40:41], v23 offset1:1
	v_mov_b32_e32 v23, s28
	s_add_i32 s28, s27, s23
	s_lshl_b32 s28, s28, 2
	v_mov_b32_e32 v29, s28
	s_add_i32 s28, s27, s24
	s_lshl_b32 s28, s28, 2
	v_mov_b32_e32 v31, s28
	s_add_i32 s28, s27, s25
	v_fma_f32 v18, -v15, v56, v18
	s_lshl_b32 s28, s28, 2
	v_fma_f32 v18, -v14, v58, v18
	s_waitcnt lgkmcnt(4)
	v_fma_f32 v19, -v2, v33, v19
	v_mov_b32_e32 v33, s28
	s_add_i32 s28, s27, s26
	v_fma_f32 v18, -v13, v22, v18
	s_lshl_b32 s28, s28, 2
	v_fma_f32 v18, -v12, v28, v18
	ds_read2_b32 v[42:43], v23 offset1:1
	ds_read2_b32 v[44:45], v29 offset1:1
	;; [unrolled: 1-line block ×4, first 2 shown]
	v_mov_b32_e32 v23, s28
	s_add_i32 s28, s11, 0xfffffe98
	v_fma_f32 v18, -v3, v30, v18
	s_waitcnt lgkmcnt(7)
	v_fma_f32 v19, -v1, v35, v19
	s_add_i32 s29, s27, s28
	v_fma_f32 v18, -v2, v32, v18
	s_waitcnt lgkmcnt(6)
	v_fma_f32 v19, -v0, v37, v19
	s_lshl_b32 s29, s29, 2
	v_fma_f32 v18, -v1, v34, v18
	s_waitcnt lgkmcnt(5)
	v_fma_f32 v19, -v7, v39, v19
	v_mov_b32_e32 v29, s29
	s_add_i32 s29, s11, 0xfffffe80
	v_fma_f32 v18, -v0, v36, v18
	s_waitcnt lgkmcnt(4)
	v_fma_f32 v19, -v6, v41, v19
	s_add_i32 s27, s27, s29
	v_fma_f32 v18, -v7, v38, v18
	s_waitcnt lgkmcnt(3)
	v_fma_f32 v19, -v5, v43, v19
	s_lshl_b32 s27, s27, 2
	v_fma_f32 v18, -v6, v40, v18
	s_waitcnt lgkmcnt(2)
	v_fma_f32 v19, -v4, v45, v19
	v_mov_b32_e32 v31, s27
	s_add_i32 s27, s7, 0xfffff95c
	ds_read2_b32 v[50:51], v23 offset1:1
	ds_read2_b32 v[52:53], v29 offset1:1
	;; [unrolled: 1-line block ×3, first 2 shown]
	v_fma_f32 v18, -v5, v42, v18
	s_waitcnt lgkmcnt(4)
	v_fma_f32 v19, -v11, v47, v19
	v_mov_b32_e32 v23, s27
	v_fma_f32 v18, -v4, v44, v18
	s_sub_i32 s27, s8, 19
	s_waitcnt lgkmcnt(3)
	v_fma_f32 v19, -v10, v49, v19
	ds_read_b32 v23, v23
	v_fma_f32 v18, -v11, v46, v18
	s_add_i32 s11, s27, s11
	s_waitcnt lgkmcnt(3)
	v_fma_f32 v19, -v9, v51, v19
	v_fma_f32 v18, -v10, v48, v18
	s_lshl_b32 s11, s11, 2
	s_waitcnt lgkmcnt(2)
	v_fma_f32 v19, -v8, v53, v19
	v_fma_f32 v18, -v9, v50, v18
	v_mov_b32_e32 v22, s11
	s_add_i32 s11, s27, s12
	s_add_i32 s9, s27, s9
	s_waitcnt lgkmcnt(1)
	v_mul_f32_e32 v19, v55, v19
	v_fma_f32 v18, -v8, v52, v18
	s_lshl_b32 s11, s11, 2
	s_lshl_b32 s9, s9, 2
	v_fma_f32 v18, -v19, v54, v18
	v_mov_b32_e32 v28, s11
	v_mov_b32_e32 v30, s9
	s_add_i32 s9, s27, s14
	s_waitcnt lgkmcnt(0)
	v_mul_f32_e32 v18, v23, v18
	s_lshl_b32 s9, s9, 2
	ds_read2_b32 v[22:23], v22 offset1:1
	ds_read2_b32 v[28:29], v28 offset1:1
	;; [unrolled: 1-line block ×3, first 2 shown]
	v_mov_b32_e32 v32, s9
	s_add_i32 s9, s27, s13
	s_lshl_b32 s9, s9, 2
	s_waitcnt lgkmcnt(2)
	v_fma_f32 v17, -v15, v23, v17
	v_mov_b32_e32 v23, s9
	s_add_i32 s9, s27, s15
	s_lshl_b32 s9, s9, 2
	s_waitcnt lgkmcnt(1)
	v_fma_f32 v17, -v14, v29, v17
	;; [unrolled: 5-line block ×3, first 2 shown]
	v_mov_b32_e32 v31, s9
	s_add_i32 s9, s27, s20
	s_lshl_b32 s9, s9, 2
	v_mov_b32_e32 v40, s9
	s_add_i32 s9, s27, s19
	s_lshl_b32 s9, s9, 2
	ds_read2_b32 v[32:33], v32 offset1:1
	ds_read2_b32 v[34:35], v23 offset1:1
	;; [unrolled: 1-line block ×5, first 2 shown]
	v_mov_b32_e32 v23, s9
	s_add_i32 s9, s27, s21
	s_lshl_b32 s9, s9, 2
	v_mov_b32_e32 v29, s9
	s_add_i32 s9, s27, s22
	s_lshl_b32 s9, s9, 2
	;; [unrolled: 3-line block ×3, first 2 shown]
	v_fma_f32 v15, -v15, v22, v16
	ds_read2_b32 v[42:43], v23 offset1:1
	ds_read2_b32 v[44:45], v29 offset1:1
	;; [unrolled: 1-line block ×3, first 2 shown]
	v_mov_b32_e32 v23, s9
	s_add_i32 s9, s27, s24
	v_fma_f32 v14, -v14, v28, v15
	s_waitcnt lgkmcnt(7)
	v_fma_f32 v17, -v12, v33, v17
	s_lshl_b32 s9, s9, 2
	v_fma_f32 v13, -v13, v30, v14
	s_waitcnt lgkmcnt(6)
	v_fma_f32 v17, -v3, v35, v17
	ds_read2_b32 v[48:49], v23 offset1:1
	v_mov_b32_e32 v23, s9
	s_add_i32 s9, s27, s25
	v_fma_f32 v12, -v12, v32, v13
	s_waitcnt lgkmcnt(6)
	v_fma_f32 v17, -v2, v37, v17
	s_lshl_b32 s9, s9, 2
	v_fma_f32 v3, -v3, v34, v12
	s_waitcnt lgkmcnt(5)
	v_fma_f32 v17, -v1, v39, v17
	v_mov_b32_e32 v29, s9
	s_add_i32 s9, s27, s26
	v_fma_f32 v2, -v2, v36, v3
	s_waitcnt lgkmcnt(4)
	v_fma_f32 v17, -v0, v41, v17
	s_lshl_b32 s9, s9, 2
	v_fma_f32 v1, -v1, v38, v2
	s_waitcnt lgkmcnt(3)
	v_fma_f32 v17, -v7, v43, v17
	;; [unrolled: 9-line block ×3, first 2 shown]
	v_mov_b32_e32 v33, s9
	ds_read2_b32 v[50:51], v23 offset1:1
	ds_read2_b32 v[52:53], v29 offset1:1
	;; [unrolled: 1-line block ×4, first 2 shown]
	s_add_i32 s27, s27, s29
	v_fma_f32 v0, -v6, v44, v0
	s_waitcnt lgkmcnt(4)
	v_fma_f32 v17, -v4, v49, v17
	s_lshl_b32 s9, s27, 2
	v_fma_f32 v0, -v5, v46, v0
	s_waitcnt lgkmcnt(3)
	v_fma_f32 v17, -v11, v51, v17
	v_mov_b32_e32 v23, s9
	s_add_i32 s11, s9, 0xffffffa0
	s_addk_i32 s9, 0xff40
	v_fma_f32 v0, -v4, v48, v0
	s_waitcnt lgkmcnt(2)
	v_fma_f32 v17, -v10, v53, v17
	v_mov_b32_e32 v29, s11
	v_mov_b32_e32 v31, s9
	s_addk_i32 s7, 0xf894
	ds_read2_b32 v[58:59], v23 offset1:1
	ds_read2_b32 v[60:61], v29 offset1:1
	;; [unrolled: 1-line block ×3, first 2 shown]
	v_fma_f32 v0, -v11, v50, v0
	s_waitcnt lgkmcnt(4)
	v_fma_f32 v17, -v9, v55, v17
	v_mov_b32_e32 v23, s7
	v_fma_f32 v0, -v10, v52, v0
	s_waitcnt lgkmcnt(3)
	v_fma_f32 v17, -v8, v57, v17
	ds_read_b32 v23, v23
	v_fma_f32 v0, -v9, v54, v0
	s_waitcnt lgkmcnt(3)
	v_fma_f32 v17, -v19, v59, v17
	v_fma_f32 v0, -v8, v56, v0
	s_waitcnt lgkmcnt(2)
	v_fma_f32 v17, -v18, v61, v17
	v_fma_f32 v0, -v19, v58, v0
	s_waitcnt lgkmcnt(1)
	v_mul_f32_e32 v17, v63, v17
	v_fma_f32 v0, -v18, v60, v0
	v_fma_f32 v0, -v17, v62, v0
	s_waitcnt lgkmcnt(0)
	v_mul_f32_e32 v16, v23, v0
	s_sub_i32 s8, s8, 20
	global_store_dwordx4 v[20:21], v[16:19], off offset:-76
.LBB27_46:
	s_cmp_lt_i32 s8, 0
	s_cbranch_scc1 .LBB27_59
; %bb.47:
	s_bitcmp1_b32 s8, 0
	s_cselect_b64 s[12:13], -1, 0
	s_and_b64 vcc, exec, s[12:13]
	s_mov_b32 s12, s8
	s_cbranch_vccnz .LBB27_52
; %bb.48:
	s_mov_b32 s9, 0
	s_lshl_b64 s[12:13], s[8:9], 2
	v_mov_b32_e32 v1, s13
	v_add_co_u32_e32 v0, vcc, s12, v24
	v_addc_co_u32_e32 v1, vcc, v25, v1, vcc
	global_load_dword v2, v[0:1], off
	s_cmp_le_i32 s6, s8
	s_waitcnt vmcnt(0)
	v_mul_f32_e32 v4, s16, v2
	s_cbranch_scc1 .LBB27_51
; %bb.49:
	s_mul_i32 s7, s18, 0x60
	s_lshl_b32 s9, s8, 2
	s_add_i32 s7, s7, s9
	s_add_i32 s9, s7, 0xffffffa0
	s_ashr_i32 s7, s6, 31
	s_lshl_b64 s[12:13], s[6:7], 2
	s_add_u32 s7, s2, s12
	s_addc_u32 s11, s3, s13
	s_add_u32 s7, s7, s4
	s_addc_u32 s11, s11, s5
	;; [unrolled: 2-line block ×3, first 2 shown]
	v_mov_b32_e32 v3, s11
	v_add_co_u32_e32 v2, vcc, s7, v26
	v_addc_co_u32_e32 v3, vcc, v3, v27, vcc
	s_mov_b32 s7, s6
.LBB27_50:                              ; =>This Inner Loop Header: Depth=1
	global_load_dword v5, v[2:3], off
	v_mov_b32_e32 v6, s9
	ds_read_b32 v6, v6
	s_add_i32 s7, s7, -1
	s_addk_i32 s9, 0xffa0
	v_add_co_u32_e32 v2, vcc, -4, v2
	v_addc_co_u32_e32 v3, vcc, -1, v3, vcc
	s_cmp_gt_i32 s7, s8
	s_waitcnt vmcnt(0) lgkmcnt(0)
	v_fma_f32 v4, -v5, v6, v4
	s_cbranch_scc1 .LBB27_50
.LBB27_51:
	s_mul_i32 s7, s8, 0x64
	v_mov_b32_e32 v2, s7
	ds_read_b32 v2, v2
	s_add_i32 s12, s8, -1
	s_waitcnt lgkmcnt(0)
	v_mul_f32_e32 v2, v2, v4
	global_store_dword v[0:1], v2, off
.LBB27_52:
	s_cmp_eq_u32 s8, 0
	s_mov_b32 s13, 0
	s_cbranch_scc1 .LBB27_59
; %bb.53:
	s_mul_i32 s7, s18, 0x60
	s_lshl_b32 s8, s12, 2
	s_add_i32 s9, s7, s8
	s_add_i32 s8, s9, 0xffffffa0
	s_add_u32 s0, s4, s0
	s_addc_u32 s1, s5, s1
	s_ashr_i32 s7, s6, 31
	v_mov_b32_e32 v0, s1
	v_add_co_u32_e32 v2, vcc, s0, v26
	s_lshl_b64 s[0:1], s[6:7], 2
	s_add_u32 s0, s2, s0
	v_addc_co_u32_e32 v3, vcc, v0, v27, vcc
	s_addc_u32 s1, s3, s1
	s_ashr_i32 s11, s10, 31
	v_add_co_u32_e32 v0, vcc, s0, v2
	s_add_i32 s0, s9, 0xffffff9c
	v_cmp_lt_i64_e64 s[4:5], s[10:11], 24
	s_and_b64 s[4:5], s[4:5], exec
	s_cselect_b32 s5, s11, 0
	s_cselect_b32 s4, s10, 24
	s_lshl_b64 s[4:5], s[4:5], 2
	v_mov_b32_e32 v1, s1
	s_add_u32 s1, s2, s4
	v_addc_co_u32_e32 v1, vcc, v1, v3, vcc
	s_addc_u32 s2, s3, s5
	v_mov_b32_e32 v4, s2
	v_add_co_u32_e32 v2, vcc, s1, v2
	v_addc_co_u32_e32 v3, vcc, v4, v3, vcc
	v_add_co_u32_e32 v2, vcc, -4, v2
	v_addc_co_u32_e32 v3, vcc, -1, v3, vcc
	s_branch .LBB27_55
.LBB27_54:                              ;   in Loop: Header=BB27_55 Depth=1
	s_addk_i32 s1, 0xff9c
	v_mov_b32_e32 v6, s1
	ds_read_b32 v6, v6
	s_add_i32 s1, s12, -2
	s_add_i32 s8, s8, -8
	;; [unrolled: 1-line block ×3, first 2 shown]
	s_cmp_lt_i32 s12, 2
	s_waitcnt lgkmcnt(0)
	v_mul_f32_e32 v6, v6, v8
	s_mov_b32 s12, s1
	global_store_dword v[4:5], v6, off offset:-4
	s_cbranch_scc1 .LBB27_59
.LBB27_55:                              ; =>This Loop Header: Depth=1
                                        ;     Child Loop BB27_56 Depth 2
                                        ;     Child Loop BB27_58 Depth 2
	s_lshl_b64 s[2:3], s[12:13], 2
	v_mov_b32_e32 v5, s3
	v_add_co_u32_e32 v4, vcc, s2, v24
	v_addc_co_u32_e32 v5, vcc, v25, v5, vcc
	global_load_dword v6, v[4:5], off
	v_pk_mov_b32 v[4:5], v[0:1], v[0:1] op_sel:[0,1]
	s_mov_b32 s1, s8
	s_cmp_le_i32 s6, s12
	s_mov_b32 s2, s6
	s_waitcnt vmcnt(0)
	v_mul_f32_e32 v8, s16, v6
	s_cbranch_scc1 .LBB27_57
.LBB27_56:                              ;   Parent Loop BB27_55 Depth=1
                                        ; =>  This Inner Loop Header: Depth=2
	global_load_dword v6, v[4:5], off
	v_mov_b32_e32 v7, s1
	ds_read_b32 v7, v7
	s_add_i32 s2, s2, -1
	s_addk_i32 s1, 0xffa0
	v_add_co_u32_e32 v4, vcc, -4, v4
	v_addc_co_u32_e32 v5, vcc, -1, v5, vcc
	s_cmp_gt_i32 s2, s12
	s_waitcnt vmcnt(0) lgkmcnt(0)
	v_fma_f32 v8, -v6, v7, v8
	s_cbranch_scc1 .LBB27_56
.LBB27_57:                              ;   in Loop: Header=BB27_55 Depth=1
	s_add_i32 s2, s12, -1
	s_mov_b32 s3, s13
	s_lshl_b64 s[2:3], s[2:3], 2
	v_mov_b32_e32 v5, s3
	v_add_co_u32_e32 v4, vcc, s2, v24
	v_addc_co_u32_e32 v5, vcc, v25, v5, vcc
	global_load_dword v9, v[4:5], off
	s_mul_i32 s1, s12, 0x64
	v_mov_b32_e32 v4, s1
	ds_read_b32 v10, v4
	s_ashr_i32 s5, s12, 31
	s_mov_b32 s4, s12
	s_lshl_b64 s[4:5], s[4:5], 2
	v_mov_b32_e32 v5, s5
	v_add_co_u32_e32 v4, vcc, s4, v24
	v_addc_co_u32_e32 v5, vcc, v25, v5, vcc
	s_waitcnt lgkmcnt(0)
	v_mul_f32_e32 v8, v10, v8
	v_pk_mov_b32 v[6:7], v[2:3], v[2:3] op_sel:[0,1]
	s_mov_b32 s2, s0
	s_cmp_le_i32 s18, s12
	global_store_dword v[4:5], v8, off
	s_mov_b32 s3, s18
	s_waitcnt vmcnt(1)
	v_mul_f32_e32 v8, s16, v9
	s_cbranch_scc1 .LBB27_54
.LBB27_58:                              ;   Parent Loop BB27_55 Depth=1
                                        ; =>  This Inner Loop Header: Depth=2
	global_load_dword v9, v[6:7], off
	v_mov_b32_e32 v10, s2
	ds_read_b32 v10, v10
	s_add_i32 s3, s3, -1
	s_addk_i32 s2, 0xffa0
	v_add_co_u32_e32 v6, vcc, -4, v6
	v_addc_co_u32_e32 v7, vcc, -1, v7, vcc
	s_cmp_gt_i32 s3, s12
	s_waitcnt vmcnt(0) lgkmcnt(0)
	v_fma_f32 v8, -v9, v10, v8
	s_cbranch_scc1 .LBB27_58
	s_branch .LBB27_54
.LBB27_59:
	s_endpgm
	.section	.rodata,"a",@progbits
	.p2align	6, 0x0
	.amdhsa_kernel _ZL30rocblas_trsm_small_left_deviceILi24ELi24ELb0EffPKfPfEv13rocblas_fill_18rocblas_operation_17rocblas_diagonal_iiT3_T4_lilT5_lili
		.amdhsa_group_segment_fixed_size 2304
		.amdhsa_private_segment_fixed_size 0
		.amdhsa_kernarg_size 352
		.amdhsa_user_sgpr_count 6
		.amdhsa_user_sgpr_private_segment_buffer 1
		.amdhsa_user_sgpr_dispatch_ptr 0
		.amdhsa_user_sgpr_queue_ptr 0
		.amdhsa_user_sgpr_kernarg_segment_ptr 1
		.amdhsa_user_sgpr_dispatch_id 0
		.amdhsa_user_sgpr_flat_scratch_init 0
		.amdhsa_user_sgpr_kernarg_preload_length 0
		.amdhsa_user_sgpr_kernarg_preload_offset 0
		.amdhsa_user_sgpr_private_segment_size 0
		.amdhsa_uses_dynamic_stack 0
		.amdhsa_system_sgpr_private_segment_wavefront_offset 0
		.amdhsa_system_sgpr_workgroup_id_x 1
		.amdhsa_system_sgpr_workgroup_id_y 0
		.amdhsa_system_sgpr_workgroup_id_z 1
		.amdhsa_system_sgpr_workgroup_info 0
		.amdhsa_system_vgpr_workitem_id 0
		.amdhsa_next_free_vgpr 68
		.amdhsa_next_free_sgpr 43
		.amdhsa_accum_offset 68
		.amdhsa_reserve_vcc 1
		.amdhsa_reserve_flat_scratch 0
		.amdhsa_float_round_mode_32 0
		.amdhsa_float_round_mode_16_64 0
		.amdhsa_float_denorm_mode_32 3
		.amdhsa_float_denorm_mode_16_64 3
		.amdhsa_dx10_clamp 1
		.amdhsa_ieee_mode 1
		.amdhsa_fp16_overflow 0
		.amdhsa_tg_split 0
		.amdhsa_exception_fp_ieee_invalid_op 0
		.amdhsa_exception_fp_denorm_src 0
		.amdhsa_exception_fp_ieee_div_zero 0
		.amdhsa_exception_fp_ieee_overflow 0
		.amdhsa_exception_fp_ieee_underflow 0
		.amdhsa_exception_fp_ieee_inexact 0
		.amdhsa_exception_int_div_zero 0
	.end_amdhsa_kernel
	.section	.text._ZL30rocblas_trsm_small_left_deviceILi24ELi24ELb0EffPKfPfEv13rocblas_fill_18rocblas_operation_17rocblas_diagonal_iiT3_T4_lilT5_lili,"axG",@progbits,_ZL30rocblas_trsm_small_left_deviceILi24ELi24ELb0EffPKfPfEv13rocblas_fill_18rocblas_operation_17rocblas_diagonal_iiT3_T4_lilT5_lili,comdat
.Lfunc_end27:
	.size	_ZL30rocblas_trsm_small_left_deviceILi24ELi24ELb0EffPKfPfEv13rocblas_fill_18rocblas_operation_17rocblas_diagonal_iiT3_T4_lilT5_lili, .Lfunc_end27-_ZL30rocblas_trsm_small_left_deviceILi24ELi24ELb0EffPKfPfEv13rocblas_fill_18rocblas_operation_17rocblas_diagonal_iiT3_T4_lilT5_lili
                                        ; -- End function
	.section	.AMDGPU.csdata,"",@progbits
; Kernel info:
; codeLenInByte = 19992
; NumSgprs: 47
; NumVgprs: 68
; NumAgprs: 0
; TotalNumVgprs: 68
; ScratchSize: 0
; MemoryBound: 1
; FloatMode: 240
; IeeeMode: 1
; LDSByteSize: 2304 bytes/workgroup (compile time only)
; SGPRBlocks: 5
; VGPRBlocks: 8
; NumSGPRsForWavesPerEU: 47
; NumVGPRsForWavesPerEU: 68
; AccumOffset: 68
; Occupancy: 7
; WaveLimiterHint : 0
; COMPUTE_PGM_RSRC2:SCRATCH_EN: 0
; COMPUTE_PGM_RSRC2:USER_SGPR: 6
; COMPUTE_PGM_RSRC2:TRAP_HANDLER: 0
; COMPUTE_PGM_RSRC2:TGID_X_EN: 1
; COMPUTE_PGM_RSRC2:TGID_Y_EN: 0
; COMPUTE_PGM_RSRC2:TGID_Z_EN: 1
; COMPUTE_PGM_RSRC2:TIDIG_COMP_CNT: 0
; COMPUTE_PGM_RSRC3_GFX90A:ACCUM_OFFSET: 16
; COMPUTE_PGM_RSRC3_GFX90A:TG_SPLIT: 0
	.section	.text._ZL38rocblas_trsm_small_left_device_sharedBILi24ELi24ELb1EffPKfPfEv13rocblas_fill_18rocblas_operation_17rocblas_diagonal_iiT3_T4_lilT5_lili,"axG",@progbits,_ZL38rocblas_trsm_small_left_device_sharedBILi24ELi24ELb1EffPKfPfEv13rocblas_fill_18rocblas_operation_17rocblas_diagonal_iiT3_T4_lilT5_lili,comdat
	.globl	_ZL38rocblas_trsm_small_left_device_sharedBILi24ELi24ELb1EffPKfPfEv13rocblas_fill_18rocblas_operation_17rocblas_diagonal_iiT3_T4_lilT5_lili ; -- Begin function _ZL38rocblas_trsm_small_left_device_sharedBILi24ELi24ELb1EffPKfPfEv13rocblas_fill_18rocblas_operation_17rocblas_diagonal_iiT3_T4_lilT5_lili
	.p2align	8
	.type	_ZL38rocblas_trsm_small_left_device_sharedBILi24ELi24ELb1EffPKfPfEv13rocblas_fill_18rocblas_operation_17rocblas_diagonal_iiT3_T4_lilT5_lili,@function
_ZL38rocblas_trsm_small_left_device_sharedBILi24ELi24ELb1EffPKfPfEv13rocblas_fill_18rocblas_operation_17rocblas_diagonal_iiT3_T4_lilT5_lili: ; @_ZL38rocblas_trsm_small_left_device_sharedBILi24ELi24ELb1EffPKfPfEv13rocblas_fill_18rocblas_operation_17rocblas_diagonal_iiT3_T4_lilT5_lili
; %bb.0:
	s_load_dwordx4 s[8:11], s[4:5], 0x4
	s_load_dword s18, s[4:5], 0x14
	s_load_dwordx4 s[0:3], s[4:5], 0x30
	s_load_dwordx2 s[16:17], s[4:5], 0x40
	s_mov_b32 s27, 0
	s_waitcnt lgkmcnt(0)
	s_min_i32 s26, s10, 24
	v_cmp_gt_i32_e32 vcc, s26, v0
	s_and_saveexec_b64 s[20:21], vcc
	s_cbranch_execz .LBB28_15
; %bb.1:
	s_load_dword s22, s[4:5], 0x28
	s_load_dwordx4 s[12:15], s[4:5], 0x18
	s_cmp_gt_u32 s26, 1
	s_cselect_b64 s[24:25], -1, 0
	s_mov_b32 s19, 1
	s_waitcnt lgkmcnt(0)
	s_cmp_eq_u32 s22, 1
	s_cselect_b64 s[28:29], -1, 0
	s_and_b64 s[28:29], s[24:25], s[28:29]
	s_mov_b64 s[24:25], -1
	s_and_b64 vcc, exec, s[28:29]
	s_cbranch_vccz .LBB28_9
; %bb.2:
	s_add_i32 s24, s26, -2
	s_lshr_b32 s25, s24, 1
	s_add_i32 s25, s25, 1
	s_mov_b32 s23, 0
	s_cmp_lt_u32 s24, 14
	s_mov_b32 s24, s23
	s_cbranch_scc1 .LBB28_5
; %bb.3:
	s_mul_i32 s19, s1, s7
	s_mul_hi_u32 s23, s0, s7
	s_add_i32 s29, s23, s19
	s_mul_i32 s28, s0, s7
	s_and_b32 s27, s25, -8
	s_lshl_b64 s[28:29], s[28:29], 2
	s_lshl_b64 s[30:31], s[14:15], 2
	s_add_u32 s19, s28, s30
	s_addc_u32 s23, s29, s31
	s_add_u32 s19, s12, s19
	v_lshlrev_b32_e32 v1, 2, v0
	s_addc_u32 s23, s13, s23
	v_mov_b32_e32 v2, s23
	v_add_co_u32_e32 v1, vcc, s19, v1
	v_addc_co_u32_e32 v3, vcc, 0, v2, vcc
	v_add_co_u32_e32 v2, vcc, 56, v1
	v_addc_co_u32_e32 v3, vcc, 0, v3, vcc
	s_mov_b32 s19, 1
	s_mov_b32 s24, 0
	;; [unrolled: 1-line block ×3, first 2 shown]
.LBB28_4:                               ; =>This Inner Loop Header: Depth=1
	global_load_dwordx4 v[4:7], v[2:3], off offset:-56
	global_load_dwordx4 v[8:11], v[2:3], off offset:-40
	;; [unrolled: 1-line block ×4, first 2 shown]
	s_mul_i32 s28, s19, 24
	s_mul_i32 s29, s23, 24
	s_add_i32 s24, s24, 16
	s_add_i32 s19, s19, 16
	;; [unrolled: 1-line block ×3, first 2 shown]
	s_add_i32 s27, s27, -8
	v_add_co_u32_e32 v2, vcc, 64, v2
	v_add_lshl_u32 v1, s29, v0, 2
	v_add_lshl_u32 v20, s28, v0, 2
	s_add_i32 s30, s28, 48
	s_add_i32 s31, s29, 48
	;; [unrolled: 1-line block ×12, first 2 shown]
	s_addk_i32 s28, 0x150
	s_addk_i32 s29, 0x150
	v_addc_co_u32_e32 v3, vcc, 0, v3, vcc
	s_cmp_lg_u32 s27, 0
	v_add_lshl_u32 v21, s31, v0, 2
	v_add_lshl_u32 v22, s30, v0, 2
	;; [unrolled: 1-line block ×14, first 2 shown]
	s_waitcnt vmcnt(3)
	ds_write_b32 v1, v4
	ds_write_b32 v20, v5
	ds_write_b32 v21, v6
	ds_write_b32 v22, v7
	s_waitcnt vmcnt(2)
	ds_write_b32 v23, v8
	ds_write_b32 v24, v9
	ds_write_b32 v25, v10
	ds_write_b32 v26, v11
	;; [unrolled: 5-line block ×4, first 2 shown]
	s_cbranch_scc1 .LBB28_4
.LBB28_5:
	s_and_b32 s27, s25, 7
	s_cmp_eq_u32 s27, 0
	s_mov_b32 s25, 0
	s_cbranch_scc1 .LBB28_8
; %bb.6:
	s_mul_i32 s28, s1, s7
	s_mul_hi_u32 s29, s0, s7
	s_add_i32 s29, s29, s28
	s_mul_i32 s28, s0, s7
	s_lshl_b64 s[28:29], s[28:29], 2
	s_lshl_b64 s[30:31], s[14:15], 2
	s_add_u32 s28, s28, s30
	s_addc_u32 s29, s29, s31
	s_lshl_b64 s[24:25], s[24:25], 2
	s_add_u32 s24, s12, s24
	s_addc_u32 s25, s13, s25
	s_add_u32 s24, s24, s28
	v_lshlrev_b32_e32 v1, 2, v0
	s_addc_u32 s25, s25, s29
	v_mov_b32_e32 v3, s25
	v_add_co_u32_e32 v2, vcc, s24, v1
	v_addc_co_u32_e32 v3, vcc, 0, v3, vcc
	s_lshl_b32 s24, s27, 3
.LBB28_7:                               ; =>This Inner Loop Header: Depth=1
	global_load_dwordx2 v[4:5], v[2:3], off
	s_mul_i32 s25, s19, 24
	s_mul_i32 s27, s23, 24
	s_add_i32 s19, s19, 2
	s_add_i32 s23, s23, 2
	v_add_co_u32_e32 v2, vcc, 8, v2
	s_add_i32 s24, s24, -8
	v_addc_co_u32_e32 v3, vcc, 0, v3, vcc
	v_add_lshl_u32 v1, s27, v0, 2
	s_cmp_lg_u32 s24, 0
	v_add_lshl_u32 v6, s25, v0, 2
	s_waitcnt vmcnt(0)
	ds_write_b32 v1, v4
	ds_write_b32 v6, v5
	s_cbranch_scc1 .LBB28_7
.LBB28_8:
	s_and_b32 s27, s26, -2
	s_cmp_lg_u32 s26, s27
	s_cselect_b64 s[24:25], -1, 0
.LBB28_9:
	s_and_b64 vcc, exec, s[24:25]
	s_cbranch_vccz .LBB28_12
; %bb.10:
	s_ashr_i32 s23, s22, 31
	s_mul_i32 s1, s1, s7
	s_mul_hi_u32 s19, s0, s7
	s_add_i32 s1, s19, s1
	s_mul_hi_u32 s19, s22, s27
	s_mul_i32 s24, s23, s27
	s_mul_i32 s0, s0, s7
	s_add_i32 s25, s19, s24
	s_mul_i32 s24, s22, s27
	s_lshl_b64 s[0:1], s[0:1], 2
	s_lshl_b64 s[24:25], s[24:25], 2
	s_add_u32 s19, s0, s24
	s_addc_u32 s24, s1, s25
	s_lshl_b64 s[0:1], s[14:15], 2
	s_add_u32 s0, s19, s0
	s_addc_u32 s1, s24, s1
	s_add_u32 s0, s12, s0
	v_lshlrev_b32_e32 v1, 2, v0
	s_addc_u32 s1, s13, s1
	v_mov_b32_e32 v3, s1
	v_add_co_u32_e32 v2, vcc, s0, v1
	s_lshl_b64 s[0:1], s[22:23], 2
	s_mul_i32 s13, s27, 0x60
	v_addc_co_u32_e32 v3, vcc, 0, v3, vcc
	s_sub_i32 s12, s26, s27
	v_lshl_add_u32 v1, v0, 2, s13
	v_mov_b32_e32 v4, s1
.LBB28_11:                              ; =>This Inner Loop Header: Depth=1
	global_load_dword v5, v[2:3], off
	v_add_co_u32_e32 v2, vcc, s0, v2
	s_add_i32 s12, s12, -1
	v_addc_co_u32_e32 v3, vcc, v3, v4, vcc
	s_cmp_eq_u32 s12, 0
	s_waitcnt vmcnt(0)
	ds_write_b32 v1, v5
	v_add_u32_e32 v1, 0x60, v1
	s_cbranch_scc0 .LBB28_11
.LBB28_12:
	v_mul_u32_u24_e32 v1, 25, v0
	s_cmpk_lg_i32 s9, 0x84
	v_lshlrev_b32_e32 v1, 2, v1
	v_mov_b32_e32 v2, 1.0
	s_cbranch_scc0 .LBB28_14
; %bb.13:
	ds_read_b32 v2, v1
	s_waitcnt lgkmcnt(0)
	v_div_scale_f32 v3, s[0:1], v2, v2, 1.0
	v_rcp_f32_e32 v4, v3
	v_div_scale_f32 v5, vcc, 1.0, v2, 1.0
	v_fma_f32 v6, -v3, v4, 1.0
	v_fmac_f32_e32 v4, v6, v4
	v_mul_f32_e32 v6, v5, v4
	v_fma_f32 v7, -v3, v6, v5
	v_fmac_f32_e32 v6, v7, v4
	v_fma_f32 v3, -v3, v6, v5
	v_div_fmas_f32 v3, v3, v4, v6
	v_div_fixup_f32 v2, v3, v2, 1.0
.LBB28_14:
	ds_write_b32 v1, v2
.LBB28_15:
	s_or_b64 exec, exec, s[20:21]
	s_load_dword s9, s[4:5], 0x60
	s_load_dword s22, s[4:5], 0x48
	s_load_dwordx2 s[0:1], s[4:5], 0x50
	s_mul_i32 s4, s6, 0xffffffe8
	s_add_i32 s4, s4, s11
	s_waitcnt lgkmcnt(0)
	s_add_i32 s9, s9, -1
	s_ashr_i32 s11, s22, 31
	s_cmp_ge_u32 s6, s9
	s_cselect_b32 s9, s4, 24
	s_mul_i32 s4, s6, 24
	s_ashr_i32 s5, s4, 31
	s_cmp_gt_i32 s10, 0
	v_cmp_gt_i32_e32 vcc, s9, v0
	s_cselect_b64 s[12:13], -1, 0
	s_mov_b32 s9, 0
	s_and_b64 s[12:13], vcc, s[12:13]
	s_and_saveexec_b64 s[14:15], s[12:13]
	s_cbranch_execz .LBB28_27
; %bb.16:
	s_cmp_lt_i32 s10, 2
	s_mov_b64 s[20:21], -1
	s_cbranch_scc1 .LBB28_24
; %bb.17:
	s_add_i32 s20, s26, -2
	s_lshr_b32 s21, s20, 1
	s_add_i32 s21, s21, 1
	s_mov_b32 s19, s18
	s_mov_b32 s6, 1
	s_cmp_lt_u32 s20, 14
	s_mov_b32 s20, s9
	s_cbranch_scc1 .LBB28_20
; %bb.18:
	s_mul_i32 s9, s1, s7
	s_mul_hi_u32 s20, s0, s7
	s_add_i32 s25, s20, s9
	s_mul_i32 s24, s0, s7
	s_lshl_b64 s[28:29], s[4:5], 2
	v_lshlrev_b32_e32 v1, 2, v0
	s_and_b32 s23, s21, -8
	s_lshl_b64 s[24:25], s[24:25], 2
	v_mov_b32_e32 v2, s29
	v_add_co_u32_e32 v1, vcc, s28, v1
	s_lshl_b64 s[28:29], s[16:17], 2
	s_add_u32 s9, s2, s28
	s_addc_u32 s20, s3, s29
	s_add_u32 s24, s9, s24
	s_addc_u32 s25, s20, s25
	v_addc_co_u32_e32 v4, vcc, 0, v2, vcc
	v_pk_mov_b32 v[2:3], s[24:25], s[24:25] op_sel:[0,1]
	v_mad_u64_u32 v[2:3], s[24:25], v1, s22, v[2:3]
	v_mul_lo_u32 v1, v1, s11
	v_mul_lo_u32 v4, v4, s22
	v_add3_u32 v1, v4, v3, v1
	v_add_co_u32_e32 v2, vcc, 56, v2
	v_addc_co_u32_e32 v3, vcc, 0, v1, vcc
	s_mov_b32 s20, 0
	s_mov_b32 s9, 0
.LBB28_19:                              ; =>This Inner Loop Header: Depth=1
	global_load_dwordx4 v[4:7], v[2:3], off offset:-56
	global_load_dwordx4 v[8:11], v[2:3], off offset:-40
	;; [unrolled: 1-line block ×4, first 2 shown]
	s_mul_i32 s24, s6, 24
	s_mul_i32 s25, s9, 24
	s_add_i32 s20, s20, 16
	s_add_i32 s6, s6, 16
	;; [unrolled: 1-line block ×3, first 2 shown]
	s_add_i32 s23, s23, -8
	v_add_co_u32_e32 v2, vcc, 64, v2
	v_add_lshl_u32 v1, s25, v0, 2
	v_add_lshl_u32 v20, s24, v0, 2
	s_add_i32 s27, s24, 48
	s_add_i32 s28, s25, 48
	;; [unrolled: 1-line block ×12, first 2 shown]
	s_addk_i32 s24, 0x150
	s_addk_i32 s25, 0x150
	v_addc_co_u32_e32 v3, vcc, 0, v3, vcc
	s_cmp_lg_u32 s23, 0
	v_add_lshl_u32 v21, s28, v0, 2
	v_add_lshl_u32 v22, s27, v0, 2
	;; [unrolled: 1-line block ×14, first 2 shown]
	s_waitcnt vmcnt(3)
	v_pk_mul_f32 v[4:5], v[4:5], s[18:19]
	v_pk_mul_f32 v[6:7], v[6:7], s[18:19]
	s_waitcnt vmcnt(2)
	v_pk_mul_f32 v[8:9], v[8:9], s[18:19]
	v_pk_mul_f32 v[10:11], v[10:11], s[18:19]
	;; [unrolled: 3-line block ×4, first 2 shown]
	ds_write_b32 v1, v4 offset:2304
	ds_write_b32 v20, v5 offset:2304
	ds_write_b32 v21, v6 offset:2304
	ds_write_b32 v22, v7 offset:2304
	ds_write_b32 v23, v8 offset:2304
	ds_write_b32 v24, v9 offset:2304
	ds_write_b32 v25, v10 offset:2304
	ds_write_b32 v26, v11 offset:2304
	ds_write_b32 v27, v12 offset:2304
	ds_write_b32 v28, v13 offset:2304
	ds_write_b32 v29, v14 offset:2304
	ds_write_b32 v30, v15 offset:2304
	ds_write_b32 v31, v16 offset:2304
	ds_write_b32 v32, v17 offset:2304
	ds_write_b32 v33, v18 offset:2304
	ds_write_b32 v34, v19 offset:2304
	s_cbranch_scc1 .LBB28_19
.LBB28_20:
	s_and_b32 s23, s21, 7
	s_cmp_eq_u32 s23, 0
	s_mov_b32 s21, 0
	s_cbranch_scc1 .LBB28_23
; %bb.21:
	s_mul_i32 s24, s1, s7
	s_mul_hi_u32 s25, s0, s7
	s_add_i32 s25, s25, s24
	s_mul_i32 s24, s0, s7
	s_lshl_b64 s[28:29], s[4:5], 2
	v_lshlrev_b32_e32 v1, 2, v0
	s_lshl_b64 s[24:25], s[24:25], 2
	v_mov_b32_e32 v2, s29
	v_add_co_u32_e32 v1, vcc, s28, v1
	s_lshl_b64 s[28:29], s[16:17], 2
	s_lshl_b64 s[20:21], s[20:21], 2
	s_add_u32 s20, s2, s20
	s_addc_u32 s21, s3, s21
	s_add_u32 s20, s20, s28
	s_addc_u32 s21, s21, s29
	;; [unrolled: 2-line block ×3, first 2 shown]
	v_addc_co_u32_e32 v4, vcc, 0, v2, vcc
	v_pk_mov_b32 v[2:3], s[20:21], s[20:21] op_sel:[0,1]
	v_mad_u64_u32 v[2:3], s[20:21], v1, s22, v[2:3]
	v_mul_lo_u32 v1, v1, s11
	v_mul_lo_u32 v4, v4, s22
	v_add3_u32 v3, v4, v3, v1
	s_lshl_b32 s20, s23, 3
.LBB28_22:                              ; =>This Inner Loop Header: Depth=1
	global_load_dwordx2 v[4:5], v[2:3], off
	s_mul_i32 s21, s6, 24
	s_mul_i32 s23, s9, 24
	s_add_i32 s6, s6, 2
	s_add_i32 s9, s9, 2
	v_add_co_u32_e32 v2, vcc, 8, v2
	s_add_i32 s20, s20, -8
	v_addc_co_u32_e32 v3, vcc, 0, v3, vcc
	v_add_lshl_u32 v1, s23, v0, 2
	s_cmp_lg_u32 s20, 0
	v_add_lshl_u32 v6, s21, v0, 2
	s_waitcnt vmcnt(0)
	v_pk_mul_f32 v[4:5], v[4:5], s[18:19]
	ds_write_b32 v1, v4 offset:2304
	ds_write_b32 v6, v5 offset:2304
	s_cbranch_scc1 .LBB28_22
.LBB28_23:
	s_and_b32 s9, s26, 30
	s_cmp_lg_u32 s26, s9
	s_cselect_b64 s[20:21], -1, 0
.LBB28_24:
	s_and_b64 vcc, exec, s[20:21]
	s_cbranch_vccz .LBB28_27
; %bb.25:
	s_mul_i32 s19, s9, 0x60
	v_lshl_add_u32 v1, v0, 2, s19
	s_mul_i32 s19, s1, s7
	s_mul_hi_u32 s20, s0, s7
	s_add_i32 s21, s20, s19
	s_mul_i32 s20, s0, s7
	s_lshl_b64 s[24:25], s[4:5], 2
	v_lshlrev_b32_e32 v2, 2, v0
	s_sub_i32 s6, s26, s9
	s_lshl_b64 s[20:21], s[20:21], 2
	v_mov_b32_e32 v3, s25
	v_add_co_u32_e32 v4, vcc, s24, v2
	s_lshl_b64 s[24:25], s[16:17], 2
	s_lshl_b32 s9, s9, 2
	s_add_u32 s9, s2, s9
	s_addc_u32 s19, s3, 0
	s_add_u32 s9, s9, s24
	s_addc_u32 s19, s19, s25
	;; [unrolled: 2-line block ×3, first 2 shown]
	v_addc_co_u32_e32 v5, vcc, 0, v3, vcc
	v_pk_mov_b32 v[2:3], s[20:21], s[20:21] op_sel:[0,1]
	v_mad_u64_u32 v[2:3], s[20:21], v4, s22, v[2:3]
	v_mul_lo_u32 v4, v4, s11
	v_mul_lo_u32 v5, v5, s22
	v_add_u32_e32 v1, 0x900, v1
	v_add3_u32 v3, v5, v3, v4
.LBB28_26:                              ; =>This Inner Loop Header: Depth=1
	global_load_dword v4, v[2:3], off
	s_add_i32 s6, s6, -1
	v_add_co_u32_e32 v2, vcc, 4, v2
	v_addc_co_u32_e32 v3, vcc, 0, v3, vcc
	s_cmp_lg_u32 s6, 0
	s_waitcnt vmcnt(0)
	v_mul_f32_e32 v4, s18, v4
	ds_write_b32 v1, v4
	v_add_u32_e32 v1, 0x60, v1
	s_cbranch_scc1 .LBB28_26
.LBB28_27:
	s_or_b64 exec, exec, s[14:15]
	s_cmpk_eq_i32 s8, 0x6f
	s_mov_b64 s[8:9], -1
	s_waitcnt lgkmcnt(0)
	; wave barrier
	s_waitcnt lgkmcnt(0)
	s_cbranch_scc1 .LBB28_50
; %bb.28:
	s_add_i32 s6, s26, -1
	s_cmp_gt_i32 s10, 23
	s_mov_b32 s8, s6
	s_cbranch_scc0 .LBB28_30
; %bb.29:
	s_mul_i32 s8, s6, 24
	s_mul_i32 s31, s26, 24
	v_add_lshl_u32 v1, s8, v0, 2
	s_sub_i32 s8, s31, 48
	v_add_lshl_u32 v12, s8, v0, 2
	s_add_i32 s35, s31, 0xffffffb8
	s_add_i32 s36, s31, 0xffffffa0
	;; [unrolled: 1-line block ×22, first 2 shown]
	s_sub_i32 s40, s31, 24
	s_mul_i32 s31, s6, 0x64
	v_add_lshl_u32 v13, s35, v0, 2
	v_add_lshl_u32 v42, s33, v0, 2
	;; [unrolled: 1-line block ×3, first 2 shown]
	v_mov_b32_e32 v6, s31
	s_add_i32 s35, s35, s6
	v_add_lshl_u32 v15, s36, v0, 2
	v_add_lshl_u32 v17, s37, v0, 2
	;; [unrolled: 1-line block ×5, first 2 shown]
	ds_read_b32 v4, v1 offset:2304
	ds_read_b32 v5, v12 offset:2304
	;; [unrolled: 1-line block ×8, first 2 shown]
	v_add_lshl_u32 v43, s30, v0, 2
	v_add_lshl_u32 v44, s15, v0, 2
	;; [unrolled: 1-line block ×7, first 2 shown]
	ds_read_b32 v48, v42 offset:2304
	ds_read_b32 v49, v43 offset:2304
	;; [unrolled: 1-line block ×8, first 2 shown]
	v_add_lshl_u32 v26, s21, v0, 2
	v_add_lshl_u32 v22, s20, v0, 2
	;; [unrolled: 1-line block ×7, first 2 shown]
	ds_read_b32 v33, v28 offset:2304
	ds_read_b32 v30, v26 offset:2304
	;; [unrolled: 1-line block ×8, first 2 shown]
	s_lshl_b32 s35, s35, 2
	ds_read_b32 v21, v6
	s_add_i32 s41, s31, 0xffffff9c
	v_mov_b32_e32 v8, s35
	s_add_i32 s35, s31, 0xffffff38
	v_mov_b32_e32 v7, s41
	v_mov_b32_e32 v9, s35
	ds_read2_b32 v[6:7], v7 offset1:1
	ds_read_b32 v37, v8
	ds_read2_b32 v[8:9], v9 offset1:1
	s_waitcnt lgkmcnt(3)
	v_mul_f32_e32 v4, v21, v4
	s_add_i32 s36, s36, s6
	s_waitcnt lgkmcnt(2)
	v_fma_f32 v5, -v4, v7, v5
	s_lshl_b32 s35, s36, 2
	v_mul_f32_e32 v5, v6, v5
	s_waitcnt lgkmcnt(1)
	v_fma_f32 v6, -v4, v37, v20
	s_add_i32 s35, s35, -4
	s_waitcnt lgkmcnt(0)
	v_fma_f32 v6, -v5, v9, v6
	v_mov_b32_e32 v7, s35
	v_mul_f32_e32 v6, v8, v6
	s_add_i32 s35, s31, 0xfffffed4
	s_add_i32 s37, s37, s6
	ds_read2_b32 v[8:9], v7 offset1:1
	v_add_lshl_u32 v21, s40, v0, 2
	ds_write_b32 v12, v5 offset:2304
	v_mov_b32_e32 v12, s35
	s_lshl_b32 s35, s37, 2
	ds_write_b32 v21, v4 offset:2304
	ds_write_b32 v13, v6 offset:2304
	v_mov_b32_e32 v20, s35
	s_add_i32 s35, s35, -8
	v_mov_b32_e32 v7, s35
	ds_read2_b32 v[12:13], v12 offset1:1
	ds_read_b32 v37, v20
	ds_read2_b32 v[20:21], v7 offset1:1
	s_waitcnt lgkmcnt(6)
	v_fma_f32 v7, -v4, v9, v35
	v_fma_f32 v7, -v5, v8, v7
	s_waitcnt lgkmcnt(2)
	v_fma_f32 v7, -v6, v13, v7
	s_waitcnt lgkmcnt(1)
	v_fma_f32 v8, -v4, v37, v36
	v_mul_f32_e32 v7, v12, v7
	s_waitcnt lgkmcnt(0)
	v_fma_f32 v8, -v5, v21, v8
	s_add_i32 s35, s31, 0xfffffe70
	ds_write_b32 v15, v7 offset:2304
	v_fma_f32 v15, -v6, v20, v8
	v_mov_b32_e32 v8, s35
	s_add_i32 s38, s38, s6
	s_lshl_b32 s35, s38, 2
	ds_read2_b32 v[8:9], v8 offset1:1
	s_add_i32 s36, s35, -4
	s_add_i32 s35, s35, -12
	v_mov_b32_e32 v12, s36
	v_mov_b32_e32 v20, s35
	s_add_i32 s35, s31, 0xfffffe0c
	v_mov_b32_e32 v35, s35
	ds_read2_b32 v[12:13], v12 offset1:1
	ds_read2_b32 v[20:21], v20 offset1:1
	;; [unrolled: 1-line block ×3, first 2 shown]
	s_waitcnt lgkmcnt(3)
	v_fma_f32 v9, -v7, v9, v15
	s_add_i32 s39, s39, s6
	v_mul_f32_e32 v8, v8, v9
	s_waitcnt lgkmcnt(2)
	v_fma_f32 v9, -v4, v13, v38
	s_lshl_b32 s35, s39, 2
	v_fma_f32 v9, -v5, v12, v9
	s_add_i32 s36, s35, -4
	s_waitcnt lgkmcnt(1)
	v_fma_f32 v9, -v6, v21, v9
	v_mov_b32_e32 v12, s36
	v_fma_f32 v9, -v7, v20, v9
	ds_read2_b32 v[12:13], v12 offset1:1
	s_waitcnt lgkmcnt(1)
	v_fma_f32 v9, -v8, v37, v9
	v_mul_f32_e32 v9, v36, v9
	s_add_i32 s36, s35, -12
	ds_write_b32 v17, v8 offset:2304
	ds_write_b32 v24, v9 offset:2304
	v_mov_b32_e32 v15, s36
	s_sub_i32 s35, s35, 20
	v_mov_b32_e32 v17, s35
	ds_read2_b32 v[20:21], v15 offset1:1
	ds_read2_b32 v[36:37], v17 offset1:1
	s_waitcnt lgkmcnt(4)
	v_fma_f32 v13, -v4, v13, v39
	s_add_i32 s35, s31, 0xfffffda8
	v_fma_f32 v12, -v5, v12, v13
	v_mov_b32_e32 v13, s35
	ds_read_b32 v13, v13
	s_waitcnt lgkmcnt(2)
	v_fma_f32 v12, -v6, v21, v12
	v_fma_f32 v12, -v7, v20, v12
	s_waitcnt lgkmcnt(1)
	v_fma_f32 v12, -v8, v37, v12
	v_fma_f32 v12, -v9, v36, v12
	s_add_i32 s34, s34, s6
	s_waitcnt lgkmcnt(0)
	v_mul_f32_e32 v12, v13, v12
	s_lshl_b32 s34, s34, 2
	ds_write_b32 v27, v12 offset:2304
	v_mov_b32_e32 v13, s34
	s_add_i32 s35, s34, -8
	v_mov_b32_e32 v15, s35
	ds_read_b32 v13, v13
	ds_read2_b32 v[20:21], v15 offset1:1
	s_add_i32 s35, s34, -16
	v_mov_b32_e32 v17, s35
	s_sub_i32 s34, s34, 24
	v_mov_b32_e32 v15, s34
	ds_read2_b32 v[36:37], v17 offset1:1
	ds_read2_b32 v[38:39], v15 offset1:1
	s_waitcnt lgkmcnt(3)
	v_fma_f32 v13, -v4, v13, v40
	s_add_i32 s34, s31, 0xfffffd44
	s_waitcnt lgkmcnt(2)
	v_fma_f32 v13, -v5, v21, v13
	v_mov_b32_e32 v15, s34
	v_fma_f32 v13, -v6, v20, v13
	ds_read_b32 v15, v15
	s_waitcnt lgkmcnt(2)
	v_fma_f32 v13, -v7, v37, v13
	v_fma_f32 v13, -v8, v36, v13
	s_add_i32 s33, s33, s6
	s_waitcnt lgkmcnt(1)
	v_fma_f32 v13, -v9, v39, v13
	s_lshl_b32 s33, s33, 2
	v_fma_f32 v13, -v12, v38, v13
	s_add_i32 s34, s33, -4
	s_waitcnt lgkmcnt(0)
	v_mul_f32_e32 v13, v15, v13
	v_mov_b32_e32 v15, s34
	ds_read2_b32 v[20:21], v15 offset1:1
	s_add_i32 s34, s33, -12
	ds_write_b32 v29, v13 offset:2304
	v_mov_b32_e32 v17, s34
	s_sub_i32 s34, s33, 20
	s_sub_i32 s33, s33, 28
	v_mov_b32_e32 v24, s34
	v_mov_b32_e32 v15, s33
	ds_read2_b32 v[36:37], v17 offset1:1
	ds_read2_b32 v[38:39], v24 offset1:1
	;; [unrolled: 1-line block ×3, first 2 shown]
	s_waitcnt lgkmcnt(4)
	v_fma_f32 v15, -v4, v21, v48
	v_fma_f32 v15, -v5, v20, v15
	s_add_i32 s33, s31, 0xfffffce0
	s_waitcnt lgkmcnt(2)
	v_fma_f32 v15, -v6, v37, v15
	v_mov_b32_e32 v17, s33
	v_fma_f32 v15, -v7, v36, v15
	ds_read_b32 v17, v17
	s_waitcnt lgkmcnt(2)
	v_fma_f32 v15, -v8, v39, v15
	v_fma_f32 v15, -v9, v38, v15
	s_waitcnt lgkmcnt(1)
	v_fma_f32 v15, -v12, v41, v15
	s_add_i32 s30, s30, s6
	v_fma_f32 v15, -v13, v40, v15
	s_lshl_b32 s30, s30, 2
	s_waitcnt lgkmcnt(0)
	v_mul_f32_e32 v15, v17, v15
	s_add_i32 s33, s30, -8
	ds_write_b32 v42, v15 offset:2304
	v_mov_b32_e32 v17, s30
	v_mov_b32_e32 v20, s33
	ds_read_b32 v17, v17
	ds_read2_b32 v[20:21], v20 offset1:1
	s_add_i32 s33, s30, -16
	v_mov_b32_e32 v24, s33
	s_sub_i32 s33, s30, 24
	v_mov_b32_e32 v27, s33
	ds_read2_b32 v[36:37], v24 offset1:1
	ds_read2_b32 v[38:39], v27 offset1:1
	s_waitcnt lgkmcnt(3)
	v_fma_f32 v17, -v4, v17, v49
	s_waitcnt lgkmcnt(2)
	v_fma_f32 v17, -v5, v21, v17
	s_sub_i32 s30, s30, 32
	v_fma_f32 v17, -v6, v20, v17
	v_mov_b32_e32 v20, s30
	ds_read2_b32 v[20:21], v20 offset1:1
	s_add_i32 s30, s31, 0xfffffc7c
	s_waitcnt lgkmcnt(2)
	v_fma_f32 v17, -v7, v37, v17
	v_mov_b32_e32 v24, s30
	v_fma_f32 v17, -v8, v36, v17
	ds_read_b32 v24, v24
	s_waitcnt lgkmcnt(2)
	v_fma_f32 v17, -v9, v39, v17
	v_fma_f32 v17, -v12, v38, v17
	s_waitcnt lgkmcnt(1)
	v_fma_f32 v17, -v13, v21, v17
	s_add_i32 s15, s15, s6
	v_fma_f32 v17, -v15, v20, v17
	s_lshl_b32 s15, s15, 2
	s_waitcnt lgkmcnt(0)
	v_mul_f32_e32 v17, v24, v17
	s_add_i32 s30, s15, -8
	ds_write_b32 v43, v17 offset:2304
	v_mov_b32_e32 v20, s15
	v_mov_b32_e32 v21, s30
	ds_read_b32 v27, v20
	ds_read2_b32 v[20:21], v21 offset1:1
	s_add_i32 s30, s15, -16
	v_mov_b32_e32 v24, s30
	s_sub_i32 s30, s15, 24
	v_mov_b32_e32 v29, s30
	ds_read2_b32 v[36:37], v24 offset1:1
	ds_read2_b32 v[38:39], v29 offset1:1
	s_waitcnt lgkmcnt(3)
	v_fma_f32 v24, -v4, v27, v50
	s_waitcnt lgkmcnt(2)
	v_fma_f32 v21, -v5, v21, v24
	v_fma_f32 v20, -v6, v20, v21
	s_waitcnt lgkmcnt(1)
	v_fma_f32 v20, -v7, v37, v20
	v_fma_f32 v20, -v8, v36, v20
	s_waitcnt lgkmcnt(0)
	v_fma_f32 v20, -v9, v39, v20
	s_sub_i32 s15, s15, 32
	v_fma_f32 v24, -v12, v38, v20
	v_mov_b32_e32 v20, s15
	s_mul_i32 s15, s26, 0x64
	s_add_i32 s29, s29, s6
	ds_read2_b32 v[20:21], v20 offset1:1
	s_add_i32 s30, s15, 0xfffffbb4
	s_lshl_b32 s29, s29, 2
	v_mov_b32_e32 v27, s30
	s_add_i32 s30, s29, -4
	v_mov_b32_e32 v29, s30
	s_add_i32 s30, s29, -12
	v_mov_b32_e32 v35, s30
	ds_read2_b32 v[36:37], v27 offset1:1
	ds_read2_b32 v[38:39], v29 offset1:1
	;; [unrolled: 1-line block ×3, first 2 shown]
	s_waitcnt lgkmcnt(3)
	v_fma_f32 v21, -v13, v21, v24
	v_fma_f32 v20, -v15, v20, v21
	s_sub_i32 s30, s29, 20
	s_waitcnt lgkmcnt(2)
	v_fma_f32 v20, -v17, v37, v20
	v_mov_b32_e32 v24, s30
	v_mul_f32_e32 v20, v36, v20
	ds_read2_b32 v[36:37], v24 offset1:1
	s_waitcnt lgkmcnt(2)
	v_fma_f32 v21, -v4, v39, v51
	v_fma_f32 v21, -v5, v38, v21
	s_sub_i32 s30, s29, 28
	s_sub_i32 s29, s29, 36
	ds_write_b32 v44, v20 offset:2304
	s_waitcnt lgkmcnt(2)
	v_fma_f32 v21, -v6, v41, v21
	v_mov_b32_e32 v27, s30
	v_mov_b32_e32 v29, s29
	s_add_i32 s29, s15, 0xfffffb50
	v_fma_f32 v21, -v7, v40, v21
	v_mov_b32_e32 v24, s29
	ds_read2_b32 v[38:39], v27 offset1:1
	ds_read2_b32 v[40:41], v29 offset1:1
	;; [unrolled: 1-line block ×3, first 2 shown]
	s_waitcnt lgkmcnt(4)
	v_fma_f32 v21, -v8, v37, v21
	v_fma_f32 v21, -v9, v36, v21
	s_waitcnt lgkmcnt(2)
	v_fma_f32 v21, -v12, v39, v21
	v_fma_f32 v21, -v13, v38, v21
	;; [unrolled: 3-line block ×3, first 2 shown]
	s_waitcnt lgkmcnt(0)
	v_fma_f32 v21, -v20, v43, v21
	s_add_i32 s28, s28, s6
	v_mul_f32_e32 v21, v42, v21
	s_lshl_b32 s28, s28, 2
	ds_write_b32 v45, v21 offset:2304
	v_mov_b32_e32 v24, s28
	s_add_i32 s29, s28, -8
	v_mov_b32_e32 v27, s29
	ds_read_b32 v24, v24
	ds_read2_b32 v[36:37], v27 offset1:1
	s_add_i32 s29, s28, -16
	v_mov_b32_e32 v29, s29
	s_sub_i32 s29, s28, 24
	v_mov_b32_e32 v27, s29
	ds_read2_b32 v[38:39], v29 offset1:1
	ds_read2_b32 v[40:41], v27 offset1:1
	s_waitcnt lgkmcnt(3)
	v_fma_f32 v24, -v4, v24, v52
	s_sub_i32 s29, s28, 32
	s_waitcnt lgkmcnt(2)
	v_fma_f32 v24, -v5, v37, v24
	v_mov_b32_e32 v27, s29
	v_fma_f32 v24, -v6, v36, v24
	ds_read2_b32 v[36:37], v27 offset1:1
	s_waitcnt lgkmcnt(2)
	v_fma_f32 v24, -v7, v39, v24
	s_sub_i32 s28, s28, 40
	s_add_i32 s27, s27, s6
	v_fma_f32 v24, -v8, v38, v24
	v_mov_b32_e32 v29, s28
	s_add_i32 s28, s15, 0xfffffaec
	s_lshl_b32 s27, s27, 2
	s_waitcnt lgkmcnt(1)
	v_fma_f32 v24, -v9, v41, v24
	v_mov_b32_e32 v35, s28
	s_add_i32 s28, s27, -4
	v_fma_f32 v24, -v12, v40, v24
	v_mov_b32_e32 v27, s28
	ds_read2_b32 v[38:39], v29 offset1:1
	ds_read2_b32 v[40:41], v35 offset1:1
	;; [unrolled: 1-line block ×3, first 2 shown]
	s_waitcnt lgkmcnt(3)
	v_fma_f32 v24, -v13, v37, v24
	v_fma_f32 v24, -v15, v36, v24
	s_add_i32 s28, s27, -12
	s_waitcnt lgkmcnt(2)
	v_fma_f32 v24, -v17, v39, v24
	v_mov_b32_e32 v29, s28
	v_fma_f32 v24, -v20, v38, v24
	ds_read2_b32 v[36:37], v29 offset1:1
	s_waitcnt lgkmcnt(2)
	v_fma_f32 v24, -v21, v41, v24
	s_sub_i32 s28, s27, 20
	v_mul_f32_e32 v24, v40, v24
	v_mov_b32_e32 v35, s28
	s_sub_i32 s28, s27, 28
	ds_write_b32 v46, v24 offset:2304
	s_waitcnt lgkmcnt(2)
	v_fma_f32 v27, -v4, v43, v53
	v_mov_b32_e32 v40, s28
	s_sub_i32 s28, s27, 36
	v_fma_f32 v27, -v5, v42, v27
	v_mov_b32_e32 v29, s28
	ds_read2_b32 v[38:39], v35 offset1:1
	ds_read2_b32 v[40:41], v40 offset1:1
	;; [unrolled: 1-line block ×3, first 2 shown]
	s_waitcnt lgkmcnt(4)
	v_fma_f32 v27, -v6, v37, v27
	v_fma_f32 v27, -v7, v36, v27
	s_waitcnt lgkmcnt(2)
	v_fma_f32 v27, -v8, v39, v27
	v_fma_f32 v27, -v9, v38, v27
	s_sub_i32 s27, s27, 44
	s_add_i32 s25, s25, s6
	s_waitcnt lgkmcnt(1)
	v_fma_f32 v27, -v12, v41, v27
	v_mov_b32_e32 v29, s27
	s_add_i32 s27, s15, 0xfffffa88
	s_lshl_b32 s25, s25, 2
	v_fma_f32 v27, -v13, v40, v27
	v_mov_b32_e32 v35, s27
	v_mov_b32_e32 v40, s25
	s_add_i32 s27, s25, -8
	ds_read2_b32 v[36:37], v29 offset1:1
	v_mov_b32_e32 v29, s27
	ds_read2_b32 v[38:39], v35 offset1:1
	ds_read_b32 v35, v40
	ds_read2_b32 v[40:41], v29 offset1:1
	s_waitcnt lgkmcnt(4)
	v_fma_f32 v27, -v15, v43, v27
	v_fma_f32 v27, -v17, v42, v27
	s_add_i32 s27, s25, -16
	s_waitcnt lgkmcnt(3)
	v_fma_f32 v27, -v20, v37, v27
	s_waitcnt lgkmcnt(1)
	v_fma_f32 v29, -v4, v35, v54
	v_mov_b32_e32 v35, s27
	v_fma_f32 v27, -v21, v36, v27
	ds_read2_b32 v[36:37], v35 offset1:1
	v_fma_f32 v27, -v24, v39, v27
	s_sub_i32 s27, s25, 24
	v_mul_f32_e32 v27, v38, v27
	s_waitcnt lgkmcnt(1)
	v_fma_f32 v29, -v5, v41, v29
	v_mov_b32_e32 v38, s27
	s_sub_i32 s27, s25, 32
	ds_write_b32 v47, v27 offset:2304
	v_fma_f32 v29, -v6, v40, v29
	v_mov_b32_e32 v40, s27
	s_sub_i32 s27, s25, 40
	v_mov_b32_e32 v35, s27
	ds_read2_b32 v[38:39], v38 offset1:1
	ds_read2_b32 v[40:41], v40 offset1:1
	;; [unrolled: 1-line block ×3, first 2 shown]
	s_waitcnt lgkmcnt(4)
	v_fma_f32 v29, -v7, v37, v29
	v_fma_f32 v29, -v8, v36, v29
	s_sub_i32 s25, s25, 48
	s_waitcnt lgkmcnt(2)
	v_fma_f32 v29, -v9, v39, v29
	v_mov_b32_e32 v35, s25
	v_fma_f32 v29, -v12, v38, v29
	s_add_i32 s24, s24, s6
	ds_read2_b32 v[36:37], v35 offset1:1
	s_waitcnt lgkmcnt(2)
	v_fma_f32 v29, -v13, v41, v29
	s_add_i32 s25, s15, 0xfffffa24
	s_lshl_b32 s24, s24, 2
	v_fma_f32 v29, -v15, v40, v29
	v_mov_b32_e32 v38, s25
	s_add_i32 s25, s24, -4
	s_waitcnt lgkmcnt(1)
	v_fma_f32 v29, -v17, v43, v29
	v_mov_b32_e32 v40, s25
	s_add_i32 s25, s24, -12
	v_fma_f32 v29, -v20, v42, v29
	v_mov_b32_e32 v35, s25
	ds_read2_b32 v[38:39], v38 offset1:1
	ds_read2_b32 v[40:41], v40 offset1:1
	;; [unrolled: 1-line block ×3, first 2 shown]
	s_waitcnt lgkmcnt(3)
	v_fma_f32 v29, -v21, v37, v29
	v_fma_f32 v29, -v24, v36, v29
	s_waitcnt lgkmcnt(2)
	v_fma_f32 v29, -v27, v39, v29
	v_mul_f32_e32 v29, v38, v29
	s_sub_i32 s25, s24, 20
	ds_write_b32 v32, v29 offset:2304
	s_waitcnt lgkmcnt(2)
	v_fma_f32 v32, -v4, v41, v34
	v_mov_b32_e32 v34, s25
	s_sub_i32 s25, s24, 28
	ds_read2_b32 v[34:35], v34 offset1:1
	v_mov_b32_e32 v36, s25
	s_sub_i32 s25, s24, 36
	v_fma_f32 v32, -v5, v40, v32
	v_mov_b32_e32 v38, s25
	s_sub_i32 s25, s24, 44
	s_waitcnt lgkmcnt(2)
	v_fma_f32 v32, -v6, v43, v32
	v_mov_b32_e32 v40, s25
	v_fma_f32 v32, -v7, v42, v32
	ds_read2_b32 v[36:37], v36 offset1:1
	ds_read2_b32 v[38:39], v38 offset1:1
	;; [unrolled: 1-line block ×3, first 2 shown]
	s_waitcnt lgkmcnt(3)
	v_fma_f32 v32, -v8, v35, v32
	v_fma_f32 v32, -v9, v34, v32
	s_sub_i32 s24, s24, 52
	s_waitcnt lgkmcnt(2)
	v_fma_f32 v32, -v12, v37, v32
	v_mov_b32_e32 v34, s24
	v_fma_f32 v32, -v13, v36, v32
	s_add_i32 s23, s23, s6
	ds_read2_b32 v[34:35], v34 offset1:1
	s_waitcnt lgkmcnt(2)
	v_fma_f32 v32, -v15, v39, v32
	s_add_i32 s24, s15, 0xfffff9c0
	s_lshl_b32 s23, s23, 2
	v_fma_f32 v32, -v17, v38, v32
	v_mov_b32_e32 v36, s24
	s_add_i32 s24, s23, -8
	s_waitcnt lgkmcnt(1)
	v_fma_f32 v32, -v20, v41, v32
	v_mov_b32_e32 v38, s23
	v_mov_b32_e32 v39, s24
	v_fma_f32 v32, -v21, v40, v32
	ds_read2_b32 v[36:37], v36 offset1:1
	ds_read_b32 v40, v38
	ds_read2_b32 v[38:39], v39 offset1:1
	s_waitcnt lgkmcnt(3)
	v_fma_f32 v32, -v24, v35, v32
	v_fma_f32 v32, -v27, v34, v32
	s_waitcnt lgkmcnt(2)
	v_fma_f32 v32, -v29, v37, v32
	v_mul_f32_e32 v32, v36, v32
	s_add_i32 s24, s23, -16
	ds_write_b32 v31, v32 offset:2304
	s_waitcnt lgkmcnt(2)
	v_fma_f32 v31, -v4, v40, v33
	v_mov_b32_e32 v33, s24
	ds_read2_b32 v[34:35], v33 offset1:1
	s_sub_i32 s24, s23, 24
	s_waitcnt lgkmcnt(2)
	v_fma_f32 v31, -v5, v39, v31
	v_mov_b32_e32 v36, s24
	s_sub_i32 s24, s23, 32
	v_fma_f32 v31, -v6, v38, v31
	v_mov_b32_e32 v38, s24
	s_sub_i32 s24, s23, 40
	v_mov_b32_e32 v33, s24
	ds_read2_b32 v[36:37], v36 offset1:1
	ds_read2_b32 v[38:39], v38 offset1:1
	;; [unrolled: 1-line block ×3, first 2 shown]
	s_waitcnt lgkmcnt(3)
	v_fma_f32 v31, -v7, v35, v31
	v_fma_f32 v31, -v8, v34, v31
	s_sub_i32 s24, s23, 48
	s_waitcnt lgkmcnt(2)
	v_fma_f32 v31, -v9, v37, v31
	v_mov_b32_e32 v33, s24
	v_fma_f32 v31, -v12, v36, v31
	ds_read2_b32 v[34:35], v33 offset1:1
	s_waitcnt lgkmcnt(2)
	v_fma_f32 v31, -v13, v39, v31
	s_sub_i32 s23, s23, 56
	s_add_i32 s21, s21, s6
	v_fma_f32 v31, -v15, v38, v31
	v_mov_b32_e32 v36, s23
	s_add_i32 s23, s15, 0xfffff95c
	s_lshl_b32 s21, s21, 2
	s_waitcnt lgkmcnt(1)
	v_fma_f32 v31, -v17, v41, v31
	v_mov_b32_e32 v38, s23
	s_add_i32 s23, s21, -4
	v_fma_f32 v31, -v20, v40, v31
	v_mov_b32_e32 v33, s23
	ds_read2_b32 v[36:37], v36 offset1:1
	ds_read2_b32 v[38:39], v38 offset1:1
	;; [unrolled: 1-line block ×3, first 2 shown]
	s_waitcnt lgkmcnt(3)
	v_fma_f32 v31, -v21, v35, v31
	v_fma_f32 v31, -v24, v34, v31
	s_waitcnt lgkmcnt(2)
	v_fma_f32 v31, -v27, v37, v31
	v_fma_f32 v31, -v29, v36, v31
	s_waitcnt lgkmcnt(1)
	v_fma_f32 v31, -v32, v39, v31
	v_mul_f32_e32 v31, v38, v31
	s_add_i32 s23, s21, -12
	ds_write_b32 v28, v31 offset:2304
	s_waitcnt lgkmcnt(1)
	v_fma_f32 v28, -v4, v41, v30
	v_mov_b32_e32 v30, s23
	ds_read2_b32 v[34:35], v30 offset1:1
	s_sub_i32 s23, s21, 20
	v_mov_b32_e32 v33, s23
	s_sub_i32 s23, s21, 28
	v_mov_b32_e32 v38, s23
	s_sub_i32 s23, s21, 36
	v_fma_f32 v28, -v5, v40, v28
	v_mov_b32_e32 v30, s23
	ds_read2_b32 v[36:37], v33 offset1:1
	ds_read2_b32 v[38:39], v38 offset1:1
	;; [unrolled: 1-line block ×3, first 2 shown]
	s_waitcnt lgkmcnt(3)
	v_fma_f32 v28, -v6, v35, v28
	v_fma_f32 v28, -v7, v34, v28
	s_sub_i32 s23, s21, 44
	s_waitcnt lgkmcnt(2)
	v_fma_f32 v28, -v8, v37, v28
	v_mov_b32_e32 v30, s23
	v_fma_f32 v28, -v9, v36, v28
	ds_read2_b32 v[34:35], v30 offset1:1
	s_waitcnt lgkmcnt(2)
	v_fma_f32 v28, -v12, v39, v28
	v_fma_f32 v28, -v13, v38, v28
	s_sub_i32 s23, s21, 52
	s_sub_i32 s21, s21, 60
	s_waitcnt lgkmcnt(1)
	v_fma_f32 v28, -v15, v41, v28
	v_mov_b32_e32 v33, s23
	v_mov_b32_e32 v38, s21
	s_add_i32 s21, s15, 0xfffff8f8
	v_fma_f32 v28, -v17, v40, v28
	v_mov_b32_e32 v30, s21
	ds_read2_b32 v[36:37], v33 offset1:1
	ds_read2_b32 v[38:39], v38 offset1:1
	;; [unrolled: 1-line block ×3, first 2 shown]
	s_waitcnt lgkmcnt(3)
	v_fma_f32 v28, -v20, v35, v28
	v_fma_f32 v28, -v21, v34, v28
	s_waitcnt lgkmcnt(2)
	v_fma_f32 v28, -v24, v37, v28
	v_fma_f32 v28, -v27, v36, v28
	;; [unrolled: 3-line block ×3, first 2 shown]
	s_waitcnt lgkmcnt(0)
	v_fma_f32 v28, -v31, v41, v28
	s_add_i32 s20, s20, s6
	v_mul_f32_e32 v28, v40, v28
	s_lshl_b32 s20, s20, 2
	ds_write_b32 v26, v28 offset:2304
	v_mov_b32_e32 v26, s20
	s_add_i32 s21, s20, -8
	v_mov_b32_e32 v30, s21
	ds_read_b32 v26, v26
	ds_read2_b32 v[34:35], v30 offset1:1
	s_add_i32 s21, s20, -16
	v_mov_b32_e32 v33, s21
	s_sub_i32 s21, s20, 24
	v_mov_b32_e32 v30, s21
	ds_read2_b32 v[36:37], v33 offset1:1
	ds_read2_b32 v[38:39], v30 offset1:1
	s_waitcnt lgkmcnt(3)
	v_fma_f32 v25, -v4, v26, v25
	s_sub_i32 s21, s20, 32
	s_waitcnt lgkmcnt(2)
	v_fma_f32 v25, -v5, v35, v25
	v_mov_b32_e32 v26, s21
	v_fma_f32 v25, -v6, v34, v25
	ds_read2_b32 v[34:35], v26 offset1:1
	s_waitcnt lgkmcnt(2)
	v_fma_f32 v25, -v7, v37, v25
	s_sub_i32 s21, s20, 40
	v_fma_f32 v25, -v8, v36, v25
	v_mov_b32_e32 v30, s21
	s_sub_i32 s21, s20, 48
	s_waitcnt lgkmcnt(1)
	v_fma_f32 v25, -v9, v39, v25
	v_mov_b32_e32 v33, s21
	s_sub_i32 s21, s20, 56
	v_fma_f32 v25, -v12, v38, v25
	v_mov_b32_e32 v26, s21
	ds_read2_b32 v[36:37], v30 offset1:1
	ds_read2_b32 v[38:39], v33 offset1:1
	;; [unrolled: 1-line block ×3, first 2 shown]
	s_waitcnt lgkmcnt(3)
	v_fma_f32 v25, -v13, v35, v25
	v_fma_f32 v25, -v15, v34, v25
	s_sub_i32 s20, s20, 64
	s_waitcnt lgkmcnt(2)
	v_fma_f32 v25, -v17, v37, v25
	v_mov_b32_e32 v26, s20
	v_fma_f32 v25, -v20, v36, v25
	s_add_i32 s19, s19, s6
	ds_read2_b32 v[34:35], v26 offset1:1
	s_waitcnt lgkmcnt(2)
	v_fma_f32 v25, -v21, v39, v25
	s_add_i32 s20, s15, 0xfffff894
	s_lshl_b32 s19, s19, 2
	v_fma_f32 v25, -v24, v38, v25
	v_mov_b32_e32 v30, s20
	s_add_i32 s20, s19, -4
	s_waitcnt lgkmcnt(1)
	v_fma_f32 v25, -v27, v41, v25
	v_mov_b32_e32 v33, s20
	s_add_i32 s20, s19, -12
	v_fma_f32 v25, -v29, v40, v25
	v_mov_b32_e32 v26, s20
	ds_read2_b32 v[36:37], v30 offset1:1
	ds_read2_b32 v[38:39], v33 offset1:1
	ds_read2_b32 v[40:41], v26 offset1:1
	s_waitcnt lgkmcnt(3)
	v_fma_f32 v25, -v32, v35, v25
	v_fma_f32 v25, -v31, v34, v25
	s_waitcnt lgkmcnt(2)
	v_fma_f32 v25, -v28, v37, v25
	v_mul_f32_e32 v25, v36, v25
	ds_write_b32 v22, v25 offset:2304
	s_waitcnt lgkmcnt(2)
	v_fma_f32 v22, -v4, v39, v23
	v_fma_f32 v22, -v5, v38, v22
	s_waitcnt lgkmcnt(1)
	v_fma_f32 v22, -v6, v41, v22
	s_sub_i32 s20, s19, 20
	v_fma_f32 v26, -v7, v40, v22
	v_mov_b32_e32 v22, s20
	s_sub_i32 s20, s19, 28
	ds_read2_b32 v[22:23], v22 offset1:1
	v_mov_b32_e32 v30, s20
	s_sub_i32 s20, s19, 36
	v_mov_b32_e32 v33, s20
	s_sub_i32 s20, s19, 44
	v_mov_b32_e32 v38, s20
	ds_read2_b32 v[34:35], v30 offset1:1
	ds_read2_b32 v[36:37], v33 offset1:1
	;; [unrolled: 1-line block ×3, first 2 shown]
	s_waitcnt lgkmcnt(3)
	v_fma_f32 v23, -v8, v23, v26
	v_fma_f32 v22, -v9, v22, v23
	s_waitcnt lgkmcnt(2)
	v_fma_f32 v22, -v12, v35, v22
	v_fma_f32 v22, -v13, v34, v22
	;; [unrolled: 3-line block ×3, first 2 shown]
	s_waitcnt lgkmcnt(0)
	v_fma_f32 v22, -v20, v39, v22
	s_sub_i32 s20, s19, 52
	v_fma_f32 v26, -v21, v38, v22
	v_mov_b32_e32 v22, s20
	ds_read2_b32 v[22:23], v22 offset1:1
	s_sub_i32 s20, s19, 60
	s_addk_i32 s19, 0xffbc
	v_mov_b32_e32 v33, s19
	s_add_i32 s19, s15, 0xfffff830
	v_mov_b32_e32 v30, s20
	v_mov_b32_e32 v38, s19
	ds_read2_b32 v[34:35], v30 offset1:1
	ds_read2_b32 v[36:37], v33 offset1:1
	;; [unrolled: 1-line block ×3, first 2 shown]
	s_waitcnt lgkmcnt(3)
	v_fma_f32 v23, -v24, v23, v26
	v_fma_f32 v22, -v27, v22, v23
	s_waitcnt lgkmcnt(2)
	v_fma_f32 v22, -v29, v35, v22
	v_fma_f32 v22, -v32, v34, v22
	;; [unrolled: 3-line block ×3, first 2 shown]
	s_add_i32 s18, s18, s6
	s_waitcnt lgkmcnt(0)
	v_fma_f32 v22, -v25, v39, v22
	s_lshl_b32 s18, s18, 2
	v_mul_f32_e32 v26, v38, v22
	s_add_i32 s19, s18, -8
	ds_write_b32 v19, v26 offset:2304
	v_mov_b32_e32 v19, s18
	v_mov_b32_e32 v22, s19
	ds_read_b32 v19, v19
	ds_read2_b32 v[22:23], v22 offset1:1
	s_add_i32 s19, s18, -16
	v_mov_b32_e32 v30, s19
	s_sub_i32 s19, s18, 24
	v_mov_b32_e32 v33, s19
	ds_read2_b32 v[34:35], v30 offset1:1
	ds_read2_b32 v[36:37], v33 offset1:1
	s_waitcnt lgkmcnt(3)
	v_fma_f32 v18, -v4, v19, v18
	s_waitcnt lgkmcnt(2)
	v_fma_f32 v18, -v5, v23, v18
	v_fma_f32 v18, -v6, v22, v18
	s_waitcnt lgkmcnt(1)
	v_fma_f32 v18, -v7, v35, v18
	;; [unrolled: 3-line block ×3, first 2 shown]
	s_sub_i32 s19, s18, 32
	v_fma_f32 v30, -v12, v36, v18
	v_mov_b32_e32 v18, s19
	s_sub_i32 s19, s18, 40
	ds_read2_b32 v[18:19], v18 offset1:1
	v_mov_b32_e32 v22, s19
	s_sub_i32 s19, s18, 48
	v_mov_b32_e32 v33, s19
	s_sub_i32 s19, s18, 56
	v_mov_b32_e32 v36, s19
	ds_read2_b32 v[22:23], v22 offset1:1
	ds_read2_b32 v[34:35], v33 offset1:1
	;; [unrolled: 1-line block ×3, first 2 shown]
	s_waitcnt lgkmcnt(3)
	v_fma_f32 v19, -v13, v19, v30
	v_fma_f32 v18, -v15, v18, v19
	s_waitcnt lgkmcnt(2)
	v_fma_f32 v18, -v17, v23, v18
	v_fma_f32 v18, -v20, v22, v18
	;; [unrolled: 3-line block ×3, first 2 shown]
	s_waitcnt lgkmcnt(0)
	v_fma_f32 v18, -v27, v37, v18
	s_sub_i32 s19, s18, 64
	v_fma_f32 v30, -v29, v36, v18
	v_mov_b32_e32 v18, s19
	s_addk_i32 s18, 0xffb8
	s_add_i32 s14, s14, s6
	ds_read2_b32 v[18:19], v18 offset1:1
	v_mov_b32_e32 v22, s18
	s_add_i32 s18, s15, 0xfffff7cc
	s_lshl_b32 s14, s14, 2
	v_mov_b32_e32 v33, s18
	s_add_i32 s18, s14, -4
	v_mov_b32_e32 v36, s18
	ds_read2_b32 v[22:23], v22 offset1:1
	ds_read2_b32 v[34:35], v33 offset1:1
	;; [unrolled: 1-line block ×3, first 2 shown]
	s_waitcnt lgkmcnt(3)
	v_fma_f32 v19, -v32, v19, v30
	v_fma_f32 v18, -v31, v18, v19
	s_waitcnt lgkmcnt(2)
	v_fma_f32 v18, -v28, v23, v18
	v_fma_f32 v18, -v25, v22, v18
	s_waitcnt lgkmcnt(1)
	v_fma_f32 v18, -v26, v35, v18
	v_mul_f32_e32 v30, v34, v18
	s_add_i32 s18, s14, -12
	ds_write_b32 v14, v30 offset:2304
	s_waitcnt lgkmcnt(1)
	v_fma_f32 v14, -v4, v37, v16
	v_mov_b32_e32 v16, s18
	ds_read2_b32 v[18:19], v16 offset1:1
	s_sub_i32 s18, s14, 20
	v_mov_b32_e32 v22, s18
	s_sub_i32 s18, s14, 28
	v_mov_b32_e32 v33, s18
	s_sub_i32 s18, s14, 36
	v_fma_f32 v14, -v5, v36, v14
	v_mov_b32_e32 v16, s18
	ds_read2_b32 v[22:23], v22 offset1:1
	ds_read2_b32 v[34:35], v33 offset1:1
	;; [unrolled: 1-line block ×3, first 2 shown]
	s_waitcnt lgkmcnt(3)
	v_fma_f32 v14, -v6, v19, v14
	v_fma_f32 v14, -v7, v18, v14
	s_sub_i32 s18, s14, 44
	s_waitcnt lgkmcnt(2)
	v_fma_f32 v14, -v8, v23, v14
	v_mov_b32_e32 v16, s18
	v_fma_f32 v14, -v9, v22, v14
	ds_read2_b32 v[18:19], v16 offset1:1
	s_waitcnt lgkmcnt(2)
	v_fma_f32 v14, -v12, v35, v14
	s_sub_i32 s18, s14, 52
	v_fma_f32 v14, -v13, v34, v14
	v_mov_b32_e32 v22, s18
	s_sub_i32 s18, s14, 60
	s_waitcnt lgkmcnt(1)
	v_fma_f32 v14, -v15, v37, v14
	v_mov_b32_e32 v33, s18
	s_add_i32 s18, s14, 0xffffffbc
	v_fma_f32 v14, -v17, v36, v14
	v_mov_b32_e32 v16, s18
	ds_read2_b32 v[22:23], v22 offset1:1
	ds_read2_b32 v[34:35], v33 offset1:1
	;; [unrolled: 1-line block ×3, first 2 shown]
	s_waitcnt lgkmcnt(3)
	v_fma_f32 v14, -v20, v19, v14
	v_fma_f32 v14, -v21, v18, v14
	s_addk_i32 s14, 0xffb4
	s_waitcnt lgkmcnt(2)
	v_fma_f32 v14, -v24, v23, v14
	v_mov_b32_e32 v16, s14
	v_fma_f32 v14, -v27, v22, v14
	ds_read2_b32 v[18:19], v16 offset1:1
	s_waitcnt lgkmcnt(2)
	v_fma_f32 v14, -v29, v35, v14
	s_add_i32 s9, s9, s6
	v_fma_f32 v14, -v32, v34, v14
	s_add_i32 s14, s15, 0xfffff768
	s_lshl_b32 s9, s9, 2
	s_waitcnt lgkmcnt(1)
	v_fma_f32 v14, -v31, v37, v14
	v_mov_b32_e32 v22, s14
	v_mov_b32_e32 v33, s9
	s_add_i32 s14, s9, -8
	v_fma_f32 v14, -v28, v36, v14
	v_mov_b32_e32 v16, s14
	ds_read2_b32 v[22:23], v22 offset1:1
	ds_read_b32 v33, v33
	ds_read2_b32 v[34:35], v16 offset1:1
	s_waitcnt lgkmcnt(3)
	v_fma_f32 v14, -v25, v19, v14
	v_fma_f32 v14, -v26, v18, v14
	s_waitcnt lgkmcnt(2)
	v_fma_f32 v14, -v30, v23, v14
	v_mul_f32_e32 v14, v22, v14
	ds_write_b32 v10, v14 offset:2304
	s_waitcnt lgkmcnt(2)
	v_fma_f32 v10, -v4, v33, v11
	s_waitcnt lgkmcnt(1)
	v_fma_f32 v10, -v5, v35, v10
	s_add_i32 s14, s9, -16
	v_fma_f32 v16, -v6, v34, v10
	v_mov_b32_e32 v10, s14
	ds_read2_b32 v[10:11], v10 offset1:1
	s_sub_i32 s14, s9, 24
	v_mov_b32_e32 v18, s14
	s_sub_i32 s14, s9, 32
	v_mov_b32_e32 v22, s14
	;; [unrolled: 2-line block ×3, first 2 shown]
	ds_read2_b32 v[18:19], v18 offset1:1
	ds_read2_b32 v[22:23], v22 offset1:1
	;; [unrolled: 1-line block ×3, first 2 shown]
	s_waitcnt lgkmcnt(3)
	v_fma_f32 v11, -v7, v11, v16
	v_fma_f32 v10, -v8, v10, v11
	s_waitcnt lgkmcnt(2)
	v_fma_f32 v10, -v9, v19, v10
	v_fma_f32 v10, -v12, v18, v10
	;; [unrolled: 3-line block ×3, first 2 shown]
	s_waitcnt lgkmcnt(0)
	v_fma_f32 v10, -v17, v35, v10
	s_sub_i32 s14, s9, 48
	v_fma_f32 v16, -v20, v34, v10
	v_mov_b32_e32 v10, s14
	ds_read2_b32 v[10:11], v10 offset1:1
	s_sub_i32 s14, s9, 56
	v_mov_b32_e32 v18, s14
	s_sub_i32 s14, s9, 64
	v_mov_b32_e32 v22, s14
	s_add_i32 s14, s9, 0xffffffb8
	v_mov_b32_e32 v33, s14
	ds_read2_b32 v[18:19], v18 offset1:1
	ds_read2_b32 v[22:23], v22 offset1:1
	;; [unrolled: 1-line block ×3, first 2 shown]
	s_waitcnt lgkmcnt(3)
	v_fma_f32 v11, -v21, v11, v16
	v_fma_f32 v10, -v24, v10, v11
	s_waitcnt lgkmcnt(2)
	v_fma_f32 v10, -v27, v19, v10
	v_fma_f32 v10, -v29, v18, v10
	;; [unrolled: 3-line block ×3, first 2 shown]
	s_waitcnt lgkmcnt(0)
	v_fma_f32 v10, -v28, v35, v10
	s_addk_i32 s9, 0xffb0
	v_fma_f32 v16, -v25, v34, v10
	v_mov_b32_e32 v10, s9
	s_add_i32 s8, s8, s6
	ds_read2_b32 v[10:11], v10 offset1:1
	s_add_i32 s9, s15, 0xfffff704
	s_lshl_b32 s8, s8, 2
	v_mov_b32_e32 v18, s9
	s_add_i32 s9, s8, -4
	v_mov_b32_e32 v22, s9
	s_add_i32 s9, s8, -12
	v_mov_b32_e32 v33, s9
	ds_read2_b32 v[18:19], v18 offset1:1
	ds_read2_b32 v[22:23], v22 offset1:1
	;; [unrolled: 1-line block ×3, first 2 shown]
	s_waitcnt lgkmcnt(3)
	v_fma_f32 v11, -v26, v11, v16
	v_fma_f32 v10, -v30, v10, v11
	s_waitcnt lgkmcnt(2)
	v_fma_f32 v10, -v14, v19, v10
	v_mul_f32_e32 v16, v18, v10
	ds_write_b32 v2, v16 offset:2304
	s_waitcnt lgkmcnt(2)
	v_fma_f32 v2, -v4, v23, v3
	v_fma_f32 v2, -v5, v22, v2
	s_waitcnt lgkmcnt(1)
	v_fma_f32 v2, -v6, v35, v2
	s_sub_i32 s9, s8, 20
	v_fma_f32 v18, -v7, v34, v2
	v_mov_b32_e32 v2, s9
	s_sub_i32 s9, s8, 28
	ds_read2_b32 v[2:3], v2 offset1:1
	v_mov_b32_e32 v4, s9
	s_sub_i32 s9, s8, 36
	v_mov_b32_e32 v6, s9
	s_sub_i32 s9, s8, 44
	v_mov_b32_e32 v10, s9
	ds_read2_b32 v[4:5], v4 offset1:1
	ds_read2_b32 v[6:7], v6 offset1:1
	ds_read2_b32 v[10:11], v10 offset1:1
	s_waitcnt lgkmcnt(3)
	v_fma_f32 v3, -v8, v3, v18
	v_fma_f32 v2, -v9, v2, v3
	s_waitcnt lgkmcnt(2)
	v_fma_f32 v2, -v12, v5, v2
	v_fma_f32 v2, -v13, v4, v2
	;; [unrolled: 3-line block ×3, first 2 shown]
	s_waitcnt lgkmcnt(0)
	v_fma_f32 v2, -v20, v11, v2
	s_sub_i32 s9, s8, 52
	v_fma_f32 v10, -v21, v10, v2
	v_mov_b32_e32 v2, s9
	s_sub_i32 s9, s8, 60
	ds_read2_b32 v[2:3], v2 offset1:1
	v_mov_b32_e32 v4, s9
	s_add_i32 s9, s8, 0xffffffbc
	v_mov_b32_e32 v6, s9
	s_add_i32 s9, s8, 0xffffffb4
	v_mov_b32_e32 v8, s9
	ds_read2_b32 v[4:5], v4 offset1:1
	ds_read2_b32 v[6:7], v6 offset1:1
	;; [unrolled: 1-line block ×3, first 2 shown]
	s_waitcnt lgkmcnt(3)
	v_fma_f32 v3, -v24, v3, v10
	v_fma_f32 v2, -v27, v2, v3
	s_waitcnt lgkmcnt(2)
	v_fma_f32 v2, -v29, v5, v2
	v_fma_f32 v2, -v32, v4, v2
	s_waitcnt lgkmcnt(1)
	v_fma_f32 v2, -v31, v7, v2
	s_addk_i32 s8, 0xffac
	v_fma_f32 v6, -v28, v6, v2
	v_mov_b32_e32 v2, s8
	s_add_i32 s8, s15, 0xfffff6a0
	ds_read2_b32 v[2:3], v2 offset1:1
	v_mov_b32_e32 v4, s8
	ds_read2_b32 v[4:5], v4 offset1:1
	s_waitcnt lgkmcnt(2)
	v_fma_f32 v6, -v25, v9, v6
	v_fma_f32 v6, -v26, v8, v6
	s_waitcnt lgkmcnt(1)
	v_fma_f32 v3, -v30, v3, v6
	v_fma_f32 v2, -v14, v2, v3
	s_waitcnt lgkmcnt(0)
	v_fma_f32 v2, -v16, v5, v2
	v_mul_f32_e32 v2, v4, v2
	s_sub_i32 s8, s26, 25
	ds_write_b32 v1, v2 offset:2304
.LBB28_30:
	s_cmp_gt_i32 s8, -1
	s_cbranch_scc0 .LBB28_49
; %bb.31:
	s_cmp_lt_u32 s8, 19
	s_cbranch_scc1 .LBB28_36
; %bb.32:
	s_mul_i32 s9, s8, 24
	s_sub_i32 s14, s9, 48
	v_add_lshl_u32 v1, s14, v0, 2
	s_add_i32 s14, s9, 0xffffffb8
	v_add_lshl_u32 v2, s14, v0, 2
	s_add_i32 s14, s9, 0xffffffa0
	;; [unrolled: 2-line block ×5, first 2 shown]
	v_add_lshl_u32 v30, s9, v0, 2
	s_sub_i32 s27, s9, 24
	v_add_lshl_u32 v6, s14, v0, 2
	s_add_i32 s14, s9, 0xffffff40
	v_add_lshl_u32 v31, s27, v0, 2
	ds_read_b32 v11, v30 offset:2304
	ds_read_b32 v12, v31 offset:2304
	;; [unrolled: 1-line block ×8, first 2 shown]
	v_add_lshl_u32 v1, s14, v0, 2
	s_add_i32 s14, s9, 0xffffff28
	v_add_lshl_u32 v2, s14, v0, 2
	s_add_i32 s14, s9, 0xffffff10
	s_add_i32 s25, s9, 0xfffffef8
	;; [unrolled: 1-line block ×6, first 2 shown]
	v_add_lshl_u32 v3, s14, v0, 2
	v_add_lshl_u32 v26, s25, v0, 2
	;; [unrolled: 1-line block ×6, first 2 shown]
	ds_read_b32 v24, v1 offset:2304
	ds_read_b32 v27, v2 offset:2304
	;; [unrolled: 1-line block ×8, first 2 shown]
	s_add_i32 s19, s9, 0xfffffe80
	v_add_lshl_u32 v6, s19, v0, 2
	s_add_i32 s15, s9, 0xfffffe68
	s_add_i32 s14, s9, 0xfffffe50
	s_addk_i32 s9, 0xfe38
	v_add_lshl_u32 v5, s15, v0, 2
	v_add_lshl_u32 v2, s14, v0, 2
	;; [unrolled: 1-line block ×3, first 2 shown]
	ds_read_b32 v9, v6 offset:2304
	ds_read_b32 v7, v5 offset:2304
	;; [unrolled: 1-line block ×4, first 2 shown]
	s_cmp_le_i32 s6, s8
	s_cbranch_scc1 .LBB28_35
; %bb.33:
	s_mul_i32 s18, s8, 0x60
	s_lshl_b32 s28, s26, 2
	s_add_i32 s18, s18, s28
	s_mul_i32 s28, s26, 0x60
	v_lshl_add_u32 v32, v0, 2, s28
	s_addk_i32 s18, 0xf8dc
	v_add_u32_e32 v32, 0x8a0, v32
	s_mov_b32 s28, s6
.LBB28_34:                              ; =>This Inner Loop Header: Depth=1
	v_mov_b32_e32 v42, s18
	v_add_u32_e32 v50, 0x400, v42
	v_add_u32_e32 v52, 0x200, v42
	ds_read_b32 v33, v32
	ds_read2_b32 v[34:35], v42 offset0:192 offset1:216
	ds_read2_b32 v[36:37], v42 offset0:144 offset1:168
	;; [unrolled: 1-line block ×4, first 2 shown]
	ds_read2_b32 v[42:43], v42 offset1:24
	ds_read2_b32 v[44:45], v50 offset0:176 offset1:200
	ds_read2_b32 v[46:47], v50 offset0:128 offset1:152
	;; [unrolled: 1-line block ×5, first 2 shown]
	s_add_i32 s28, s28, -1
	s_add_i32 s18, s18, -4
	v_add_u32_e32 v32, 0xffffffa0, v32
	s_cmp_gt_i32 s28, s8
	s_waitcnt lgkmcnt(9)
	v_fma_f32 v29, -v33, v35, v29
	v_fma_f32 v28, -v33, v34, v28
	s_waitcnt lgkmcnt(8)
	v_fma_f32 v25, -v33, v37, v25
	v_fma_f32 v23, -v33, v36, v23
	;; [unrolled: 3-line block ×10, first 2 shown]
	s_cbranch_scc1 .LBB28_34
.LBB28_35:
	s_mul_i32 s18, s8, 0x64
	s_add_i32 s28, s18, 0xffffff9c
	v_mov_b32_e32 v33, s28
	s_sub_i32 s28, s27, 24
	v_add_u32_e32 v32, 0x900, v30
	v_add_u32_e32 v30, 0x900, v31
	v_mov_b32_e32 v31, s18
	s_add_i32 s29, s28, s8
	s_lshl_b32 s29, s29, 2
	ds_read_b32 v31, v31
	v_mov_b32_e32 v36, s29
	s_add_i32 s29, s18, 0xffffff38
	v_mov_b32_e32 v37, s29
	ds_read2_b32 v[34:35], v33 offset1:1
	ds_read_b32 v33, v36
	ds_read2_b32 v[36:37], v37 offset1:1
	s_waitcnt lgkmcnt(3)
	v_mul_f32_e32 v11, v31, v11
	ds_write_b32 v32, v11
	s_waitcnt lgkmcnt(3)
	v_fma_f32 v12, -v11, v35, v12
	v_mul_f32_e32 v12, v34, v12
	ds_write_b32 v30, v12
	v_add_lshl_u32 v30, s28, v0, 2
	s_sub_i32 s28, s27, 48
	s_waitcnt lgkmcnt(3)
	v_fma_f32 v13, -v11, v33, v13
	s_add_i32 s29, s28, s8
	s_waitcnt lgkmcnt(2)
	v_fma_f32 v13, -v12, v37, v13
	s_lshl_b32 s29, s29, 2
	v_mul_f32_e32 v13, v36, v13
	s_add_i32 s29, s29, -4
	ds_write_b32 v30, v13 offset:2304
	v_mov_b32_e32 v30, s29
	s_add_i32 s29, s18, 0xfffffed4
	v_mov_b32_e32 v32, s29
	s_add_i32 s29, s27, 0xffffffb8
	s_add_i32 s30, s29, s8
	ds_read2_b32 v[30:31], v30 offset1:1
	s_lshl_b32 s30, s30, 2
	v_mov_b32_e32 v34, s30
	s_add_i32 s30, s30, -8
	v_mov_b32_e32 v35, s30
	ds_read2_b32 v[32:33], v32 offset1:1
	ds_read_b32 v36, v34
	ds_read2_b32 v[34:35], v35 offset1:1
	s_waitcnt lgkmcnt(3)
	v_fma_f32 v15, -v11, v31, v15
	v_fma_f32 v15, -v12, v30, v15
	s_waitcnt lgkmcnt(2)
	v_fma_f32 v15, -v13, v33, v15
	v_mul_f32_e32 v15, v32, v15
	v_add_lshl_u32 v30, s28, v0, 2
	s_add_i32 s28, s18, 0xfffffe70
	ds_write_b32 v30, v15 offset:2304
	v_mov_b32_e32 v30, s28
	s_add_i32 s28, s27, 0xffffffa0
	s_add_i32 s30, s28, s8
	s_waitcnt lgkmcnt(2)
	v_fma_f32 v16, -v11, v36, v16
	s_lshl_b32 s30, s30, 2
	s_waitcnt lgkmcnt(1)
	v_fma_f32 v16, -v12, v35, v16
	s_add_i32 s31, s30, -4
	s_add_i32 s30, s30, -12
	v_fma_f32 v16, -v13, v34, v16
	v_mov_b32_e32 v34, s30
	s_add_i32 s30, s18, 0xfffffe0c
	ds_read2_b32 v[30:31], v30 offset1:1
	v_mov_b32_e32 v32, s31
	v_mov_b32_e32 v36, s30
	ds_read2_b32 v[32:33], v32 offset1:1
	ds_read2_b32 v[34:35], v34 offset1:1
	;; [unrolled: 1-line block ×3, first 2 shown]
	s_add_i32 s25, s25, s8
	s_waitcnt lgkmcnt(3)
	v_fma_f32 v16, -v15, v31, v16
	s_waitcnt lgkmcnt(2)
	v_fma_f32 v17, -v11, v33, v17
	v_mul_f32_e32 v16, v30, v16
	v_add_lshl_u32 v30, s29, v0, 2
	v_fma_f32 v17, -v12, v32, v17
	ds_write_b32 v30, v16 offset:2304
	s_waitcnt lgkmcnt(2)
	v_fma_f32 v17, -v13, v35, v17
	v_add_lshl_u32 v30, s28, v0, 2
	s_add_i32 s28, s27, 0xffffff88
	v_fma_f32 v17, -v15, v34, v17
	s_add_i32 s29, s28, s8
	s_waitcnt lgkmcnt(1)
	v_fma_f32 v17, -v16, v37, v17
	s_lshl_b32 s29, s29, 2
	v_mul_f32_e32 v17, v36, v17
	s_add_i32 s30, s29, -4
	ds_write_b32 v30, v17 offset:2304
	v_mov_b32_e32 v30, s30
	ds_read2_b32 v[30:31], v30 offset1:1
	s_add_i32 s30, s29, -12
	s_sub_i32 s29, s29, 20
	v_mov_b32_e32 v32, s30
	v_mov_b32_e32 v34, s29
	ds_read2_b32 v[32:33], v32 offset1:1
	ds_read2_b32 v[34:35], v34 offset1:1
	s_waitcnt lgkmcnt(2)
	v_fma_f32 v20, -v11, v31, v20
	s_add_i32 s29, s18, 0xfffffda8
	v_fma_f32 v20, -v12, v30, v20
	v_mov_b32_e32 v30, s29
	ds_read_b32 v30, v30
	s_waitcnt lgkmcnt(2)
	v_fma_f32 v20, -v13, v33, v20
	v_fma_f32 v20, -v15, v32, v20
	s_waitcnt lgkmcnt(1)
	v_fma_f32 v20, -v16, v35, v20
	v_fma_f32 v20, -v17, v34, v20
	s_waitcnt lgkmcnt(0)
	v_mul_f32_e32 v20, v30, v20
	v_add_lshl_u32 v30, s28, v0, 2
	s_add_i32 s28, s27, 0xffffff70
	s_add_i32 s29, s28, s8
	s_lshl_b32 s29, s29, 2
	s_add_i32 s30, s29, -8
	ds_write_b32 v30, v20 offset:2304
	v_mov_b32_e32 v30, s29
	v_mov_b32_e32 v31, s30
	ds_read_b32 v36, v30
	ds_read2_b32 v[30:31], v31 offset1:1
	s_add_i32 s30, s29, -16
	s_sub_i32 s29, s29, 24
	v_mov_b32_e32 v32, s30
	v_mov_b32_e32 v34, s29
	ds_read2_b32 v[32:33], v32 offset1:1
	ds_read2_b32 v[34:35], v34 offset1:1
	s_waitcnt lgkmcnt(3)
	v_fma_f32 v22, -v11, v36, v22
	s_waitcnt lgkmcnt(2)
	v_fma_f32 v22, -v12, v31, v22
	s_add_i32 s29, s18, 0xfffffd44
	v_fma_f32 v22, -v13, v30, v22
	v_mov_b32_e32 v30, s29
	ds_read_b32 v30, v30
	s_waitcnt lgkmcnt(2)
	v_fma_f32 v22, -v15, v33, v22
	v_fma_f32 v22, -v16, v32, v22
	s_waitcnt lgkmcnt(1)
	v_fma_f32 v22, -v17, v35, v22
	v_fma_f32 v22, -v20, v34, v22
	s_waitcnt lgkmcnt(0)
	v_mul_f32_e32 v22, v30, v22
	v_add_lshl_u32 v30, s28, v0, 2
	s_add_i32 s28, s27, 0xffffff58
	s_add_i32 s29, s28, s8
	s_lshl_b32 s29, s29, 2
	s_add_i32 s30, s29, -4
	ds_write_b32 v30, v22 offset:2304
	v_mov_b32_e32 v30, s30
	ds_read2_b32 v[30:31], v30 offset1:1
	s_add_i32 s30, s29, -12
	v_mov_b32_e32 v32, s30
	s_sub_i32 s30, s29, 20
	s_sub_i32 s29, s29, 28
	v_mov_b32_e32 v34, s30
	v_mov_b32_e32 v36, s29
	ds_read2_b32 v[32:33], v32 offset1:1
	ds_read2_b32 v[34:35], v34 offset1:1
	;; [unrolled: 1-line block ×3, first 2 shown]
	s_waitcnt lgkmcnt(3)
	v_fma_f32 v24, -v11, v31, v24
	v_fma_f32 v24, -v12, v30, v24
	s_add_i32 s29, s18, 0xfffffce0
	s_waitcnt lgkmcnt(2)
	v_fma_f32 v24, -v13, v33, v24
	v_mov_b32_e32 v30, s29
	v_fma_f32 v24, -v15, v32, v24
	ds_read_b32 v30, v30
	s_waitcnt lgkmcnt(2)
	v_fma_f32 v24, -v16, v35, v24
	v_fma_f32 v24, -v17, v34, v24
	s_waitcnt lgkmcnt(1)
	v_fma_f32 v24, -v20, v37, v24
	v_fma_f32 v24, -v22, v36, v24
	s_waitcnt lgkmcnt(0)
	v_mul_f32_e32 v24, v30, v24
	v_add_lshl_u32 v30, s28, v0, 2
	s_add_i32 s28, s27, 0xffffff40
	s_add_i32 s29, s28, s8
	s_lshl_b32 s29, s29, 2
	s_add_i32 s30, s29, -8
	ds_write_b32 v30, v24 offset:2304
	v_mov_b32_e32 v30, s29
	v_mov_b32_e32 v31, s30
	ds_read_b32 v36, v30
	ds_read2_b32 v[30:31], v31 offset1:1
	s_add_i32 s30, s29, -16
	v_mov_b32_e32 v32, s30
	s_sub_i32 s30, s29, 24
	v_mov_b32_e32 v34, s30
	ds_read2_b32 v[32:33], v32 offset1:1
	ds_read2_b32 v[34:35], v34 offset1:1
	s_waitcnt lgkmcnt(3)
	v_fma_f32 v27, -v11, v36, v27
	s_waitcnt lgkmcnt(2)
	v_fma_f32 v27, -v12, v31, v27
	s_sub_i32 s29, s29, 32
	v_fma_f32 v27, -v13, v30, v27
	v_mov_b32_e32 v30, s29
	ds_read2_b32 v[30:31], v30 offset1:1
	s_waitcnt lgkmcnt(2)
	v_fma_f32 v27, -v15, v33, v27
	s_add_i32 s29, s18, 0xfffffc7c
	v_fma_f32 v27, -v16, v32, v27
	v_mov_b32_e32 v32, s29
	ds_read_b32 v32, v32
	s_waitcnt lgkmcnt(2)
	v_fma_f32 v27, -v17, v35, v27
	v_fma_f32 v27, -v20, v34, v27
	s_waitcnt lgkmcnt(1)
	v_fma_f32 v27, -v22, v31, v27
	s_addk_i32 s27, 0xff28
	v_fma_f32 v27, -v24, v30, v27
	v_add_lshl_u32 v30, s28, v0, 2
	s_add_i32 s28, s27, s8
	s_lshl_b32 s28, s28, 2
	s_waitcnt lgkmcnt(0)
	v_mul_f32_e32 v27, v32, v27
	s_add_i32 s29, s28, -8
	ds_write_b32 v30, v27 offset:2304
	v_mov_b32_e32 v30, s28
	v_mov_b32_e32 v31, s29
	s_add_i32 s29, s28, -16
	ds_read_b32 v36, v30
	ds_read2_b32 v[30:31], v31 offset1:1
	v_mov_b32_e32 v32, s29
	s_sub_i32 s29, s28, 24
	v_mov_b32_e32 v34, s29
	ds_read2_b32 v[32:33], v32 offset1:1
	ds_read2_b32 v[34:35], v34 offset1:1
	s_waitcnt lgkmcnt(3)
	v_fma_f32 v29, -v11, v36, v29
	s_waitcnt lgkmcnt(2)
	v_fma_f32 v29, -v12, v31, v29
	v_fma_f32 v29, -v13, v30, v29
	s_sub_i32 s28, s28, 32
	s_waitcnt lgkmcnt(1)
	v_fma_f32 v29, -v15, v33, v29
	v_mov_b32_e32 v30, s28
	v_fma_f32 v29, -v16, v32, v29
	s_add_i32 s28, s18, 0xfffffc18
	s_lshl_b32 s25, s25, 2
	ds_read2_b32 v[30:31], v30 offset1:1
	s_waitcnt lgkmcnt(1)
	v_fma_f32 v29, -v17, v35, v29
	v_mov_b32_e32 v32, s28
	s_add_i32 s28, s25, -4
	v_fma_f32 v29, -v20, v34, v29
	v_mov_b32_e32 v34, s28
	s_add_i32 s28, s25, -12
	v_mov_b32_e32 v36, s28
	ds_read2_b32 v[32:33], v32 offset1:1
	ds_read2_b32 v[34:35], v34 offset1:1
	;; [unrolled: 1-line block ×3, first 2 shown]
	s_waitcnt lgkmcnt(3)
	v_fma_f32 v29, -v22, v31, v29
	v_fma_f32 v29, -v24, v30, v29
	s_waitcnt lgkmcnt(2)
	v_fma_f32 v29, -v27, v33, v29
	v_mul_f32_e32 v29, v32, v29
	v_add_lshl_u32 v30, s27, v0, 2
	s_sub_i32 s27, s25, 20
	ds_write_b32 v30, v29 offset:2304
	v_mov_b32_e32 v30, s27
	s_waitcnt lgkmcnt(2)
	v_fma_f32 v28, -v11, v35, v28
	ds_read2_b32 v[30:31], v30 offset1:1
	v_fma_f32 v28, -v12, v34, v28
	s_sub_i32 s27, s25, 28
	s_sub_i32 s25, s25, 36
	s_waitcnt lgkmcnt(2)
	v_fma_f32 v28, -v13, v37, v28
	v_mov_b32_e32 v34, s25
	s_add_i32 s25, s18, 0xfffffbb4
	v_fma_f32 v28, -v15, v36, v28
	v_mov_b32_e32 v32, s27
	v_mov_b32_e32 v36, s25
	ds_read2_b32 v[32:33], v32 offset1:1
	ds_read2_b32 v[34:35], v34 offset1:1
	ds_read2_b32 v[36:37], v36 offset1:1
	s_waitcnt lgkmcnt(3)
	v_fma_f32 v28, -v16, v31, v28
	v_fma_f32 v28, -v17, v30, v28
	s_waitcnt lgkmcnt(2)
	v_fma_f32 v28, -v20, v33, v28
	v_fma_f32 v28, -v22, v32, v28
	;; [unrolled: 3-line block ×3, first 2 shown]
	s_add_i32 s24, s24, s8
	s_waitcnt lgkmcnt(0)
	v_fma_f32 v28, -v29, v37, v28
	s_lshl_b32 s24, s24, 2
	v_mul_f32_e32 v28, v36, v28
	s_add_i32 s25, s24, -8
	ds_write_b32 v26, v28 offset:2304
	v_mov_b32_e32 v26, s24
	v_mov_b32_e32 v30, s25
	s_add_i32 s25, s24, -16
	ds_read_b32 v26, v26
	ds_read2_b32 v[30:31], v30 offset1:1
	v_mov_b32_e32 v32, s25
	s_sub_i32 s25, s24, 24
	v_mov_b32_e32 v34, s25
	ds_read2_b32 v[32:33], v32 offset1:1
	ds_read2_b32 v[34:35], v34 offset1:1
	s_waitcnt lgkmcnt(3)
	v_fma_f32 v25, -v11, v26, v25
	s_waitcnt lgkmcnt(2)
	v_fma_f32 v25, -v12, v31, v25
	s_sub_i32 s25, s24, 32
	v_fma_f32 v25, -v13, v30, v25
	v_mov_b32_e32 v26, s25
	s_waitcnt lgkmcnt(1)
	v_fma_f32 v25, -v15, v33, v25
	ds_read2_b32 v[30:31], v26 offset1:1
	v_fma_f32 v25, -v16, v32, v25
	s_sub_i32 s24, s24, 40
	s_add_i32 s23, s23, s8
	s_waitcnt lgkmcnt(1)
	v_fma_f32 v25, -v17, v35, v25
	v_mov_b32_e32 v32, s24
	s_add_i32 s24, s18, 0xfffffb50
	s_lshl_b32 s23, s23, 2
	v_fma_f32 v25, -v20, v34, v25
	v_mov_b32_e32 v34, s24
	s_add_i32 s24, s23, -4
	v_mov_b32_e32 v26, s24
	ds_read2_b32 v[32:33], v32 offset1:1
	ds_read2_b32 v[34:35], v34 offset1:1
	;; [unrolled: 1-line block ×3, first 2 shown]
	s_waitcnt lgkmcnt(3)
	v_fma_f32 v25, -v22, v31, v25
	v_fma_f32 v25, -v24, v30, v25
	s_waitcnt lgkmcnt(2)
	v_fma_f32 v25, -v27, v33, v25
	v_fma_f32 v25, -v29, v32, v25
	s_waitcnt lgkmcnt(1)
	v_fma_f32 v25, -v28, v35, v25
	v_mul_f32_e32 v25, v34, v25
	s_add_i32 s24, s23, -12
	ds_write_b32 v21, v25 offset:2304
	s_waitcnt lgkmcnt(1)
	v_fma_f32 v21, -v11, v37, v23
	v_mov_b32_e32 v23, s24
	ds_read2_b32 v[30:31], v23 offset1:1
	s_sub_i32 s24, s23, 20
	v_mov_b32_e32 v26, s24
	s_sub_i32 s24, s23, 28
	v_mov_b32_e32 v34, s24
	s_sub_i32 s24, s23, 36
	v_fma_f32 v21, -v12, v36, v21
	v_mov_b32_e32 v23, s24
	ds_read2_b32 v[32:33], v26 offset1:1
	ds_read2_b32 v[34:35], v34 offset1:1
	ds_read2_b32 v[36:37], v23 offset1:1
	s_waitcnt lgkmcnt(3)
	v_fma_f32 v21, -v13, v31, v21
	v_fma_f32 v21, -v15, v30, v21
	s_sub_i32 s23, s23, 44
	s_waitcnt lgkmcnt(2)
	v_fma_f32 v21, -v16, v33, v21
	v_mov_b32_e32 v23, s23
	v_fma_f32 v21, -v17, v32, v21
	ds_read2_b32 v[30:31], v23 offset1:1
	s_waitcnt lgkmcnt(2)
	v_fma_f32 v21, -v20, v35, v21
	s_add_i32 s21, s21, s8
	v_fma_f32 v21, -v22, v34, v21
	s_add_i32 s23, s18, 0xfffffaec
	s_lshl_b32 s21, s21, 2
	s_waitcnt lgkmcnt(1)
	v_fma_f32 v21, -v24, v37, v21
	v_mov_b32_e32 v26, s23
	v_mov_b32_e32 v34, s21
	s_add_i32 s23, s21, -8
	v_fma_f32 v21, -v27, v36, v21
	v_mov_b32_e32 v23, s23
	ds_read2_b32 v[32:33], v26 offset1:1
	ds_read_b32 v26, v34
	ds_read2_b32 v[34:35], v23 offset1:1
	s_waitcnt lgkmcnt(3)
	v_fma_f32 v21, -v29, v31, v21
	v_fma_f32 v21, -v28, v30, v21
	s_waitcnt lgkmcnt(2)
	v_fma_f32 v21, -v25, v33, v21
	v_mul_f32_e32 v21, v32, v21
	ds_write_b32 v18, v21 offset:2304
	s_waitcnt lgkmcnt(2)
	v_fma_f32 v18, -v11, v26, v19
	s_waitcnt lgkmcnt(1)
	v_fma_f32 v18, -v12, v35, v18
	s_add_i32 s23, s21, -16
	v_fma_f32 v23, -v13, v34, v18
	v_mov_b32_e32 v18, s23
	s_sub_i32 s23, s21, 24
	ds_read2_b32 v[18:19], v18 offset1:1
	v_mov_b32_e32 v26, s23
	s_sub_i32 s23, s21, 32
	v_mov_b32_e32 v32, s23
	s_sub_i32 s23, s21, 40
	v_mov_b32_e32 v34, s23
	ds_read2_b32 v[30:31], v26 offset1:1
	ds_read2_b32 v[32:33], v32 offset1:1
	;; [unrolled: 1-line block ×3, first 2 shown]
	s_waitcnt lgkmcnt(3)
	v_fma_f32 v19, -v15, v19, v23
	v_fma_f32 v18, -v16, v18, v19
	s_waitcnt lgkmcnt(2)
	v_fma_f32 v18, -v17, v31, v18
	v_fma_f32 v18, -v20, v30, v18
	;; [unrolled: 3-line block ×3, first 2 shown]
	s_waitcnt lgkmcnt(0)
	v_fma_f32 v18, -v27, v35, v18
	s_sub_i32 s21, s21, 48
	v_fma_f32 v23, -v29, v34, v18
	v_mov_b32_e32 v18, s21
	s_add_i32 s20, s20, s8
	s_add_i32 s21, s18, 0xfffffa88
	s_lshl_b32 s20, s20, 2
	ds_read2_b32 v[18:19], v18 offset1:1
	v_mov_b32_e32 v26, s21
	s_add_i32 s21, s20, -4
	v_mov_b32_e32 v32, s21
	s_add_i32 s21, s20, -12
	v_mov_b32_e32 v34, s21
	ds_read2_b32 v[30:31], v26 offset1:1
	ds_read2_b32 v[32:33], v32 offset1:1
	ds_read2_b32 v[34:35], v34 offset1:1
	s_waitcnt lgkmcnt(3)
	v_fma_f32 v19, -v28, v19, v23
	v_fma_f32 v18, -v25, v18, v19
	s_waitcnt lgkmcnt(2)
	v_fma_f32 v18, -v21, v31, v18
	v_mul_f32_e32 v23, v30, v18
	s_sub_i32 s21, s20, 20
	ds_write_b32 v10, v23 offset:2304
	s_waitcnt lgkmcnt(2)
	v_fma_f32 v10, -v11, v33, v14
	v_mov_b32_e32 v14, s21
	ds_read2_b32 v[18:19], v14 offset1:1
	s_sub_i32 s21, s20, 28
	v_fma_f32 v10, -v12, v32, v10
	v_mov_b32_e32 v26, s21
	s_sub_i32 s21, s20, 36
	s_waitcnt lgkmcnt(2)
	v_fma_f32 v10, -v13, v35, v10
	v_mov_b32_e32 v32, s21
	s_sub_i32 s21, s20, 44
	v_fma_f32 v10, -v15, v34, v10
	v_mov_b32_e32 v14, s21
	ds_read2_b32 v[30:31], v26 offset1:1
	ds_read2_b32 v[32:33], v32 offset1:1
	;; [unrolled: 1-line block ×3, first 2 shown]
	s_waitcnt lgkmcnt(3)
	v_fma_f32 v10, -v16, v19, v10
	v_fma_f32 v10, -v17, v18, v10
	s_sub_i32 s20, s20, 52
	s_waitcnt lgkmcnt(2)
	v_fma_f32 v10, -v20, v31, v10
	v_mov_b32_e32 v14, s20
	v_fma_f32 v10, -v22, v30, v10
	ds_read2_b32 v[18:19], v14 offset1:1
	s_waitcnt lgkmcnt(2)
	v_fma_f32 v10, -v24, v33, v10
	s_add_i32 s19, s19, s8
	v_fma_f32 v10, -v27, v32, v10
	s_add_i32 s20, s18, 0xfffffa24
	s_lshl_b32 s19, s19, 2
	s_waitcnt lgkmcnt(1)
	v_fma_f32 v10, -v29, v35, v10
	v_mov_b32_e32 v26, s20
	v_mov_b32_e32 v32, s19
	s_add_i32 s20, s19, -8
	v_fma_f32 v10, -v28, v34, v10
	v_mov_b32_e32 v14, s20
	ds_read2_b32 v[30:31], v26 offset1:1
	ds_read_b32 v26, v32
	ds_read2_b32 v[32:33], v14 offset1:1
	s_waitcnt lgkmcnt(3)
	v_fma_f32 v10, -v25, v19, v10
	v_fma_f32 v10, -v21, v18, v10
	s_waitcnt lgkmcnt(2)
	v_fma_f32 v10, -v23, v31, v10
	v_mul_f32_e32 v10, v30, v10
	ds_write_b32 v8, v10 offset:2304
	s_waitcnt lgkmcnt(2)
	v_fma_f32 v8, -v11, v26, v9
	s_waitcnt lgkmcnt(1)
	v_fma_f32 v8, -v12, v33, v8
	s_add_i32 s20, s19, -16
	v_fma_f32 v14, -v13, v32, v8
	v_mov_b32_e32 v8, s20
	s_sub_i32 s20, s19, 24
	ds_read2_b32 v[8:9], v8 offset1:1
	v_mov_b32_e32 v18, s20
	s_sub_i32 s20, s19, 32
	v_mov_b32_e32 v26, s20
	s_sub_i32 s20, s19, 40
	v_mov_b32_e32 v32, s20
	ds_read2_b32 v[18:19], v18 offset1:1
	ds_read2_b32 v[30:31], v26 offset1:1
	;; [unrolled: 1-line block ×3, first 2 shown]
	s_waitcnt lgkmcnt(3)
	v_fma_f32 v9, -v15, v9, v14
	v_fma_f32 v8, -v16, v8, v9
	s_waitcnt lgkmcnt(2)
	v_fma_f32 v8, -v17, v19, v8
	v_fma_f32 v8, -v20, v18, v8
	;; [unrolled: 3-line block ×3, first 2 shown]
	s_waitcnt lgkmcnt(0)
	v_fma_f32 v8, -v27, v33, v8
	s_sub_i32 s20, s19, 48
	v_fma_f32 v14, -v29, v32, v8
	v_mov_b32_e32 v8, s20
	s_sub_i32 s19, s19, 56
	s_add_i32 s15, s15, s8
	ds_read2_b32 v[8:9], v8 offset1:1
	v_mov_b32_e32 v18, s19
	s_add_i32 s19, s18, 0xfffff9c0
	s_lshl_b32 s15, s15, 2
	v_mov_b32_e32 v26, s19
	s_add_i32 s19, s15, -4
	v_mov_b32_e32 v32, s19
	ds_read2_b32 v[18:19], v18 offset1:1
	ds_read2_b32 v[30:31], v26 offset1:1
	;; [unrolled: 1-line block ×3, first 2 shown]
	s_waitcnt lgkmcnt(3)
	v_fma_f32 v9, -v28, v9, v14
	v_fma_f32 v8, -v25, v8, v9
	s_waitcnt lgkmcnt(2)
	v_fma_f32 v8, -v21, v19, v8
	v_fma_f32 v8, -v23, v18, v8
	s_waitcnt lgkmcnt(1)
	v_fma_f32 v8, -v10, v31, v8
	v_mul_f32_e32 v14, v30, v8
	ds_write_b32 v6, v14 offset:2304
	s_waitcnt lgkmcnt(1)
	v_fma_f32 v6, -v11, v33, v7
	s_add_i32 s19, s15, -12
	v_fma_f32 v26, -v12, v32, v6
	v_mov_b32_e32 v6, s19
	s_sub_i32 s19, s15, 20
	ds_read2_b32 v[6:7], v6 offset1:1
	v_mov_b32_e32 v8, s19
	s_sub_i32 s19, s15, 28
	v_mov_b32_e32 v18, s19
	s_sub_i32 s19, s15, 36
	v_mov_b32_e32 v30, s19
	ds_read2_b32 v[8:9], v8 offset1:1
	ds_read2_b32 v[18:19], v18 offset1:1
	;; [unrolled: 1-line block ×3, first 2 shown]
	s_waitcnt lgkmcnt(3)
	v_fma_f32 v7, -v13, v7, v26
	v_fma_f32 v6, -v15, v6, v7
	s_waitcnt lgkmcnt(2)
	v_fma_f32 v6, -v16, v9, v6
	v_fma_f32 v6, -v17, v8, v6
	;; [unrolled: 3-line block ×3, first 2 shown]
	s_waitcnt lgkmcnt(0)
	v_fma_f32 v6, -v24, v31, v6
	s_sub_i32 s19, s15, 44
	v_fma_f32 v26, -v27, v30, v6
	v_mov_b32_e32 v6, s19
	ds_read2_b32 v[6:7], v6 offset1:1
	s_sub_i32 s19, s15, 52
	s_sub_i32 s15, s15, 60
	v_mov_b32_e32 v18, s15
	s_add_i32 s15, s18, 0xfffff95c
	v_mov_b32_e32 v8, s19
	v_mov_b32_e32 v30, s15
	ds_read2_b32 v[8:9], v8 offset1:1
	ds_read2_b32 v[18:19], v18 offset1:1
	ds_read2_b32 v[30:31], v30 offset1:1
	s_waitcnt lgkmcnt(3)
	v_fma_f32 v7, -v29, v7, v26
	v_fma_f32 v6, -v28, v6, v7
	s_waitcnt lgkmcnt(2)
	v_fma_f32 v6, -v25, v9, v6
	v_fma_f32 v6, -v21, v8, v6
	;; [unrolled: 3-line block ×3, first 2 shown]
	s_add_i32 s14, s14, s8
	s_waitcnt lgkmcnt(0)
	v_fma_f32 v6, -v14, v31, v6
	s_lshl_b32 s14, s14, 2
	v_mul_f32_e32 v26, v30, v6
	s_add_i32 s15, s14, -8
	ds_write_b32 v5, v26 offset:2304
	v_mov_b32_e32 v5, s14
	v_mov_b32_e32 v6, s15
	s_add_i32 s15, s14, -16
	ds_read_b32 v5, v5
	ds_read2_b32 v[6:7], v6 offset1:1
	v_mov_b32_e32 v8, s15
	s_sub_i32 s15, s14, 24
	v_mov_b32_e32 v18, s15
	ds_read2_b32 v[8:9], v8 offset1:1
	ds_read2_b32 v[18:19], v18 offset1:1
	s_waitcnt lgkmcnt(3)
	v_fma_f32 v4, -v11, v5, v4
	s_waitcnt lgkmcnt(2)
	v_fma_f32 v4, -v12, v7, v4
	v_fma_f32 v4, -v13, v6, v4
	s_waitcnt lgkmcnt(1)
	v_fma_f32 v4, -v15, v9, v4
	;; [unrolled: 3-line block ×3, first 2 shown]
	s_sub_i32 s15, s14, 32
	v_fma_f32 v30, -v20, v18, v4
	v_mov_b32_e32 v4, s15
	s_sub_i32 s15, s14, 40
	ds_read2_b32 v[4:5], v4 offset1:1
	v_mov_b32_e32 v6, s15
	s_sub_i32 s15, s14, 48
	v_mov_b32_e32 v8, s15
	s_sub_i32 s15, s14, 56
	v_mov_b32_e32 v18, s15
	ds_read2_b32 v[6:7], v6 offset1:1
	ds_read2_b32 v[8:9], v8 offset1:1
	;; [unrolled: 1-line block ×3, first 2 shown]
	s_waitcnt lgkmcnt(3)
	v_fma_f32 v5, -v22, v5, v30
	v_fma_f32 v4, -v24, v4, v5
	s_waitcnt lgkmcnt(2)
	v_fma_f32 v4, -v27, v7, v4
	v_fma_f32 v4, -v29, v6, v4
	;; [unrolled: 3-line block ×3, first 2 shown]
	s_waitcnt lgkmcnt(0)
	v_fma_f32 v4, -v21, v19, v4
	s_sub_i32 s14, s14, 64
	v_fma_f32 v30, -v23, v18, v4
	v_mov_b32_e32 v4, s14
	s_add_i32 s9, s9, s8
	s_add_i32 s14, s18, 0xfffff8f8
	s_lshl_b32 s9, s9, 2
	ds_read2_b32 v[4:5], v4 offset1:1
	v_mov_b32_e32 v6, s14
	s_add_i32 s14, s9, -4
	v_mov_b32_e32 v8, s14
	s_add_i32 s14, s9, -12
	v_mov_b32_e32 v18, s14
	ds_read2_b32 v[6:7], v6 offset1:1
	ds_read2_b32 v[8:9], v8 offset1:1
	;; [unrolled: 1-line block ×3, first 2 shown]
	s_waitcnt lgkmcnt(3)
	v_fma_f32 v5, -v10, v5, v30
	v_fma_f32 v4, -v14, v4, v5
	s_waitcnt lgkmcnt(2)
	v_fma_f32 v4, -v26, v7, v4
	v_mul_f32_e32 v30, v6, v4
	ds_write_b32 v2, v30 offset:2304
	s_waitcnt lgkmcnt(2)
	v_fma_f32 v2, -v11, v9, v3
	v_fma_f32 v2, -v12, v8, v2
	s_waitcnt lgkmcnt(1)
	v_fma_f32 v2, -v13, v19, v2
	s_sub_i32 s14, s9, 20
	v_fma_f32 v11, -v15, v18, v2
	v_mov_b32_e32 v2, s14
	s_sub_i32 s14, s9, 28
	ds_read2_b32 v[2:3], v2 offset1:1
	v_mov_b32_e32 v4, s14
	s_sub_i32 s14, s9, 36
	v_mov_b32_e32 v6, s14
	s_sub_i32 s14, s9, 44
	v_mov_b32_e32 v8, s14
	ds_read2_b32 v[4:5], v4 offset1:1
	ds_read2_b32 v[6:7], v6 offset1:1
	;; [unrolled: 1-line block ×3, first 2 shown]
	s_waitcnt lgkmcnt(3)
	v_fma_f32 v3, -v16, v3, v11
	v_fma_f32 v2, -v17, v2, v3
	s_waitcnt lgkmcnt(2)
	v_fma_f32 v2, -v20, v5, v2
	v_fma_f32 v2, -v22, v4, v2
	;; [unrolled: 3-line block ×3, first 2 shown]
	s_waitcnt lgkmcnt(0)
	v_fma_f32 v2, -v29, v9, v2
	s_sub_i32 s14, s9, 52
	v_fma_f32 v11, -v28, v8, v2
	v_mov_b32_e32 v2, s14
	ds_read2_b32 v[2:3], v2 offset1:1
	s_sub_i32 s14, s9, 60
	s_addk_i32 s9, 0xffbc
	v_mov_b32_e32 v6, s9
	s_add_i32 s9, s18, 0xfffff894
	v_mov_b32_e32 v4, s14
	v_mov_b32_e32 v8, s9
	ds_read2_b32 v[4:5], v4 offset1:1
	ds_read2_b32 v[6:7], v6 offset1:1
	;; [unrolled: 1-line block ×3, first 2 shown]
	s_waitcnt lgkmcnt(3)
	v_fma_f32 v3, -v25, v3, v11
	v_fma_f32 v2, -v21, v2, v3
	s_waitcnt lgkmcnt(2)
	v_fma_f32 v2, -v23, v5, v2
	v_fma_f32 v2, -v10, v4, v2
	;; [unrolled: 3-line block ×3, first 2 shown]
	s_waitcnt lgkmcnt(0)
	v_fma_f32 v2, -v30, v9, v2
	v_mul_f32_e32 v2, v8, v2
	s_sub_i32 s8, s8, 20
	ds_write_b32 v1, v2 offset:2304
.LBB28_36:
	s_cmp_lt_i32 s8, 0
	s_cbranch_scc1 .LBB28_49
; %bb.37:
	s_bitcmp1_b32 s8, 0
	s_cselect_b64 s[14:15], -1, 0
	s_and_b64 vcc, exec, s[14:15]
	s_mov_b32 s9, s8
	s_cbranch_vccnz .LBB28_42
; %bb.38:
	s_mul_i32 s9, s8, 24
	v_add_lshl_u32 v2, s9, v0, 2
	ds_read_b32 v1, v2 offset:2304
	s_cmp_le_i32 s6, s8
	s_cbranch_scc1 .LBB28_41
; %bb.39:
	s_mul_i32 s9, s8, 0x60
	s_lshl_b32 s14, s26, 2
	s_add_i32 s9, s9, s14
	s_mul_i32 s14, s26, 0x60
	v_lshl_add_u32 v3, v0, 2, s14
	s_add_i32 s9, s9, -4
	v_add_u32_e32 v3, 0x8a0, v3
	s_mov_b32 s14, s6
.LBB28_40:                              ; =>This Inner Loop Header: Depth=1
	v_mov_b32_e32 v5, s9
	ds_read_b32 v4, v3
	ds_read_b32 v5, v5
	s_add_i32 s14, s14, -1
	s_add_i32 s9, s9, -4
	v_add_u32_e32 v3, 0xffffffa0, v3
	s_cmp_gt_i32 s14, s8
	s_waitcnt lgkmcnt(0)
	v_fma_f32 v1, -v4, v5, v1
	s_cbranch_scc1 .LBB28_40
.LBB28_41:
	s_mul_i32 s9, s8, 0x64
	v_mov_b32_e32 v3, s9
	ds_read_b32 v3, v3
	v_add_u32_e32 v2, 0x900, v2
	s_add_i32 s9, s8, -1
	s_waitcnt lgkmcnt(0)
	v_mul_f32_e32 v1, v3, v1
	ds_write_b32 v2, v1
.LBB28_42:
	s_cmp_eq_u32 s8, 0
	s_cbranch_scc1 .LBB28_49
; %bb.43:
	s_mul_i32 s8, s9, 0x60
	s_lshl_b32 s14, s26, 2
	s_mul_i32 s15, s26, 0x60
	s_add_i32 s14, s8, s14
	v_lshl_add_u32 v1, v0, 2, s15
	s_add_i32 s8, s14, -4
	v_add_u32_e32 v1, 0x8a0, v1
	s_addk_i32 s14, 0xff9c
	s_branch .LBB28_45
.LBB28_44:                              ;   in Loop: Header=BB28_45 Depth=1
	s_addk_i32 s15, 0xff9c
	v_add_u32_e32 v2, 0x900, v4
	v_mov_b32_e32 v4, s15
	ds_read_b32 v4, v4
	s_add_i32 s15, s9, -2
	s_addk_i32 s8, 0xff40
	s_addk_i32 s14, 0xff40
	s_cmp_lt_i32 s9, 2
	s_waitcnt lgkmcnt(0)
	v_mul_f32_e32 v3, v4, v3
	s_mov_b32 s9, s15
	ds_write_b32 v2, v3
	s_cbranch_scc1 .LBB28_49
.LBB28_45:                              ; =>This Loop Header: Depth=1
                                        ;     Child Loop BB28_46 Depth 2
                                        ;     Child Loop BB28_48 Depth 2
	s_mul_i32 s18, s9, 24
	v_add_lshl_u32 v3, s18, v0, 2
	ds_read_b32 v2, v3 offset:2304
	s_cmp_le_i32 s6, s9
	v_mov_b32_e32 v4, v1
	s_mov_b32 s15, s8
	s_mov_b32 s19, s6
	s_cbranch_scc1 .LBB28_47
.LBB28_46:                              ;   Parent Loop BB28_45 Depth=1
                                        ; =>  This Inner Loop Header: Depth=2
	v_mov_b32_e32 v6, s15
	ds_read_b32 v5, v4
	ds_read_b32 v6, v6
	s_add_i32 s19, s19, -1
	s_add_i32 s15, s15, -4
	v_add_u32_e32 v4, 0xffffffa0, v4
	s_cmp_gt_i32 s19, s9
	s_waitcnt lgkmcnt(0)
	v_fma_f32 v2, -v5, v6, v2
	s_cbranch_scc1 .LBB28_46
.LBB28_47:                              ;   in Loop: Header=BB28_45 Depth=1
	s_mul_i32 s15, s9, 0x64
	v_add_u32_e32 v5, 0x900, v3
	v_mov_b32_e32 v3, s15
	ds_read_b32 v6, v3
	s_sub_i32 s18, s18, 24
	v_add_lshl_u32 v4, s18, v0, 2
	ds_read_b32 v3, v4 offset:2304
	s_cmp_le_i32 s26, s9
	s_waitcnt lgkmcnt(1)
	v_mul_f32_e32 v2, v6, v2
	ds_write_b32 v5, v2
	v_mov_b32_e32 v2, v1
	s_mov_b32 s18, s14
	s_mov_b32 s19, s26
	s_cbranch_scc1 .LBB28_44
.LBB28_48:                              ;   Parent Loop BB28_45 Depth=1
                                        ; =>  This Inner Loop Header: Depth=2
	v_mov_b32_e32 v6, s18
	ds_read_b32 v5, v2
	ds_read_b32 v6, v6
	s_add_i32 s19, s19, -1
	s_add_i32 s18, s18, -4
	v_add_u32_e32 v2, 0xffffffa0, v2
	s_cmp_gt_i32 s19, s9
	s_waitcnt lgkmcnt(0)
	v_fma_f32 v3, -v5, v6, v3
	s_cbranch_scc1 .LBB28_48
	s_branch .LBB28_44
.LBB28_49:
	s_mov_b64 s[8:9], 0
.LBB28_50:
	s_and_b64 vcc, exec, s[8:9]
	s_cbranch_vccz .LBB28_75
; %bb.51:
	s_cmp_gt_i32 s10, 23
	s_cselect_b64 s[8:9], -1, 0
	s_mov_b32 s6, 0
	s_and_b64 vcc, exec, s[8:9]
	s_cbranch_vccz .LBB28_53
; %bb.52:
	v_lshlrev_b32_e32 v1, 2, v0
	v_add_u32_e32 v57, 0x800, v1
	v_add_u32_e32 v56, 0xc00, v1
	v_mov_b32_e32 v50, 0
	ds_read2_b32 v[6:7], v57 offset0:64 offset1:88
	ds_read2_b32 v[10:11], v57 offset0:112 offset1:136
	;; [unrolled: 1-line block ×4, first 2 shown]
	ds_read2_b32 v[36:37], v56 offset1:24
	ds_read2_b32 v[34:35], v56 offset0:48 offset1:72
	ds_read2_b32 v[32:33], v56 offset0:96 offset1:120
	;; [unrolled: 1-line block ×4, first 2 shown]
	ds_read_b128 v[2:5], v50
	v_add_u32_e32 v54, 0xe00, v1
	v_add_u32_e32 v1, 0x1000, v1
	ds_read2_b32 v[26:27], v54 offset0:112 offset1:136
	ds_read2_b32 v[24:25], v1 offset0:32 offset1:56
	;; [unrolled: 1-line block ×3, first 2 shown]
	ds_read_b128 v[14:17], v50 offset:16
	ds_read2_b32 v[8:9], v50 offset0:25 offset1:26
	s_waitcnt lgkmcnt(5)
	v_mul_f32_e32 v51, v2, v6
	v_fma_f32 v6, -v51, v3, v7
	ds_read2_b32 v[2:3], v50 offset0:27 offset1:28
	ds_read2_b32 v[46:47], v50 offset0:29 offset1:30
	ds_read2_b32 v[38:39], v50 offset0:31 offset1:32
	ds_read2_b64 v[58:61], v50 offset0:25 offset1:26
	s_waitcnt lgkmcnt(4)
	v_mul_f32_e32 v52, v8, v6
	v_fma_f32 v4, -v51, v4, v10
	v_fma_f32 v4, -v52, v9, v4
	ds_read2_b64 v[6:9], v50 offset0:27 offset1:28
	s_waitcnt lgkmcnt(1)
	v_mul_f32_e32 v53, v58, v4
	v_fma_f32 v4, -v51, v5, v11
	v_fma_f32 v2, -v52, v2, v4
	ds_read2_b32 v[4:5], v50 offset0:75 offset1:76
	ds_write2_b32 v57, v51, v52 offset0:64 offset1:88
	v_fma_f32 v2, -v53, v59, v2
	ds_read2_b32 v[48:49], v50 offset0:77 offset1:78
	ds_read2_b32 v[42:43], v50 offset0:79 offset1:80
	;; [unrolled: 1-line block ×3, first 2 shown]
	ds_read_b128 v[18:21], v50 offset:400
	ds_read_b128 v[10:13], v50 offset:416
	s_waitcnt lgkmcnt(6)
	v_mul_f32_e32 v55, v4, v2
	v_fma_f32 v2, -v51, v14, v62
	v_fma_f32 v2, -v52, v3, v2
	;; [unrolled: 1-line block ×4, first 2 shown]
	s_waitcnt lgkmcnt(1)
	v_mul_f32_e32 v18, v18, v2
	v_fma_f32 v2, -v51, v15, v63
	ds_read2_b32 v[14:15], v50 offset0:125 offset1:126
	v_fma_f32 v2, -v52, v46, v2
	v_fma_f32 v2, -v53, v61, v2
	;; [unrolled: 1-line block ×4, first 2 shown]
	ds_read_b128 v[2:5], v50 offset:464
	s_waitcnt lgkmcnt(1)
	v_mul_f32_e32 v19, v14, v19
	v_fma_f32 v14, -v51, v16, v44
	v_fma_f32 v14, -v52, v47, v14
	ds_read2_b64 v[58:61], v50 offset0:75 offset1:76
	v_fma_f32 v6, -v53, v6, v14
	v_fma_f32 v6, -v55, v49, v6
	;; [unrolled: 1-line block ×4, first 2 shown]
	s_waitcnt lgkmcnt(0)
	v_mul_f32_e32 v108, v58, v6
	v_fma_f32 v6, -v51, v17, v45
	v_fma_f32 v6, -v52, v38, v6
	;; [unrolled: 1-line block ×3, first 2 shown]
	ds_read2_b64 v[46:49], v50 offset0:77 offset1:78
	v_fma_f32 v14, -v55, v42, v6
	ds_read2_b32 v[6:7], v50 offset0:127 offset1:128
	ds_write2_b32 v57, v53, v55 offset0:112 offset1:136
	ds_write2_b32 v57, v18, v19 offset0:160 offset1:184
	v_fma_f32 v14, -v18, v21, v14
	ds_read2_b32 v[20:21], v50 offset0:129 offset1:130
	ds_read2_b32 v[74:75], v50 offset0:131 offset1:132
	;; [unrolled: 1-line block ×3, first 2 shown]
	s_waitcnt lgkmcnt(5)
	v_fma_f32 v6, -v19, v6, v14
	ds_read2_b32 v[16:17], v50 offset0:175 offset1:176
	ds_read_b128 v[62:65], v50 offset:32
	ds_read2_b32 v[70:71], v50 offset0:177 offset1:178
	ds_read2_b32 v[76:77], v50 offset0:179 offset1:180
	ds_read_b64 v[14:15], v50 offset:664
	v_fma_f32 v6, -v108, v59, v6
	s_waitcnt lgkmcnt(4)
	v_mul_f32_e32 v109, v16, v6
	s_waitcnt lgkmcnt(3)
	v_fma_f32 v6, -v51, v62, v36
	v_fma_f32 v6, -v52, v39, v6
	;; [unrolled: 1-line block ×4, first 2 shown]
	ds_read_b128 v[42:45], v50 offset:800
	ds_read_b128 v[66:69], v50 offset:48
	ds_read2_b32 v[58:59], v50 offset0:33 offset1:34
	v_fma_f32 v6, -v18, v10, v6
	v_fma_f32 v6, -v19, v7, v6
	;; [unrolled: 1-line block ×4, first 2 shown]
	ds_read2_b32 v[16:17], v50 offset0:189 offset1:190
	s_waitcnt lgkmcnt(3)
	v_mul_f32_e32 v110, v42, v6
	v_fma_f32 v6, -v51, v63, v37
	s_waitcnt lgkmcnt(1)
	v_fma_f32 v6, -v52, v58, v6
	v_fma_f32 v6, -v53, v9, v6
	ds_write2_b32 v57, v108, v109 offset0:208 offset1:232
	v_fma_f32 v6, -v55, v40, v6
	ds_read2_b32 v[62:63], v50 offset0:35 offset1:36
	ds_read2_b32 v[84:85], v50 offset0:37 offset1:38
	;; [unrolled: 1-line block ×3, first 2 shown]
	v_fma_f32 v6, -v18, v11, v6
	ds_read2_b32 v[10:11], v50 offset0:225 offset1:226
	v_fma_f32 v6, -v19, v20, v6
	v_fma_f32 v6, -v108, v61, v6
	ds_read2_b64 v[36:39], v50 offset0:29 offset1:30
	v_fma_f32 v6, -v109, v70, v6
	v_fma_f32 v20, -v110, v43, v6
	s_waitcnt lgkmcnt(1)
	v_mul_f32_e32 v111, v10, v20
	v_fma_f32 v10, -v51, v64, v34
	v_fma_f32 v10, -v52, v59, v10
	ds_read2_b64 v[58:61], v50 offset0:31 offset1:32
	s_waitcnt lgkmcnt(1)
	v_fma_f32 v10, -v53, v36, v10
	v_fma_f32 v10, -v55, v41, v10
	;; [unrolled: 1-line block ×4, first 2 shown]
	ds_read2_b64 v[40:43], v50 offset0:125 offset1:126
	v_fma_f32 v10, -v108, v46, v10
	v_fma_f32 v10, -v109, v71, v10
	ds_read2_b64 v[70:73], v50 offset0:127 offset1:128
	ds_read_b128 v[6:9], v50 offset:848
	ds_read2_b32 v[20:21], v50 offset0:83 offset1:84
	v_fma_f32 v10, -v110, v44, v10
	v_fma_f32 v10, -v111, v11, v10
	s_waitcnt lgkmcnt(3)
	v_mul_f32_e32 v112, v40, v10
	v_fma_f32 v10, -v51, v65, v35
	v_fma_f32 v10, -v52, v62, v10
	;; [unrolled: 1-line block ×3, first 2 shown]
	ds_write2_b32 v56, v110, v111 offset1:24
	s_waitcnt lgkmcnt(1)
	v_fma_f32 v10, -v55, v20, v10
	ds_read2_b32 v[86:87], v50 offset0:85 offset1:86
	ds_read2_b32 v[92:93], v50 offset0:87 offset1:88
	;; [unrolled: 1-line block ×3, first 2 shown]
	v_fma_f32 v10, -v18, v13, v10
	ds_read2_b32 v[78:79], v50 offset0:227 offset1:228
	v_fma_f32 v10, -v19, v74, v10
	v_fma_f32 v10, -v108, v47, v10
	v_fma_f32 v10, -v109, v76, v10
	v_fma_f32 v10, -v110, v45, v10
	s_waitcnt lgkmcnt(0)
	v_fma_f32 v10, -v111, v78, v10
	v_mov_b32_e32 v11, 0x44c
	ds_read2_b32 v[88:89], v50 offset0:229 offset1:230
	ds_read2_b32 v[96:97], v50 offset0:231 offset1:232
	;; [unrolled: 1-line block ×3, first 2 shown]
	v_fma_f32 v10, -v112, v41, v10
	ds_read2_b32 v[40:41], v11 offset1:1
	v_mov_b32_e32 v12, 0x454
	v_mov_b32_e32 v11, 0x514
	ds_read2_b32 v[100:101], v12 offset1:1
	ds_read2_b32 v[102:103], v11 offset1:1
	ds_read_b32 v113, v50 offset:2300
	v_fma_f32 v20, -v51, v66, v32
	s_waitcnt lgkmcnt(3)
	v_mul_f32_e32 v114, v40, v10
	ds_read_b128 v[10:13], v50 offset:432
	ds_read_b128 v[34:37], v50 offset:448
	v_fma_f32 v20, -v52, v63, v20
	v_fma_f32 v20, -v53, v38, v20
	;; [unrolled: 1-line block ×3, first 2 shown]
	ds_read_b128 v[44:47], v50 offset:816
	s_waitcnt lgkmcnt(2)
	v_fma_f32 v10, -v18, v10, v20
	v_fma_f32 v10, -v19, v75, v10
	;; [unrolled: 1-line block ×4, first 2 shown]
	ds_read_b128 v[74:77], v50 offset:1200
	s_waitcnt lgkmcnt(1)
	v_fma_f32 v10, -v110, v44, v10
	v_fma_f32 v10, -v111, v79, v10
	;; [unrolled: 1-line block ×4, first 2 shown]
	s_waitcnt lgkmcnt(0)
	v_mul_f32_e32 v115, v74, v10
	v_fma_f32 v10, -v51, v67, v33
	v_fma_f32 v10, -v52, v84, v10
	v_fma_f32 v10, -v53, v39, v10
	v_fma_f32 v10, -v55, v86, v10
	v_fma_f32 v10, -v18, v11, v10
	ds_read_b128 v[62:65], v50 offset:832
	v_fma_f32 v20, -v19, v82, v10
	ds_read2_b32 v[10:11], v50 offset0:181 offset1:182
	v_fma_f32 v32, -v108, v49, v20
	ds_write2_b32 v56, v112, v114 offset0:48 offset1:72
	ds_read_b128 v[78:81], v50 offset:1216
	ds_read2_b32 v[20:21], v50 offset0:183 offset1:184
	ds_read2_b32 v[104:105], v50 offset0:185 offset1:186
	;; [unrolled: 1-line block ×3, first 2 shown]
	s_waitcnt lgkmcnt(5)
	v_fma_f32 v10, -v109, v10, v32
	v_fma_f32 v10, -v110, v45, v10
	;; [unrolled: 1-line block ×6, first 2 shown]
	v_mul_f32_e32 v102, v102, v10
	v_fma_f32 v10, -v51, v68, v30
	v_fma_f32 v10, -v52, v85, v10
	ds_read2_b64 v[38:41], v50 offset0:79 offset1:80
	ds_read2_b32 v[48:49], v50 offset0:135 offset1:136
	v_fma_f32 v10, -v53, v58, v10
	v_fma_f32 v10, -v55, v87, v10
	;; [unrolled: 1-line block ×4, first 2 shown]
	s_waitcnt lgkmcnt(1)
	v_fma_f32 v10, -v108, v38, v10
	v_fma_f32 v10, -v109, v11, v10
	;; [unrolled: 1-line block ×4, first 2 shown]
	ds_read2_b64 v[82:85], v50 offset0:175 offset1:176
	v_fma_f32 v10, -v112, v70, v10
	v_fma_f32 v10, -v114, v101, v10
	;; [unrolled: 1-line block ×4, first 2 shown]
	s_waitcnt lgkmcnt(0)
	v_mul_f32_e32 v103, v82, v10
	v_fma_f32 v10, -v51, v69, v31
	v_fma_f32 v10, -v52, v90, v10
	;; [unrolled: 1-line block ×5, first 2 shown]
	ds_write2_b32 v56, v115, v102 offset0:96 offset1:120
	v_fma_f32 v10, -v19, v48, v10
	v_mov_b32_e32 v11, 0x45c
	ds_read2_b64 v[42:45], v50 offset0:81 offset1:82
	ds_read_b128 v[86:89], v50 offset:1232
	ds_read2_b32 v[58:59], v50 offset0:137 offset1:138
	ds_read2_b32 v[74:75], v50 offset0:139 offset1:140
	;; [unrolled: 1-line block ×3, first 2 shown]
	v_fma_f32 v10, -v108, v39, v10
	ds_read2_b32 v[38:39], v11 offset1:1
	v_fma_f32 v10, -v109, v20, v10
	v_fma_f32 v10, -v110, v47, v10
	;; [unrolled: 1-line block ×3, first 2 shown]
	v_mov_b32_e32 v12, 0x51c
	v_fma_f32 v10, -v112, v71, v10
	v_mov_b32_e32 v13, 0x5dc
	v_mov_b32_e32 v11, 0x464
	ds_read2_b32 v[66:67], v12 offset1:1
	ds_read2_b32 v[68:69], v13 offset1:1
	;; [unrolled: 1-line block ×3, first 2 shown]
	s_waitcnt lgkmcnt(3)
	v_fma_f32 v10, -v114, v38, v10
	v_fma_f32 v10, -v115, v77, v10
	s_waitcnt lgkmcnt(2)
	v_fma_f32 v20, -v102, v66, v10
	ds_read_b128 v[10:13], v50 offset:64
	ds_read_b128 v[30:33], v50 offset:80
	v_fma_f32 v20, -v103, v83, v20
	s_waitcnt lgkmcnt(3)
	v_mul_f32_e32 v90, v68, v20
	ds_write2_b32 v56, v103, v90 offset0:144 offset1:168
	s_waitcnt lgkmcnt(2)
	v_fma_f32 v10, -v51, v10, v28
	v_fma_f32 v10, -v52, v91, v10
	v_fma_f32 v10, -v53, v60, v10
	v_fma_f32 v10, -v55, v93, v10
	v_fma_f32 v10, -v18, v34, v10
	v_fma_f32 v10, -v19, v49, v10
	v_fma_f32 v10, -v108, v40, v10
	v_fma_f32 v10, -v109, v21, v10
	ds_read_b128 v[46:49], v50 offset:1600
	ds_read2_b32 v[20:21], v50 offset0:41 offset1:42
	v_fma_f32 v34, -v51, v11, v29
	v_fma_f32 v10, -v110, v62, v10
	;; [unrolled: 1-line block ×4, first 2 shown]
	s_waitcnt lgkmcnt(0)
	v_fma_f32 v20, -v52, v20, v34
	v_fma_f32 v20, -v53, v61, v20
	v_fma_f32 v20, -v55, v94, v20
	v_fma_f32 v10, -v114, v39, v10
	v_fma_f32 v20, -v18, v35, v20
	v_fma_f32 v10, -v115, v78, v10
	v_fma_f32 v20, -v19, v58, v20
	v_fma_f32 v10, -v102, v67, v10
	v_fma_f32 v20, -v108, v41, v20
	v_fma_f32 v10, -v103, v84, v10
	v_fma_f32 v20, -v109, v104, v20
	v_fma_f32 v10, -v90, v69, v10
	v_fma_f32 v20, -v110, v63, v20
	v_mov_b32_e32 v34, 0x524
	ds_read_b128 v[66:69], v50 offset:1616
	v_mul_f32_e32 v84, v46, v10
	ds_read2_b32 v[10:11], v50 offset0:43 offset1:44
	ds_read2_b32 v[28:29], v50 offset0:45 offset1:46
	ds_read_b32 v91, v50 offset:188
	v_fma_f32 v20, -v111, v98, v20
	ds_read2_b32 v[34:35], v34 offset1:1
	v_fma_f32 v20, -v112, v73, v20
	v_fma_f32 v20, -v114, v70, v20
	v_mov_b32_e32 v38, 0x5e4
	v_mov_b32_e32 v39, 0x6a4
	v_mov_b32_e32 v40, 0x46c
	v_fma_f32 v20, -v115, v79, v20
	ds_read2_b32 v[76:77], v38 offset1:1
	ds_read2_b32 v[78:79], v39 offset1:1
	;; [unrolled: 1-line block ×3, first 2 shown]
	ds_read2_b64 v[38:41], v50 offset0:33 offset1:34
	s_waitcnt lgkmcnt(4)
	v_fma_f32 v20, -v102, v34, v20
	v_fma_f32 v20, -v103, v85, v20
	;; [unrolled: 1-line block ×3, first 2 shown]
	s_waitcnt lgkmcnt(3)
	v_fma_f32 v20, -v90, v76, v20
	v_fma_f32 v12, -v52, v21, v12
	;; [unrolled: 1-line block ×3, first 2 shown]
	ds_read_b64 v[46:47], v50 offset:1048
	s_waitcnt lgkmcnt(1)
	v_fma_f32 v12, -v53, v38, v12
	v_fma_f32 v12, -v55, v95, v12
	v_mul_f32_e32 v85, v78, v20
	v_fma_f32 v12, -v18, v36, v12
	ds_write2_b32 v56, v84, v85 offset0:192 offset1:216
	v_fma_f32 v12, -v19, v59, v12
	ds_read2_b64 v[56:59], v50 offset0:129 offset1:130
	ds_read2_b64 v[60:63], v50 offset0:177 offset1:178
	v_fma_f32 v12, -v108, v42, v12
	v_fma_f32 v12, -v109, v105, v12
	;; [unrolled: 1-line block ×4, first 2 shown]
	s_waitcnt lgkmcnt(1)
	v_fma_f32 v12, -v112, v56, v12
	v_fma_f32 v12, -v114, v71, v12
	;; [unrolled: 1-line block ×4, first 2 shown]
	s_waitcnt lgkmcnt(0)
	v_fma_f32 v12, -v103, v60, v12
	ds_read2_b64 v[70:73], v50 offset0:225 offset1:226
	v_fma_f32 v12, -v90, v77, v12
	ds_read_b64 v[76:77], v50 offset:1816
	v_fma_f32 v12, -v84, v48, v12
	ds_read_b64 v[20:21], v50 offset:280
	v_fma_f32 v12, -v85, v79, v12
	ds_read2_b32 v[78:79], v50 offset0:91 offset1:92
	s_waitcnt lgkmcnt(3)
	v_mul_f32_e32 v48, v70, v12
	v_fma_f32 v12, -v51, v13, v27
	ds_read2_b32 v[26:27], v50 offset0:93 offset1:94
	v_fma_f32 v10, -v52, v10, v12
	v_fma_f32 v10, -v53, v39, v10
	s_waitcnt lgkmcnt(1)
	v_fma_f32 v10, -v55, v78, v10
	v_fma_f32 v10, -v18, v37, v10
	ds_read2_b32 v[12:13], v50 offset0:235 offset1:236
	ds_read2_b32 v[36:37], v50 offset0:237 offset1:238
	v_fma_f32 v10, -v19, v74, v10
	v_fma_f32 v10, -v108, v43, v10
	;; [unrolled: 1-line block ×4, first 2 shown]
	ds_read_b64 v[34:35], v50 offset:1432
	s_waitcnt lgkmcnt(2)
	v_fma_f32 v10, -v111, v12, v10
	v_mov_b32_e32 v12, 0x52c
	ds_read2_b32 v[38:39], v12 offset1:1
	v_fma_f32 v10, -v112, v57, v10
	v_fma_f32 v10, -v114, v82, v10
	v_mov_b32_e32 v42, 0x5ec
	v_mov_b32_e32 v56, 0x6ac
	v_fma_f32 v10, -v115, v81, v10
	v_mov_b32_e32 v12, 0x76c
	ds_read2_b32 v[42:43], v42 offset1:1
	ds_read2_b32 v[56:57], v56 offset1:1
	;; [unrolled: 1-line block ×3, first 2 shown]
	s_waitcnt lgkmcnt(3)
	v_fma_f32 v10, -v102, v38, v10
	v_fma_f32 v10, -v103, v61, v10
	s_waitcnt lgkmcnt(2)
	v_fma_f32 v10, -v90, v42, v10
	v_fma_f32 v10, -v84, v49, v10
	;; [unrolled: 3-line block ×3, first 2 shown]
	s_waitcnt lgkmcnt(0)
	v_mul_f32_e32 v49, v64, v10
	v_fma_f32 v10, -v51, v30, v24
	v_fma_f32 v10, -v52, v11, v10
	;; [unrolled: 1-line block ×16, first 2 shown]
	ds_read_b128 v[10:13], v50 offset:2000
	v_fma_f32 v2, -v84, v66, v2
	v_fma_f32 v2, -v85, v57, v2
	;; [unrolled: 1-line block ×4, first 2 shown]
	s_waitcnt lgkmcnt(0)
	v_mul_f32_e32 v10, v10, v2
	v_fma_f32 v2, -v51, v31, v25
	v_fma_f32 v2, -v52, v28, v2
	;; [unrolled: 1-line block ×11, first 2 shown]
	v_mov_b32_e32 v2, 0x474
	ds_read_b64 v[38:39], v50 offset:2200
	ds_read2_b32 v[2:3], v2 offset1:1
	ds_write2_b32 v54, v48, v49 offset0:112 offset1:136
	v_mov_b32_e32 v6, 0x534
	v_mov_b32_e32 v24, 0x5f4
	;; [unrolled: 1-line block ×3, first 2 shown]
	ds_read2_b32 v[6:7], v6 offset1:1
	ds_read2_b32 v[24:25], v24 offset1:1
	;; [unrolled: 1-line block ×3, first 2 shown]
	s_waitcnt lgkmcnt(4)
	v_fma_f32 v2, -v114, v2, v16
	v_fma_f32 v2, -v115, v87, v2
	s_waitcnt lgkmcnt(2)
	v_fma_f32 v2, -v102, v6, v2
	v_mov_b32_e32 v6, 0x774
	v_fma_f32 v2, -v103, v63, v2
	ds_read2_b32 v[40:41], v6 offset1:1
	s_waitcnt lgkmcnt(2)
	v_fma_f32 v2, -v90, v24, v2
	v_mov_b32_e32 v6, 0x834
	v_fma_f32 v2, -v84, v67, v2
	ds_read2_b32 v[42:43], v6 offset1:1
	s_waitcnt lgkmcnt(2)
	v_fma_f32 v2, -v85, v30, v2
	v_fma_f32 v2, -v48, v73, v2
	s_waitcnt lgkmcnt(1)
	v_fma_f32 v2, -v49, v40, v2
	v_fma_f32 v2, -v10, v11, v2
	s_waitcnt lgkmcnt(0)
	v_mul_f32_e32 v6, v42, v2
	v_fma_f32 v2, -v51, v32, v22
	v_fma_f32 v2, -v52, v29, v2
	;; [unrolled: 1-line block ×22, first 2 shown]
	ds_read2_b32 v[2:3], v50 offset0:95 offset1:143
	v_mul_f32_e32 v7, v38, v4
	v_fma_f32 v4, -v51, v33, v23
	v_fma_f32 v4, -v52, v91, v4
	;; [unrolled: 1-line block ×3, first 2 shown]
	s_waitcnt lgkmcnt(0)
	v_fma_f32 v2, -v55, v2, v4
	v_fma_f32 v2, -v18, v5, v2
	;; [unrolled: 1-line block ×3, first 2 shown]
	ds_read2_b32 v[2:3], v50 offset0:191 offset1:239
	s_movk_i32 s6, 0x400
	v_add_u32_e64 v11, s6, 0
	v_fma_f32 v8, -v108, v15, v4
	ds_read2_b32 v[4:5], v11 offset0:31 offset1:79
	s_waitcnt lgkmcnt(1)
	v_fma_f32 v2, -v109, v2, v8
	v_fma_f32 v2, -v110, v9, v2
	;; [unrolled: 1-line block ×4, first 2 shown]
	s_waitcnt lgkmcnt(0)
	v_fma_f32 v2, -v114, v4, v2
	v_fma_f32 v2, -v115, v89, v2
	;; [unrolled: 1-line block ×3, first 2 shown]
	ds_read2_b32 v[2:3], v11 offset0:127 offset1:175
	s_movk_i32 s6, 0x600
	v_fma_f32 v8, -v103, v35, v4
	v_add_u32_e64 v4, s6, 0
	ds_read2_b32 v[4:5], v4 offset0:95 offset1:143
	s_waitcnt lgkmcnt(1)
	v_fma_f32 v2, -v90, v2, v8
	v_fma_f32 v2, -v84, v69, v2
	;; [unrolled: 1-line block ×4, first 2 shown]
	s_waitcnt lgkmcnt(0)
	v_fma_f32 v2, -v49, v4, v2
	v_fma_f32 v2, -v10, v13, v2
	;; [unrolled: 1-line block ×4, first 2 shown]
	v_mul_f32_e32 v2, v113, v2
	s_mov_b32 s6, 24
	ds_write2_b32 v1, v10, v6 offset0:32 offset1:56
	ds_write2_b32 v1, v7, v2 offset0:80 offset1:104
.LBB28_53:
	s_cmp_lt_i32 s6, s26
	s_cbranch_scc0 .LBB28_75
; %bb.54:
	s_add_i32 s14, s6, 19
	s_cmp_ge_u32 s14, s26
	s_cbranch_scc1 .LBB28_64
; %bb.55:
	s_mul_i32 s15, s6, 24
	v_add_lshl_u32 v1, s15, v0, 2
	v_add_u32_e32 v4, 0x800, v1
	ds_read2_b32 v[2:3], v4 offset0:64 offset1:88
	ds_read2_b32 v[30:31], v4 offset0:112 offset1:136
	ds_read2_b32 v[28:29], v4 offset0:160 offset1:184
	ds_read2_b32 v[26:27], v4 offset0:208 offset1:232
	v_add_u32_e32 v4, 0xc00, v1
	ds_read2_b32 v[24:25], v4 offset1:24
	ds_read2_b32 v[22:23], v4 offset0:48 offset1:72
	ds_read2_b32 v[20:21], v4 offset0:96 offset1:120
	;; [unrolled: 1-line block ×4, first 2 shown]
	v_add_u32_e32 v4, 0xe00, v1
	ds_read2_b32 v[14:15], v4 offset0:112 offset1:136
	s_andn2_b64 vcc, exec, s[8:9]
	s_cbranch_vccnz .LBB28_63
; %bb.56:
	s_max_u32 s8, s6, 1
	s_cmp_eq_u32 s8, 1
	s_cbranch_scc1 .LBB28_60
; %bb.57:
	v_mov_b32_e32 v4, 0x900
	s_and_b32 s9, s8, 24
	s_lshl_b32 s18, s6, 2
	v_lshl_or_b32 v4, v0, 2, v4
	s_mov_b32 s19, 0
.LBB28_58:                              ; =>This Inner Loop Header: Depth=1
	ds_read2_b32 v[64:65], v4 offset1:24
	v_mov_b32_e32 v5, s18
	ds_read_b128 v[6:9], v5
	ds_read_b128 v[10:13], v5 offset:16
	ds_read_b128 v[32:35], v5 offset:32
	;; [unrolled: 1-line block ×9, first 2 shown]
	s_add_i32 s19, s19, 2
	s_addk_i32 s18, 0xc0
	s_waitcnt lgkmcnt(10)
	v_mov_b32_e32 v66, v65
	s_waitcnt lgkmcnt(9)
	v_pk_fma_f32 v[2:3], v[64:65], v[6:7], v[2:3] op_sel_hi:[0,1,1] neg_lo:[1,0,0] neg_hi:[1,0,0]
	v_pk_fma_f32 v[6:7], v[64:65], v[8:9], v[30:31] op_sel_hi:[0,1,1] neg_lo:[1,0,0] neg_hi:[1,0,0]
	s_waitcnt lgkmcnt(8)
	v_pk_fma_f32 v[8:9], v[64:65], v[10:11], v[28:29] op_sel_hi:[0,1,1] neg_lo:[1,0,0] neg_hi:[1,0,0]
	v_pk_fma_f32 v[10:11], v[64:65], v[12:13], v[26:27] op_sel_hi:[0,1,1] neg_lo:[1,0,0] neg_hi:[1,0,0]
	;; [unrolled: 3-line block ×5, first 2 shown]
	v_add_u32_e32 v4, 0xc0, v4
	s_cmp_lg_u32 s9, s19
	s_waitcnt lgkmcnt(4)
	v_pk_fma_f32 v[2:3], v[66:67], v[44:45], v[2:3] op_sel_hi:[0,1,1] neg_lo:[1,0,0] neg_hi:[1,0,0]
	v_pk_fma_f32 v[30:31], v[66:67], v[46:47], v[6:7] op_sel_hi:[0,1,1] neg_lo:[1,0,0] neg_hi:[1,0,0]
	s_waitcnt lgkmcnt(3)
	v_pk_fma_f32 v[28:29], v[66:67], v[48:49], v[8:9] op_sel_hi:[0,1,1] neg_lo:[1,0,0] neg_hi:[1,0,0]
	v_pk_fma_f32 v[26:27], v[66:67], v[50:51], v[10:11] op_sel_hi:[0,1,1] neg_lo:[1,0,0] neg_hi:[1,0,0]
	;; [unrolled: 3-line block ×5, first 2 shown]
	s_cbranch_scc1 .LBB28_58
; %bb.59:
	s_mul_i32 s9, s9, 24
	s_branch .LBB28_61
.LBB28_60:
	s_mov_b32 s9, 0
.LBB28_61:
	s_bitcmp0_b32 s8, 0
	s_cbranch_scc1 .LBB28_63
; %bb.62:
	s_add_i32 s8, s9, s6
	v_add_lshl_u32 v4, s9, v0, 2
	s_lshl_b32 s8, s8, 2
	v_mov_b32_e32 v13, s8
	ds_read_b32 v12, v4 offset:2304
	ds_read_b128 v[4:7], v13
	ds_read_b128 v[8:11], v13 offset:16
	ds_read_b128 v[32:35], v13 offset:32
	s_waitcnt lgkmcnt(2)
	v_pk_fma_f32 v[2:3], v[12:13], v[4:5], v[2:3] op_sel_hi:[0,1,1] neg_lo:[1,0,0] neg_hi:[1,0,0]
	v_pk_fma_f32 v[30:31], v[12:13], v[6:7], v[30:31] op_sel_hi:[0,1,1] neg_lo:[1,0,0] neg_hi:[1,0,0]
	s_waitcnt lgkmcnt(1)
	v_pk_fma_f32 v[28:29], v[12:13], v[8:9], v[28:29] op_sel_hi:[0,1,1] neg_lo:[1,0,0] neg_hi:[1,0,0]
	ds_read_b128 v[4:7], v13 offset:48
	v_pk_fma_f32 v[26:27], v[12:13], v[10:11], v[26:27] op_sel_hi:[0,1,1] neg_lo:[1,0,0] neg_hi:[1,0,0]
	ds_read_b128 v[8:11], v13 offset:64
	s_waitcnt lgkmcnt(2)
	v_pk_fma_f32 v[24:25], v[12:13], v[32:33], v[24:25] op_sel_hi:[0,1,1] neg_lo:[1,0,0] neg_hi:[1,0,0]
	v_pk_fma_f32 v[22:23], v[12:13], v[34:35], v[22:23] op_sel_hi:[0,1,1] neg_lo:[1,0,0] neg_hi:[1,0,0]
	s_waitcnt lgkmcnt(1)
	v_pk_fma_f32 v[20:21], v[12:13], v[4:5], v[20:21] op_sel_hi:[0,1,1] neg_lo:[1,0,0] neg_hi:[1,0,0]
	v_pk_fma_f32 v[18:19], v[12:13], v[6:7], v[18:19] op_sel_hi:[0,1,1] neg_lo:[1,0,0] neg_hi:[1,0,0]
	;; [unrolled: 3-line block ×3, first 2 shown]
.LBB28_63:
	s_mul_i32 s9, s6, 0x64
	v_mov_b32_e32 v42, s9
	ds_read_b128 v[32:35], v42
	ds_read_b128 v[6:9], v42 offset:16
	ds_read2_b32 v[36:37], v42 offset0:25 offset1:26
	v_add_u32_e32 v4, 0x900, v1
	s_add_i32 s18, s15, 24
	s_waitcnt lgkmcnt(2)
	v_mul_f32_e32 v1, v32, v2
	v_fma_f32 v10, -v1, v33, v3
	ds_write_b32 v4, v1
	ds_read_b128 v[2:5], v42 offset:32
	s_waitcnt lgkmcnt(2)
	v_mul_f32_e32 v40, v36, v10
	v_add_lshl_u32 v10, s18, v0, 2
	ds_write_b32 v10, v40 offset:2304
	s_add_i32 s18, s6, s18
	ds_read2_b64 v[10:13], v42 offset0:25 offset1:26
	s_lshl_b32 s19, s18, 2
	v_mov_b32_e32 v43, s19
	v_fma_f32 v30, -v1, v34, v30
	ds_read2_b32 v[38:39], v43 offset0:3 offset1:4
	v_fma_f32 v30, -v40, v37, v30
	ds_read2_b32 v[36:37], v42 offset0:75 offset1:76
	s_add_i32 s18, s15, 48
	s_waitcnt lgkmcnt(2)
	v_mul_f32_e32 v41, v10, v30
	v_add_lshl_u32 v10, s18, v0, 2
	ds_write_b32 v10, v41 offset:2304
	v_fma_f32 v10, -v1, v35, v31
	ds_read2_b32 v[34:35], v43 offset0:5 offset1:6
	ds_read2_b32 v[32:33], v43 offset0:7 offset1:8
	ds_read_b64 v[30:31], v42 offset:1800
	ds_read_b128 v[44:47], v42 offset:400
	ds_read2_b32 v[52:53], v42 offset0:125 offset1:126
	s_waitcnt lgkmcnt(7)
	v_fma_f32 v10, -v40, v38, v10
	v_fma_f32 v6, -v1, v6, v28
	;; [unrolled: 1-line block ×4, first 2 shown]
	s_add_i32 s19, s15, 0x48
	s_waitcnt lgkmcnt(6)
	v_mul_f32_e32 v90, v36, v10
	v_fma_f32 v6, -v41, v12, v6
	v_add_lshl_u32 v10, s19, v0, 2
	s_add_i32 s19, s6, s19
	v_fma_f32 v6, -v90, v37, v6
	s_add_i32 s20, s15, 0x60
	s_lshl_b32 s19, s19, 2
	s_waitcnt lgkmcnt(1)
	v_mul_f32_e32 v91, v44, v6
	v_add_lshl_u32 v6, s20, v0, 2
	ds_write_b32 v6, v91 offset:2304
	v_fma_f32 v6, -v1, v7, v29
	v_mov_b32_e32 v92, s19
	ds_write_b32 v10, v90 offset:2304
	v_fma_f32 v10, -v40, v34, v6
	ds_read2_b32 v[6:7], v92 offset0:5 offset1:6
	s_add_i32 s18, s6, s18
	s_lshl_b32 s18, s18, 2
	v_fma_f32 v12, -v41, v13, v10
	v_mov_b32_e32 v95, s18
	ds_read2_b32 v[54:55], v92 offset0:7 offset1:8
	ds_read2_b32 v[10:11], v43 offset0:17 offset1:18
	ds_read_b32 v93, v43 offset:76
	s_waitcnt lgkmcnt(3)
	v_fma_f32 v6, -v90, v6, v12
	ds_read2_b64 v[36:39], v95 offset0:3 offset1:4
	ds_read2_b64 v[48:51], v95 offset0:5 offset1:6
	s_add_i32 s19, s6, s20
	v_fma_f32 v6, -v91, v45, v6
	s_add_i32 s20, s15, 0x78
	v_mul_f32_e32 v94, v52, v6
	v_add_lshl_u32 v6, s20, v0, 2
	ds_write_b32 v6, v94 offset:2304
	v_fma_f32 v6, -v1, v8, v26
	v_fma_f32 v6, -v40, v35, v6
	s_waitcnt lgkmcnt(2)
	v_fma_f32 v6, -v41, v36, v6
	v_fma_f32 v6, -v90, v7, v6
	v_fma_f32 v8, -v91, v46, v6
	ds_read2_b32 v[6:7], v42 offset0:150 offset1:175
	s_add_i32 s18, s6, s20
	v_fma_f32 v8, -v94, v53, v8
	s_add_i32 s20, s15, 0x90
	s_lshl_b32 s18, s18, 2
	s_waitcnt lgkmcnt(0)
	v_mul_f32_e32 v96, v6, v8
	v_add_lshl_u32 v6, s20, v0, 2
	ds_write_b32 v6, v96 offset:2304
	v_fma_f32 v6, -v1, v9, v27
	v_fma_f32 v6, -v40, v32, v6
	;; [unrolled: 1-line block ×3, first 2 shown]
	v_mov_b32_e32 v26, s18
	s_add_i32 s18, s6, s20
	v_fma_f32 v6, -v90, v54, v6
	s_lshl_b32 s18, s18, 2
	v_fma_f32 v6, -v91, v47, v6
	v_mov_b32_e32 v97, s18
	ds_read2_b32 v[8:9], v26 offset0:7 offset1:8
	ds_read2_b32 v[36:37], v97 offset0:7 offset1:8
	;; [unrolled: 1-line block ×5, first 2 shown]
	s_waitcnt lgkmcnt(4)
	v_fma_f32 v6, -v94, v8, v6
	s_waitcnt lgkmcnt(3)
	v_fma_f32 v6, -v96, v36, v6
	s_add_i32 s18, s15, 0xa8
	s_lshl_b32 s19, s19, 2
	v_mul_f32_e32 v99, v7, v6
	v_add_lshl_u32 v6, s18, v0, 2
	ds_read2_b32 v[68:69], v26 offset0:15 offset1:16
	ds_read2_b32 v[12:13], v26 offset0:17 offset1:18
	ds_read_b32 v98, v26 offset:76
	ds_write_b32 v6, v99 offset:2304
	v_mov_b32_e32 v6, s19
	ds_read_b128 v[26:29], v6 offset:32
	v_fma_f32 v2, -v1, v2, v24
	s_add_i32 s18, s6, s18
	v_fma_f32 v2, -v40, v33, v2
	ds_read_b128 v[32:35], v6 offset:48
	s_lshl_b32 s18, s18, 2
	v_fma_f32 v2, -v41, v38, v2
	v_mov_b32_e32 v100, s18
	v_fma_f32 v2, -v90, v55, v2
	ds_read_b128 v[44:47], v100 offset:32
	s_waitcnt lgkmcnt(2)
	v_fma_f32 v2, -v91, v26, v2
	v_fma_f32 v2, -v94, v9, v2
	ds_read_b128 v[52:55], v42 offset:800
	ds_read_b128 v[6:9], v6 offset:64
	v_fma_f32 v2, -v96, v37, v2
	ds_read2_b32 v[36:37], v42 offset0:225 offset1:226
	ds_read2_b32 v[60:61], v43 offset0:9 offset1:10
	s_waitcnt lgkmcnt(4)
	v_fma_f32 v2, -v99, v44, v2
	s_add_i32 s18, s15, 0xc0
	s_waitcnt lgkmcnt(3)
	v_mul_f32_e32 v101, v52, v2
	v_add_lshl_u32 v2, s18, v0, 2
	ds_write_b32 v2, v101 offset:2304
	v_fma_f32 v2, -v1, v3, v25
	ds_read2_b32 v[62:63], v43 offset0:11 offset1:12
	ds_read2_b32 v[66:67], v43 offset0:13 offset1:14
	;; [unrolled: 1-line block ×3, first 2 shown]
	s_waitcnt lgkmcnt(4)
	v_fma_f32 v24, -v40, v60, v2
	ds_read2_b32 v[2:3], v92 offset0:9 offset1:10
	v_fma_f32 v24, -v41, v39, v24
	ds_read2_b32 v[72:73], v92 offset0:11 offset1:12
	ds_read2_b32 v[74:75], v92 offset0:13 offset1:14
	;; [unrolled: 1-line block ×3, first 2 shown]
	s_add_i32 s20, s15, 0xd8
	s_add_i32 s21, s15, 0xf0
	s_waitcnt lgkmcnt(3)
	v_fma_f32 v2, -v90, v2, v24
	ds_read2_b32 v[24:25], v97 offset0:9 offset1:10
	v_fma_f32 v2, -v91, v27, v2
	v_fma_f32 v2, -v94, v56, v2
	ds_read2_b32 v[78:79], v97 offset0:11 offset1:12
	ds_read2_b32 v[80:81], v97 offset0:13 offset1:14
	;; [unrolled: 1-line block ×3, first 2 shown]
	s_add_i32 s19, s6, s15
	s_waitcnt lgkmcnt(3)
	v_fma_f32 v2, -v96, v24, v2
	v_fma_f32 v2, -v99, v45, v2
	;; [unrolled: 1-line block ×3, first 2 shown]
	v_mul_f32_e32 v102, v36, v2
	v_add_lshl_u32 v2, s20, v0, 2
	ds_write_b32 v2, v102 offset:2304
	v_fma_f32 v2, -v1, v4, v22
	v_fma_f32 v2, -v40, v61, v2
	;; [unrolled: 1-line block ×7, first 2 shown]
	ds_read2_b64 v[24:27], v42 offset0:125 offset1:126
	v_fma_f32 v2, -v99, v46, v2
	v_fma_f32 v2, -v101, v54, v2
	;; [unrolled: 1-line block ×3, first 2 shown]
	s_add_i32 s20, s6, s20
	s_waitcnt lgkmcnt(0)
	v_mul_f32_e32 v103, v24, v2
	v_add_lshl_u32 v2, s21, v0, 2
	ds_write_b32 v2, v103 offset:2304
	v_fma_f32 v2, -v1, v5, v23
	v_fma_f32 v2, -v40, v62, v2
	s_lshl_b32 s20, s20, 2
	v_fma_f32 v2, -v41, v49, v2
	v_fma_f32 v2, -v90, v72, v2
	v_mov_b32_e32 v3, s20
	ds_read_b128 v[36:39], v42 offset:1200
	v_fma_f32 v2, -v91, v29, v2
	ds_read2_b32 v[28:29], v3 offset0:11 offset1:12
	v_fma_f32 v2, -v94, v58, v2
	v_fma_f32 v2, -v96, v78, v2
	;; [unrolled: 1-line block ×4, first 2 shown]
	s_waitcnt lgkmcnt(0)
	v_fma_f32 v2, -v102, v28, v2
	s_add_i32 s20, s6, s21
	s_add_i32 s21, s9, 0x44c
	s_lshl_b32 s19, s19, 2
	v_fma_f32 v22, -v103, v25, v2
	v_mov_b32_e32 v2, s21
	ds_read2_b32 v[84:85], v3 offset0:13 offset1:14
	ds_read2_b32 v[86:87], v3 offset0:15 offset1:16
	;; [unrolled: 1-line block ×3, first 2 shown]
	ds_read2_b32 v[48:49], v2 offset1:1
	v_mov_b32_e32 v23, s19
	ds_read_b32 v72, v3 offset:76
	ds_read_b128 v[2:5], v23 offset:48
	s_add_i32 s18, s6, s18
	s_lshl_b32 s18, s18, 2
	ds_read_b128 v[44:47], v100 offset:48
	s_waitcnt lgkmcnt(3)
	v_mul_f32_e32 v78, v48, v22
	s_waitcnt lgkmcnt(1)
	v_fma_f32 v2, -v1, v2, v20
	v_fma_f32 v2, -v40, v63, v2
	;; [unrolled: 1-line block ×3, first 2 shown]
	v_mov_b32_e32 v20, s18
	v_fma_f32 v2, -v90, v73, v2
	ds_read_b128 v[52:55], v20 offset:48
	ds_read_b128 v[60:63], v20 offset:64
	v_fma_f32 v2, -v91, v32, v2
	v_fma_f32 v2, -v94, v59, v2
	v_fma_f32 v2, -v96, v79, v2
	ds_read_b128 v[56:59], v100 offset:64
	s_waitcnt lgkmcnt(3)
	v_fma_f32 v2, -v99, v44, v2
	s_waitcnt lgkmcnt(2)
	v_fma_f32 v2, -v101, v52, v2
	v_fma_f32 v2, -v102, v29, v2
	;; [unrolled: 1-line block ×4, first 2 shown]
	s_add_i32 s19, s15, 0x120
	v_mul_f32_e32 v52, v36, v2
	v_add_lshl_u32 v2, s19, v0, 2
	ds_write_b32 v2, v52 offset:2304
	v_fma_f32 v2, -v1, v3, v21
	v_fma_f32 v2, -v40, v66, v2
	;; [unrolled: 1-line block ×5, first 2 shown]
	s_add_i32 s21, s15, 0x108
	v_fma_f32 v2, -v94, v64, v2
	s_add_i32 s18, s6, s21
	v_fma_f32 v2, -v96, v80, v2
	s_lshl_b32 s18, s18, 2
	v_fma_f32 v2, -v99, v45, v2
	v_add_lshl_u32 v22, s21, v0, 2
	v_fma_f32 v2, -v101, v53, v2
	v_mov_b32_e32 v26, s18
	ds_write_b32 v22, v78 offset:2304
	ds_read_b128 v[22:25], v23 offset:64
	v_fma_f32 v20, -v102, v84, v2
	ds_read2_b32 v[2:3], v26 offset0:13 offset1:14
	s_add_i32 s18, s6, s19
	s_add_i32 s19, s9, 0x514
	v_fma_f32 v27, -v103, v27, v20
	ds_read2_b32 v[20:21], v26 offset0:15 offset1:16
	ds_read2_b32 v[32:33], v26 offset0:17 offset1:18
	ds_read_b32 v53, v26 offset:76
	v_mov_b32_e32 v26, s19
	ds_read2_b32 v[44:45], v26 offset1:1
	ds_read2_b64 v[48:51], v95 offset0:7 offset1:8
	s_waitcnt lgkmcnt(5)
	v_fma_f32 v2, -v78, v2, v27
	v_fma_f32 v2, -v52, v37, v2
	s_add_i32 s19, s15, 0x138
	s_waitcnt lgkmcnt(1)
	v_mul_f32_e32 v74, v44, v2
	v_add_lshl_u32 v2, s19, v0, 2
	ds_write_b32 v2, v74 offset:2304
	v_fma_f32 v2, -v1, v4, v18
	v_fma_f32 v2, -v40, v67, v2
	s_waitcnt lgkmcnt(1)
	v_fma_f32 v2, -v41, v48, v2
	s_lshl_b32 s20, s20, 2
	v_fma_f32 v2, -v90, v75, v2
	v_mov_b32_e32 v73, s20
	v_fma_f32 v2, -v91, v34, v2
	ds_read2_b64 v[26:29], v73 offset0:7 offset1:8
	v_fma_f32 v2, -v94, v65, v2
	ds_read2_b64 v[64:67], v42 offset0:175 offset1:176
	v_fma_f32 v2, -v96, v81, v2
	v_fma_f32 v2, -v99, v46, v2
	v_fma_f32 v2, -v101, v54, v2
	v_fma_f32 v2, -v102, v85, v2
	s_waitcnt lgkmcnt(1)
	v_fma_f32 v2, -v103, v26, v2
	v_fma_f32 v2, -v78, v3, v2
	;; [unrolled: 1-line block ×4, first 2 shown]
	s_add_i32 s20, s15, 0x150
	s_waitcnt lgkmcnt(0)
	v_mul_f32_e32 v46, v64, v2
	v_add_lshl_u32 v2, s20, v0, 2
	ds_write_b32 v2, v46 offset:2304
	v_fma_f32 v2, -v1, v5, v19
	v_fma_f32 v2, -v40, v70, v2
	;; [unrolled: 1-line block ×5, first 2 shown]
	s_add_i32 s19, s6, s19
	v_fma_f32 v2, -v94, v68, v2
	s_lshl_b32 s19, s19, 2
	v_fma_f32 v2, -v96, v82, v2
	v_fma_f32 v2, -v99, v47, v2
	v_mov_b32_e32 v3, s19
	ds_read_b128 v[42:45], v42 offset:1600
	ds_read2_b32 v[18:19], v3 offset0:15 offset1:16
	v_fma_f32 v2, -v101, v55, v2
	v_fma_f32 v16, -v1, v22, v16
	;; [unrolled: 1-line block ×10, first 2 shown]
	s_lshl_b32 s18, s18, 2
	s_waitcnt lgkmcnt(0)
	v_fma_f32 v2, -v74, v18, v2
	s_add_i32 s19, s6, s20
	s_add_i32 s20, s9, 0x5dc
	v_fma_f32 v6, -v94, v69, v6
	ds_read_b64 v[36:37], v95 offset:72
	ds_read2_b32 v[26:27], v3 offset0:17 offset1:18
	ds_read_b32 v47, v3 offset:76
	ds_read_b64 v[34:35], v73 offset:72
	v_mov_b32_e32 v3, s20
	v_fma_f32 v18, -v46, v65, v2
	v_mov_b32_e32 v2, s18
	v_fma_f32 v6, -v96, v83, v6
	ds_read2_b32 v[38:39], v3 offset1:1
	ds_read_b128 v[2:5], v2 offset:64
	v_fma_f32 v6, -v99, v56, v6
	v_fma_f32 v6, -v101, v60, v6
	;; [unrolled: 1-line block ×5, first 2 shown]
	s_waitcnt lgkmcnt(0)
	v_fma_f32 v2, -v52, v2, v6
	v_fma_f32 v2, -v74, v19, v2
	s_add_i32 s20, s15, 0x168
	v_mul_f32_e32 v38, v38, v18
	v_fma_f32 v2, -v46, v66, v2
	v_add_lshl_u32 v18, s20, v0, 2
	s_add_i32 s18, s6, s20
	v_fma_f32 v2, -v38, v39, v2
	s_add_i32 s20, s15, 0x180
	v_mul_f32_e32 v22, v42, v2
	v_add_lshl_u32 v2, s20, v0, 2
	ds_write_b32 v2, v22 offset:2304
	v_fma_f32 v2, -v1, v23, v17
	ds_read2_b32 v[16:17], v92 offset0:17 offset1:18
	ds_write_b32 v18, v38 offset:2304
	v_fma_f32 v2, -v40, v10, v2
	ds_read_b32 v10, v92 offset:76
	ds_read2_b32 v[18:19], v97 offset0:17 offset1:18
	v_fma_f32 v2, -v41, v51, v2
	s_waitcnt lgkmcnt(3)
	v_fma_f32 v2, -v90, v16, v2
	v_fma_f32 v2, -v91, v7, v2
	;; [unrolled: 1-line block ×4, first 2 shown]
	s_waitcnt lgkmcnt(0)
	v_fma_f32 v2, -v96, v18, v2
	v_fma_f32 v11, -v40, v11, v14
	;; [unrolled: 1-line block ×12, first 2 shown]
	s_lshl_b32 s18, s18, 2
	v_fma_f32 v2, -v52, v3, v2
	v_fma_f32 v8, -v99, v58, v8
	;; [unrolled: 1-line block ×3, first 2 shown]
	v_mov_b32_e32 v18, s18
	v_fma_f32 v8, -v101, v62, v8
	v_fma_f32 v1, -v1, v25, v15
	s_lshl_b32 s19, s19, 2
	ds_read_b32 v12, v97 offset:76
	v_fma_f32 v16, -v46, v67, v2
	ds_read2_b32 v[2:3], v18 offset0:17 offset1:18
	s_addk_i32 s9, 0x6a4
	v_fma_f32 v8, -v102, v89, v8
	v_fma_f32 v1, -v40, v93, v1
	v_mov_b32_e32 v20, s9
	v_mov_b32_e32 v6, s19
	v_fma_f32 v8, -v103, v34, v8
	v_fma_f32 v1, -v41, v37, v1
	ds_read_b64 v[6:7], v6 offset:72
	ds_read2_b32 v[20:21], v20 offset1:1
	ds_read_b32 v18, v18 offset:76
	v_fma_f32 v8, -v78, v33, v8
	v_fma_f32 v1, -v90, v10, v1
	;; [unrolled: 1-line block ×6, first 2 shown]
	s_waitcnt lgkmcnt(3)
	v_fma_f32 v2, -v38, v2, v16
	s_waitcnt lgkmcnt(2)
	v_fma_f32 v4, -v46, v6, v4
	v_fma_f32 v1, -v96, v12, v1
	;; [unrolled: 1-line block ×5, first 2 shown]
	s_add_i32 s9, s15, 0x198
	s_waitcnt lgkmcnt(1)
	v_mul_f32_e32 v2, v20, v2
	v_fma_f32 v3, -v22, v44, v3
	v_fma_f32 v1, -v101, v63, v1
	s_add_i32 s8, s6, 20
	s_add_i32 s6, s6, s9
	v_fma_f32 v3, -v2, v21, v3
	s_addk_i32 s15, 0x1b0
	v_fma_f32 v1, -v102, v72, v1
	s_lshl_b32 s6, s6, 2
	v_mul_f32_e32 v3, v30, v3
	v_add_lshl_u32 v4, s15, v0, 2
	v_fma_f32 v1, -v103, v35, v1
	ds_write_b32 v4, v3 offset:2304
	v_fma_f32 v1, -v78, v53, v1
	v_mov_b32_e32 v4, s6
	v_fma_f32 v1, -v52, v5, v1
	ds_read_b32 v4, v4 offset:76
	s_mul_i32 s6, s14, 0x64
	v_fma_f32 v1, -v74, v47, v1
	v_mov_b32_e32 v5, s6
	ds_read_b32 v5, v5
	v_fma_f32 v1, -v46, v7, v1
	s_waitcnt lgkmcnt(3)
	v_fma_f32 v1, -v38, v18, v1
	v_fma_f32 v1, -v22, v45, v1
	s_waitcnt lgkmcnt(1)
	v_fma_f32 v1, -v2, v4, v1
	v_add_lshl_u32 v16, s9, v0, 2
	v_fma_f32 v1, -v3, v31, v1
	s_mul_i32 s14, s14, 24
	ds_write_b32 v16, v2 offset:2304
	s_waitcnt lgkmcnt(1)
	v_mul_f32_e32 v1, v5, v1
	v_add_lshl_u32 v2, s14, v0, 2
	s_mov_b32 s6, s8
	ds_write_b32 v2, v1 offset:2304
.LBB28_64:
	s_cmp_ge_i32 s6, s26
	s_cbranch_scc1 .LBB28_75
; %bb.65:
	v_mov_b32_e32 v1, 0x900
	s_add_i32 s8, s6, -1
	s_lshl_b32 s9, s6, 2
	v_lshl_or_b32 v1, v0, 2, v1
	s_mov_b32 s14, 0
	s_mov_b32 s15, s6
	s_branch .LBB28_67
.LBB28_66:                              ;   in Loop: Header=BB28_67 Depth=1
	s_mul_i32 s18, s6, 0x64
	v_mov_b32_e32 v4, s18
	ds_read_b32 v4, v4
	s_add_i32 s6, s6, 1
	s_add_i32 s14, s14, 1
	s_add_i32 s9, s9, 4
	v_add_u16_e64 v5, s15, 1
	v_add_u32_e32 v3, 0x900, v3
	s_waitcnt lgkmcnt(0)
	v_mul_f32_e32 v2, v4, v2
	s_cmp_ge_i32 s6, s26
	v_readfirstlane_b32 s15, v5
	ds_write_b32 v3, v2
	s_cbranch_scc1 .LBB28_75
.LBB28_67:                              ; =>This Loop Header: Depth=1
                                        ;     Child Loop BB28_70 Depth 2
                                        ;     Child Loop BB28_74 Depth 2
	s_mul_i32 s18, s6, 24
	v_add_lshl_u32 v3, s18, v0, 2
	ds_read_b32 v2, v3 offset:2304
	s_cmp_eq_u32 s6, 0
	s_cbranch_scc1 .LBB28_66
; %bb.68:                               ;   in Loop: Header=BB28_67 Depth=1
	s_add_i32 s18, s8, s14
	s_cmp_lt_u32 s18, 7
	s_cbranch_scc1 .LBB28_72
; %bb.69:                               ;   in Loop: Header=BB28_67 Depth=1
	s_and_b32 s18, s6, -8
	s_mov_b32 s19, 0
	v_mov_b32_e32 v4, v1
	s_mov_b32 s20, s9
.LBB28_70:                              ;   Parent Loop BB28_67 Depth=1
                                        ; =>  This Inner Loop Header: Depth=2
	ds_read2_b32 v[6:7], v4 offset1:24
	v_mov_b32_e32 v5, s20
	ds_read2_b32 v[8:9], v4 offset0:48 offset1:72
	ds_read2_b32 v[10:11], v4 offset0:96 offset1:120
	;; [unrolled: 1-line block ×3, first 2 shown]
	ds_read2_b32 v[14:15], v5 offset1:24
	ds_read2_b32 v[16:17], v5 offset0:48 offset1:72
	ds_read2_b32 v[18:19], v5 offset0:96 offset1:120
	;; [unrolled: 1-line block ×3, first 2 shown]
	s_add_i32 s19, s19, 8
	s_waitcnt lgkmcnt(3)
	v_fma_f32 v2, -v6, v14, v2
	v_fma_f32 v2, -v7, v15, v2
	s_waitcnt lgkmcnt(2)
	v_fma_f32 v2, -v8, v16, v2
	v_fma_f32 v2, -v9, v17, v2
	;; [unrolled: 3-line block ×3, first 2 shown]
	s_addk_i32 s20, 0x300
	s_waitcnt lgkmcnt(0)
	v_fma_f32 v2, -v12, v20, v2
	v_add_u32_e32 v4, 0x300, v4
	s_cmp_lg_u32 s18, s19
	v_fma_f32 v2, -v13, v21, v2
	s_cbranch_scc1 .LBB28_70
; %bb.71:                               ;   in Loop: Header=BB28_67 Depth=1
	s_and_b32 s19, s6, 7
	s_cmp_eq_u32 s19, 0
	s_cbranch_scc0 .LBB28_73
	s_branch .LBB28_66
.LBB28_72:                              ;   in Loop: Header=BB28_67 Depth=1
	s_mov_b32 s18, 0
	s_and_b32 s19, s6, 7
	s_cmp_eq_u32 s19, 0
	s_cbranch_scc1 .LBB28_66
.LBB28_73:                              ;   in Loop: Header=BB28_67 Depth=1
	s_and_b32 s19, s15, 7
	s_mulk_i32 s18, 0x60
.LBB28_74:                              ;   Parent Loop BB28_67 Depth=1
                                        ; =>  This Inner Loop Header: Depth=2
	s_add_i32 s20, s9, s18
	v_add_u32_e32 v4, s18, v1
	v_mov_b32_e32 v5, s20
	ds_read_b32 v4, v4
	ds_read_b32 v5, v5
	s_addk_i32 s18, 0x60
	s_add_i32 s19, s19, -1
	s_cmp_lg_u32 s19, 0
	s_waitcnt lgkmcnt(0)
	v_fma_f32 v2, -v4, v5, v2
	s_cbranch_scc1 .LBB28_74
	s_branch .LBB28_66
.LBB28_75:
	s_waitcnt lgkmcnt(0)
	; wave barrier
	s_waitcnt lgkmcnt(0)
	s_and_saveexec_b64 s[8:9], s[12:13]
	s_cbranch_execz .LBB28_87
; %bb.76:
	s_cmp_lt_i32 s10, 2
	s_cbranch_scc1 .LBB28_84
; %bb.77:
	s_add_i32 s8, s26, -2
	s_lshr_b32 s9, s8, 1
	s_add_i32 s9, s9, 1
	s_mov_b32 s10, 0
	s_mov_b32 s6, 1
	s_cmp_lt_u32 s8, 14
	s_mov_b32 s8, s10
	s_cbranch_scc1 .LBB28_80
; %bb.78:
	s_mul_i32 s8, s1, s7
	s_mul_hi_u32 s10, s0, s7
	s_add_i32 s15, s10, s8
	s_mul_i32 s14, s0, s7
	s_lshl_b64 s[18:19], s[4:5], 2
	v_lshlrev_b32_e32 v1, 2, v0
	s_and_b32 s12, s9, -8
	s_lshl_b64 s[14:15], s[14:15], 2
	v_mov_b32_e32 v2, s19
	v_add_co_u32_e32 v1, vcc, s18, v1
	s_lshl_b64 s[18:19], s[16:17], 2
	s_add_u32 s8, s2, s18
	s_addc_u32 s10, s3, s19
	s_add_u32 s14, s8, s14
	s_addc_u32 s15, s10, s15
	v_addc_co_u32_e32 v4, vcc, 0, v2, vcc
	v_pk_mov_b32 v[2:3], s[14:15], s[14:15] op_sel:[0,1]
	v_mad_u64_u32 v[2:3], s[14:15], v1, s22, v[2:3]
	v_mul_lo_u32 v1, v1, s11
	v_mul_lo_u32 v4, v4, s22
	v_add3_u32 v1, v4, v3, v1
	v_add_co_u32_e32 v2, vcc, 56, v2
	v_addc_co_u32_e32 v3, vcc, 0, v1, vcc
	s_mov_b32 s8, 0
	s_mov_b32 s10, 0
.LBB28_79:                              ; =>This Inner Loop Header: Depth=1
	s_mul_i32 s13, s6, 24
	s_mul_i32 s14, s10, 24
	v_add_lshl_u32 v1, s14, v0, 2
	v_add_lshl_u32 v5, s13, v0, 2
	s_add_i32 s15, s13, 48
	s_add_i32 s18, s14, 48
	;; [unrolled: 1-line block ×12, first 2 shown]
	s_addk_i32 s13, 0x150
	s_addk_i32 s14, 0x150
	v_add_lshl_u32 v6, s18, v0, 2
	v_add_lshl_u32 v7, s15, v0, 2
	;; [unrolled: 1-line block ×14, first 2 shown]
	ds_read_b32 v4, v1 offset:2304
	ds_read_b32 v5, v5 offset:2304
	ds_read_b32 v6, v6 offset:2304
	ds_read_b32 v7, v7 offset:2304
	ds_read_b32 v8, v8 offset:2304
	ds_read_b32 v9, v9 offset:2304
	ds_read_b32 v10, v10 offset:2304
	ds_read_b32 v11, v11 offset:2304
	ds_read_b32 v12, v12 offset:2304
	ds_read_b32 v13, v13 offset:2304
	ds_read_b32 v14, v14 offset:2304
	ds_read_b32 v15, v15 offset:2304
	ds_read_b32 v16, v16 offset:2304
	ds_read_b32 v17, v17 offset:2304
	ds_read_b32 v18, v18 offset:2304
	ds_read_b32 v19, v19 offset:2304
	s_add_i32 s8, s8, 16
	s_add_i32 s6, s6, 16
	;; [unrolled: 1-line block ×3, first 2 shown]
	s_add_i32 s12, s12, -8
	s_waitcnt lgkmcnt(12)
	global_store_dwordx4 v[2:3], v[4:7], off offset:-56
	s_waitcnt lgkmcnt(8)
	global_store_dwordx4 v[2:3], v[8:11], off offset:-40
	s_waitcnt lgkmcnt(4)
	global_store_dwordx4 v[2:3], v[12:15], off offset:-24
	s_waitcnt lgkmcnt(0)
	global_store_dwordx4 v[2:3], v[16:19], off offset:-8
	v_add_co_u32_e32 v2, vcc, 64, v2
	s_cmp_lg_u32 s12, 0
	v_addc_co_u32_e32 v3, vcc, 0, v3, vcc
	s_cbranch_scc1 .LBB28_79
.LBB28_80:
	s_and_b32 s12, s9, 7
	s_cmp_eq_u32 s12, 0
	s_mov_b32 s9, 0
	s_cbranch_scc1 .LBB28_83
; %bb.81:
	s_mul_i32 s13, s1, s7
	s_mul_hi_u32 s14, s0, s7
	s_add_i32 s15, s14, s13
	s_mul_i32 s14, s0, s7
	s_lshl_b64 s[18:19], s[4:5], 2
	v_lshlrev_b32_e32 v1, 2, v0
	s_lshl_b64 s[14:15], s[14:15], 2
	v_mov_b32_e32 v2, s19
	v_add_co_u32_e32 v1, vcc, s18, v1
	s_lshl_b64 s[18:19], s[16:17], 2
	s_lshl_b64 s[8:9], s[8:9], 2
	s_add_u32 s8, s2, s8
	s_addc_u32 s9, s3, s9
	s_add_u32 s8, s8, s18
	s_addc_u32 s9, s9, s19
	;; [unrolled: 2-line block ×3, first 2 shown]
	v_addc_co_u32_e32 v4, vcc, 0, v2, vcc
	v_pk_mov_b32 v[2:3], s[8:9], s[8:9] op_sel:[0,1]
	v_mad_u64_u32 v[2:3], s[8:9], v1, s22, v[2:3]
	v_mul_lo_u32 v1, v1, s11
	v_mul_lo_u32 v4, v4, s22
	v_add3_u32 v3, v4, v3, v1
	s_lshl_b32 s8, s12, 3
.LBB28_82:                              ; =>This Inner Loop Header: Depth=1
	s_mul_i32 s9, s6, 24
	s_mul_i32 s12, s10, 24
	v_add_lshl_u32 v1, s12, v0, 2
	v_add_lshl_u32 v5, s9, v0, 2
	ds_read_b32 v4, v1 offset:2304
	ds_read_b32 v5, v5 offset:2304
	s_add_i32 s6, s6, 2
	s_add_i32 s10, s10, 2
	s_add_i32 s8, s8, -8
	s_cmp_lg_u32 s8, 0
	s_waitcnt lgkmcnt(0)
	global_store_dwordx2 v[2:3], v[4:5], off
	v_add_co_u32_e32 v2, vcc, 8, v2
	v_addc_co_u32_e32 v3, vcc, 0, v3, vcc
	s_cbranch_scc1 .LBB28_82
.LBB28_83:
	s_and_b32 s10, s26, 30
	s_cmp_lg_u32 s26, s10
	s_cselect_b64 s[8:9], -1, 0
	s_and_b64 vcc, exec, s[8:9]
	s_cbranch_vccnz .LBB28_85
	s_branch .LBB28_87
.LBB28_84:
	s_mov_b32 s10, 0
	s_cbranch_execz .LBB28_87
.LBB28_85:
	s_mul_i32 s8, s10, 0x60
	v_lshl_add_u32 v1, v0, 2, s8
	s_mul_i32 s1, s1, s7
	s_mul_hi_u32 s8, s0, s7
	s_add_i32 s1, s8, s1
	s_mul_i32 s0, s0, s7
	s_lshl_b64 s[4:5], s[4:5], 2
	v_lshlrev_b32_e32 v0, 2, v0
	s_sub_i32 s6, s26, s10
	v_add_u32_e32 v2, 0x900, v1
	s_lshl_b64 s[0:1], s[0:1], 2
	v_mov_b32_e32 v1, s5
	v_add_co_u32_e32 v3, vcc, s4, v0
	s_lshl_b64 s[4:5], s[16:17], 2
	s_lshl_b32 s7, s10, 2
	s_add_u32 s2, s2, s7
	s_addc_u32 s3, s3, 0
	s_add_u32 s2, s2, s4
	s_addc_u32 s3, s3, s5
	;; [unrolled: 2-line block ×3, first 2 shown]
	v_addc_co_u32_e32 v4, vcc, 0, v1, vcc
	v_pk_mov_b32 v[0:1], s[0:1], s[0:1] op_sel:[0,1]
	v_mad_u64_u32 v[0:1], s[0:1], v3, s22, v[0:1]
	v_mul_lo_u32 v3, v3, s11
	v_mul_lo_u32 v4, v4, s22
	v_add3_u32 v1, v4, v1, v3
.LBB28_86:                              ; =>This Inner Loop Header: Depth=1
	ds_read_b32 v3, v2
	s_add_i32 s6, s6, -1
	v_add_u32_e32 v2, 0x60, v2
	s_cmp_lg_u32 s6, 0
	s_waitcnt lgkmcnt(0)
	global_store_dword v[0:1], v3, off
	v_add_co_u32_e32 v0, vcc, 4, v0
	v_addc_co_u32_e32 v1, vcc, 0, v1, vcc
	s_cbranch_scc1 .LBB28_86
.LBB28_87:
	s_endpgm
	.section	.rodata,"a",@progbits
	.p2align	6, 0x0
	.amdhsa_kernel _ZL38rocblas_trsm_small_left_device_sharedBILi24ELi24ELb1EffPKfPfEv13rocblas_fill_18rocblas_operation_17rocblas_diagonal_iiT3_T4_lilT5_lili
		.amdhsa_group_segment_fixed_size 4608
		.amdhsa_private_segment_fixed_size 0
		.amdhsa_kernarg_size 352
		.amdhsa_user_sgpr_count 6
		.amdhsa_user_sgpr_private_segment_buffer 1
		.amdhsa_user_sgpr_dispatch_ptr 0
		.amdhsa_user_sgpr_queue_ptr 0
		.amdhsa_user_sgpr_kernarg_segment_ptr 1
		.amdhsa_user_sgpr_dispatch_id 0
		.amdhsa_user_sgpr_flat_scratch_init 0
		.amdhsa_user_sgpr_kernarg_preload_length 0
		.amdhsa_user_sgpr_kernarg_preload_offset 0
		.amdhsa_user_sgpr_private_segment_size 0
		.amdhsa_uses_dynamic_stack 0
		.amdhsa_system_sgpr_private_segment_wavefront_offset 0
		.amdhsa_system_sgpr_workgroup_id_x 1
		.amdhsa_system_sgpr_workgroup_id_y 0
		.amdhsa_system_sgpr_workgroup_id_z 1
		.amdhsa_system_sgpr_workgroup_info 0
		.amdhsa_system_vgpr_workitem_id 0
		.amdhsa_next_free_vgpr 116
		.amdhsa_next_free_sgpr 43
		.amdhsa_accum_offset 116
		.amdhsa_reserve_vcc 1
		.amdhsa_reserve_flat_scratch 0
		.amdhsa_float_round_mode_32 0
		.amdhsa_float_round_mode_16_64 0
		.amdhsa_float_denorm_mode_32 3
		.amdhsa_float_denorm_mode_16_64 3
		.amdhsa_dx10_clamp 1
		.amdhsa_ieee_mode 1
		.amdhsa_fp16_overflow 0
		.amdhsa_tg_split 0
		.amdhsa_exception_fp_ieee_invalid_op 0
		.amdhsa_exception_fp_denorm_src 0
		.amdhsa_exception_fp_ieee_div_zero 0
		.amdhsa_exception_fp_ieee_overflow 0
		.amdhsa_exception_fp_ieee_underflow 0
		.amdhsa_exception_fp_ieee_inexact 0
		.amdhsa_exception_int_div_zero 0
	.end_amdhsa_kernel
	.section	.text._ZL38rocblas_trsm_small_left_device_sharedBILi24ELi24ELb1EffPKfPfEv13rocblas_fill_18rocblas_operation_17rocblas_diagonal_iiT3_T4_lilT5_lili,"axG",@progbits,_ZL38rocblas_trsm_small_left_device_sharedBILi24ELi24ELb1EffPKfPfEv13rocblas_fill_18rocblas_operation_17rocblas_diagonal_iiT3_T4_lilT5_lili,comdat
.Lfunc_end28:
	.size	_ZL38rocblas_trsm_small_left_device_sharedBILi24ELi24ELb1EffPKfPfEv13rocblas_fill_18rocblas_operation_17rocblas_diagonal_iiT3_T4_lilT5_lili, .Lfunc_end28-_ZL38rocblas_trsm_small_left_device_sharedBILi24ELi24ELb1EffPKfPfEv13rocblas_fill_18rocblas_operation_17rocblas_diagonal_iiT3_T4_lilT5_lili
                                        ; -- End function
	.section	.AMDGPU.csdata,"",@progbits
; Kernel info:
; codeLenInByte = 23892
; NumSgprs: 47
; NumVgprs: 116
; NumAgprs: 0
; TotalNumVgprs: 116
; ScratchSize: 0
; MemoryBound: 0
; FloatMode: 240
; IeeeMode: 1
; LDSByteSize: 4608 bytes/workgroup (compile time only)
; SGPRBlocks: 5
; VGPRBlocks: 14
; NumSGPRsForWavesPerEU: 47
; NumVGPRsForWavesPerEU: 116
; AccumOffset: 116
; Occupancy: 4
; WaveLimiterHint : 0
; COMPUTE_PGM_RSRC2:SCRATCH_EN: 0
; COMPUTE_PGM_RSRC2:USER_SGPR: 6
; COMPUTE_PGM_RSRC2:TRAP_HANDLER: 0
; COMPUTE_PGM_RSRC2:TGID_X_EN: 1
; COMPUTE_PGM_RSRC2:TGID_Y_EN: 0
; COMPUTE_PGM_RSRC2:TGID_Z_EN: 1
; COMPUTE_PGM_RSRC2:TIDIG_COMP_CNT: 0
; COMPUTE_PGM_RSRC3_GFX90A:ACCUM_OFFSET: 28
; COMPUTE_PGM_RSRC3_GFX90A:TG_SPLIT: 0
	.section	.text._ZL30rocblas_trsm_small_left_deviceILi24ELi24ELb1EffPKfPfEv13rocblas_fill_18rocblas_operation_17rocblas_diagonal_iiT3_T4_lilT5_lili,"axG",@progbits,_ZL30rocblas_trsm_small_left_deviceILi24ELi24ELb1EffPKfPfEv13rocblas_fill_18rocblas_operation_17rocblas_diagonal_iiT3_T4_lilT5_lili,comdat
	.globl	_ZL30rocblas_trsm_small_left_deviceILi24ELi24ELb1EffPKfPfEv13rocblas_fill_18rocblas_operation_17rocblas_diagonal_iiT3_T4_lilT5_lili ; -- Begin function _ZL30rocblas_trsm_small_left_deviceILi24ELi24ELb1EffPKfPfEv13rocblas_fill_18rocblas_operation_17rocblas_diagonal_iiT3_T4_lilT5_lili
	.p2align	8
	.type	_ZL30rocblas_trsm_small_left_deviceILi24ELi24ELb1EffPKfPfEv13rocblas_fill_18rocblas_operation_17rocblas_diagonal_iiT3_T4_lilT5_lili,@function
_ZL30rocblas_trsm_small_left_deviceILi24ELi24ELb1EffPKfPfEv13rocblas_fill_18rocblas_operation_17rocblas_diagonal_iiT3_T4_lilT5_lili: ; @_ZL30rocblas_trsm_small_left_deviceILi24ELi24ELb1EffPKfPfEv13rocblas_fill_18rocblas_operation_17rocblas_diagonal_iiT3_T4_lilT5_lili
; %bb.0:
	s_load_dwordx4 s[8:11], s[4:5], 0x4
	s_load_dword s16, s[4:5], 0x14
	s_load_dwordx4 s[0:3], s[4:5], 0x30
	s_load_dwordx2 s[20:21], s[4:5], 0x40
	s_mov_b32 s19, 0
	s_waitcnt lgkmcnt(0)
	s_min_i32 s18, s10, 24
	v_cmp_gt_i32_e32 vcc, s18, v0
	s_and_saveexec_b64 s[22:23], vcc
	s_cbranch_execz .LBB29_15
; %bb.1:
	s_load_dword s24, s[4:5], 0x28
	s_load_dwordx4 s[12:15], s[4:5], 0x18
	s_cmp_gt_u32 s18, 1
	s_cselect_b64 s[26:27], -1, 0
	s_mov_b32 s17, 1
	s_waitcnt lgkmcnt(0)
	s_cmp_eq_u32 s24, 1
	s_cselect_b64 s[28:29], -1, 0
	s_and_b64 s[28:29], s[26:27], s[28:29]
	s_mov_b64 s[26:27], -1
	s_and_b64 vcc, exec, s[28:29]
	s_cbranch_vccz .LBB29_9
; %bb.2:
	s_add_i32 s26, s18, -2
	s_lshr_b32 s25, s26, 1
	s_add_i32 s25, s25, 1
	s_cmp_lt_u32 s26, 14
	s_mov_b32 s26, s19
	s_cbranch_scc1 .LBB29_5
; %bb.3:
	s_mul_i32 s17, s1, s7
	s_mul_hi_u32 s19, s0, s7
	s_add_i32 s29, s19, s17
	s_mul_i32 s28, s0, s7
	s_and_b32 s27, s25, -8
	s_lshl_b64 s[28:29], s[28:29], 2
	s_lshl_b64 s[30:31], s[14:15], 2
	s_add_u32 s17, s28, s30
	s_addc_u32 s19, s29, s31
	s_add_u32 s17, s12, s17
	v_lshlrev_b32_e32 v1, 2, v0
	s_addc_u32 s19, s13, s19
	v_mov_b32_e32 v2, s19
	v_add_co_u32_e32 v1, vcc, s17, v1
	v_addc_co_u32_e32 v3, vcc, 0, v2, vcc
	v_add_co_u32_e32 v2, vcc, 56, v1
	v_addc_co_u32_e32 v3, vcc, 0, v3, vcc
	s_mov_b32 s17, 1
	s_mov_b32 s26, 0
	;; [unrolled: 1-line block ×3, first 2 shown]
.LBB29_4:                               ; =>This Inner Loop Header: Depth=1
	global_load_dwordx4 v[4:7], v[2:3], off offset:-56
	global_load_dwordx4 v[8:11], v[2:3], off offset:-40
	;; [unrolled: 1-line block ×4, first 2 shown]
	s_mul_i32 s28, s17, 24
	s_mul_i32 s29, s19, 24
	s_add_i32 s26, s26, 16
	s_add_i32 s17, s17, 16
	;; [unrolled: 1-line block ×3, first 2 shown]
	s_add_i32 s27, s27, -8
	v_add_co_u32_e32 v2, vcc, 64, v2
	v_add_lshl_u32 v1, s29, v0, 2
	v_add_lshl_u32 v20, s28, v0, 2
	s_add_i32 s30, s28, 48
	s_add_i32 s31, s29, 48
	;; [unrolled: 1-line block ×12, first 2 shown]
	s_addk_i32 s28, 0x150
	s_addk_i32 s29, 0x150
	v_addc_co_u32_e32 v3, vcc, 0, v3, vcc
	s_cmp_lg_u32 s27, 0
	v_add_lshl_u32 v21, s31, v0, 2
	v_add_lshl_u32 v22, s30, v0, 2
	;; [unrolled: 1-line block ×14, first 2 shown]
	s_waitcnt vmcnt(3)
	ds_write_b32 v1, v4
	ds_write_b32 v20, v5
	ds_write_b32 v21, v6
	ds_write_b32 v22, v7
	s_waitcnt vmcnt(2)
	ds_write_b32 v23, v8
	ds_write_b32 v24, v9
	ds_write_b32 v25, v10
	ds_write_b32 v26, v11
	;; [unrolled: 5-line block ×4, first 2 shown]
	s_cbranch_scc1 .LBB29_4
.LBB29_5:
	s_and_b32 s25, s25, 7
	s_cmp_eq_u32 s25, 0
	s_mov_b32 s27, 0
	s_cbranch_scc1 .LBB29_8
; %bb.6:
	s_mul_i32 s28, s1, s7
	s_mul_hi_u32 s29, s0, s7
	s_add_i32 s29, s29, s28
	s_mul_i32 s28, s0, s7
	s_lshl_b64 s[28:29], s[28:29], 2
	s_lshl_b64 s[30:31], s[14:15], 2
	s_add_u32 s28, s28, s30
	s_addc_u32 s29, s29, s31
	s_lshl_b64 s[26:27], s[26:27], 2
	s_add_u32 s26, s12, s26
	s_addc_u32 s27, s13, s27
	s_add_u32 s26, s26, s28
	v_lshlrev_b32_e32 v1, 2, v0
	s_addc_u32 s27, s27, s29
	v_mov_b32_e32 v3, s27
	v_add_co_u32_e32 v2, vcc, s26, v1
	v_addc_co_u32_e32 v3, vcc, 0, v3, vcc
	s_lshl_b32 s25, s25, 3
.LBB29_7:                               ; =>This Inner Loop Header: Depth=1
	global_load_dwordx2 v[4:5], v[2:3], off
	s_mul_i32 s26, s17, 24
	s_mul_i32 s27, s19, 24
	s_add_i32 s17, s17, 2
	s_add_i32 s19, s19, 2
	v_add_co_u32_e32 v2, vcc, 8, v2
	s_add_i32 s25, s25, -8
	v_addc_co_u32_e32 v3, vcc, 0, v3, vcc
	v_add_lshl_u32 v1, s27, v0, 2
	s_cmp_lg_u32 s25, 0
	v_add_lshl_u32 v6, s26, v0, 2
	s_waitcnt vmcnt(0)
	ds_write_b32 v1, v4
	ds_write_b32 v6, v5
	s_cbranch_scc1 .LBB29_7
.LBB29_8:
	s_and_b32 s19, s18, -2
	s_cmp_lg_u32 s18, s19
	s_cselect_b64 s[26:27], -1, 0
.LBB29_9:
	s_and_b64 vcc, exec, s[26:27]
	s_cbranch_vccz .LBB29_12
; %bb.10:
	s_ashr_i32 s25, s24, 31
	s_mul_i32 s1, s1, s7
	s_mul_hi_u32 s17, s0, s7
	s_add_i32 s1, s17, s1
	s_mul_hi_u32 s17, s24, s19
	s_mul_i32 s26, s25, s19
	s_mul_i32 s0, s0, s7
	s_add_i32 s27, s17, s26
	s_mul_i32 s26, s24, s19
	s_lshl_b64 s[0:1], s[0:1], 2
	s_lshl_b64 s[26:27], s[26:27], 2
	s_add_u32 s17, s0, s26
	s_addc_u32 s26, s1, s27
	s_lshl_b64 s[0:1], s[14:15], 2
	s_add_u32 s0, s17, s0
	s_addc_u32 s1, s26, s1
	s_add_u32 s0, s12, s0
	v_lshlrev_b32_e32 v1, 2, v0
	s_addc_u32 s1, s13, s1
	v_mov_b32_e32 v3, s1
	v_add_co_u32_e32 v2, vcc, s0, v1
	s_lshl_b64 s[0:1], s[24:25], 2
	s_mul_i32 s13, s19, 0x60
	v_addc_co_u32_e32 v3, vcc, 0, v3, vcc
	s_sub_i32 s12, s18, s19
	v_lshl_add_u32 v1, v0, 2, s13
	v_mov_b32_e32 v4, s1
.LBB29_11:                              ; =>This Inner Loop Header: Depth=1
	global_load_dword v5, v[2:3], off
	v_add_co_u32_e32 v2, vcc, s0, v2
	s_add_i32 s12, s12, -1
	v_addc_co_u32_e32 v3, vcc, v3, v4, vcc
	s_cmp_eq_u32 s12, 0
	s_waitcnt vmcnt(0)
	ds_write_b32 v1, v5
	v_add_u32_e32 v1, 0x60, v1
	s_cbranch_scc0 .LBB29_11
.LBB29_12:
	v_mul_u32_u24_e32 v1, 25, v0
	s_cmpk_lg_i32 s9, 0x84
	v_lshlrev_b32_e32 v1, 2, v1
	v_mov_b32_e32 v2, 1.0
	s_cbranch_scc0 .LBB29_14
; %bb.13:
	ds_read_b32 v2, v1
	s_waitcnt lgkmcnt(0)
	v_div_scale_f32 v3, s[0:1], v2, v2, 1.0
	v_rcp_f32_e32 v4, v3
	v_div_scale_f32 v5, vcc, 1.0, v2, 1.0
	v_fma_f32 v6, -v3, v4, 1.0
	v_fmac_f32_e32 v4, v6, v4
	v_mul_f32_e32 v6, v5, v4
	v_fma_f32 v7, -v3, v6, v5
	v_fmac_f32_e32 v6, v7, v4
	v_fma_f32 v3, -v3, v6, v5
	v_div_fmas_f32 v3, v3, v4, v6
	v_div_fixup_f32 v2, v3, v2, 1.0
.LBB29_14:
	ds_write_b32 v1, v2
.LBB29_15:
	s_or_b64 exec, exec, s[22:23]
	s_load_dword s0, s[4:5], 0x60
	s_mul_i32 s1, s6, 0xffffffe8
	s_add_i32 s1, s1, s11
	s_waitcnt lgkmcnt(0)
	; wave barrier
	s_waitcnt lgkmcnt(0)
	s_add_i32 s0, s0, -1
	s_cmp_ge_u32 s6, s0
	s_cselect_b32 s0, s1, 24
	v_cmp_gt_i32_e32 vcc, s0, v0
	s_and_saveexec_b64 s[0:1], vcc
	s_cbranch_execz .LBB29_62
; %bb.16:
	s_load_dwordx2 s[0:1], s[4:5], 0x50
	s_load_dword s9, s[4:5], 0x48
	s_waitcnt lgkmcnt(0)
	s_mul_i32 s1, s7, s1
	s_mul_hi_u32 s4, s7, s0
	s_mul_i32 s0, s7, s0
	s_add_i32 s1, s4, s1
	s_lshl_b64 s[0:1], s[0:1], 2
	s_add_u32 s7, s2, s0
	s_addc_u32 s11, s3, s1
	s_lshl_b64 s[4:5], s[20:21], 2
	s_add_u32 s12, s7, s4
	v_mad_u64_u32 v[0:1], s[6:7], s6, 24, v[0:1]
	v_mad_i64_i32 v[0:1], s[6:7], s9, v0, 0
	s_addc_u32 s11, s11, s5
	v_lshlrev_b64 v[56:57], 2, v[0:1]
	v_mov_b32_e32 v0, s11
	v_add_co_u32_e32 v54, vcc, s12, v56
	v_addc_co_u32_e32 v55, vcc, v0, v57, vcc
	s_cmpk_eq_i32 s8, 0x6f
	s_mov_b64 s[6:7], -1
	s_cbranch_scc1 .LBB29_39
; %bb.17:
	s_add_i32 s6, s18, -1
	s_cmp_gt_i32 s10, 23
	s_mov_b32 s8, s6
	s_cbranch_scc0 .LBB29_19
; %bb.18:
	s_ashr_i32 s19, s18, 31
	s_lshl_b64 s[8:9], s[18:19], 2
	v_mov_b32_e32 v0, s9
	v_add_co_u32_e32 v24, vcc, s8, v54
	v_addc_co_u32_e32 v25, vcc, v55, v0, vcc
	global_load_dword v7, v[24:25], off offset:-4
	s_mov_b32 s19, 0
	s_lshl_b64 s[8:9], s[18:19], 2
	v_mov_b32_e32 v0, s9
	v_add_co_u32_e32 v26, vcc, s8, v54
	v_addc_co_u32_e32 v27, vcc, v55, v0, vcc
	global_load_dwordx3 v[4:6], v[26:27], off offset:-16
	global_load_dwordx4 v[8:11], v[26:27], off offset:-32
	global_load_dwordx4 v[0:3], v[26:27], off offset:-96
	;; [unrolled: 1-line block ×5, first 2 shown]
	s_mul_i32 s7, s18, 24
	s_mul_i32 s8, s6, 0x64
	s_add_i32 s7, s7, s6
	s_add_i32 s9, s8, 0xffffff9c
	;; [unrolled: 1-line block ×6, first 2 shown]
	s_lshl_b32 s7, s7, 2
	v_mov_b32_e32 v29, s9
	v_mov_b32_e32 v30, s11
	;; [unrolled: 1-line block ×5, first 2 shown]
	s_add_i32 s9, s7, 0xfffffee0
	s_add_i32 s11, s7, 0xfffffe7c
	;; [unrolled: 1-line block ×7, first 2 shown]
	v_mov_b32_e32 v28, s8
	v_mov_b32_e32 v31, s9
	;; [unrolled: 1-line block ×8, first 2 shown]
	ds_read_b32 v47, v28
	ds_read2_b32 v[26:27], v29 offset1:1
	ds_read_b32 v48, v31
	ds_read2_b32 v[28:29], v30 offset1:1
	ds_read2_b32 v[30:31], v33 offset1:1
	ds_read2_b32 v[32:33], v32 offset1:1
	ds_read_b32 v49, v34
	ds_read2_b32 v[34:35], v35 offset1:1
	ds_read2_b32 v[36:37], v36 offset1:1
	;; [unrolled: 1-line block ×5, first 2 shown]
	ds_read_b32 v44, v44
	s_add_i32 s19, s7, 0xfffffd5c
	s_add_i32 s20, s7, 0xfffffd54
	v_mov_b32_e32 v45, s19
	v_mov_b32_e32 v46, s20
	s_add_i32 s9, s7, 0xfffffd4c
	s_waitcnt vmcnt(6)
	v_mul_f32_e32 v7, s16, v7
	s_waitcnt lgkmcnt(12)
	v_mul_f32_e32 v7, v47, v7
	s_waitcnt lgkmcnt(11)
	;; [unrolled: 2-line block ×5, first 2 shown]
	v_mul_f32_e32 v44, v7, v44
	v_mul_f32_e32 v48, v7, v49
	s_waitcnt vmcnt(5)
	v_fma_f32 v6, v6, s16, -v27
	v_fma_f32 v5, v5, s16, -v47
	v_mul_f32_e32 v6, v26, v6
	v_fma_f32 v4, v4, s16, -v31
	v_fma_f32 v5, -v6, v29, v5
	v_fma_f32 v4, -v6, v30, v4
	v_mul_f32_e32 v5, v28, v5
	v_fma_f32 v4, -v5, v33, v4
	v_mul_f32_e32 v4, v32, v4
	global_store_dwordx4 v[24:25], v[4:7], off offset:-16
	ds_read_b32 v30, v45
	ds_read2_b32 v[26:27], v46 offset1:1
	s_waitcnt vmcnt(5)
	v_fma_f32 v9, v9, s16, -v44
	v_mov_b32_e32 v28, s9
	s_add_i32 s9, s8, 0xfffffda8
	s_waitcnt lgkmcnt(1)
	v_fma_f32 v9, -v6, v30, v9
	s_waitcnt lgkmcnt(0)
	v_fma_f32 v9, -v5, v27, v9
	v_mov_b32_e32 v27, s9
	s_add_i32 s9, s7, 0xfffffd00
	v_mul_f32_e32 v39, v7, v39
	v_fma_f32 v11, v11, s16, -v48
	v_mov_b32_e32 v30, s9
	v_fma_f32 v10, v10, s16, -v39
	v_fma_f32 v11, -v6, v35, v11
	ds_read2_b32 v[28:29], v28 offset1:1
	ds_read_b32 v30, v30
	v_fma_f32 v10, -v6, v38, v10
	v_fma_f32 v11, -v5, v34, v11
	;; [unrolled: 1-line block ×4, first 2 shown]
	ds_read_b32 v27, v27
	v_fma_f32 v10, -v4, v40, v10
	v_mul_f32_e32 v11, v36, v11
	v_fma_f32 v10, -v11, v43, v10
	v_fma_f32 v9, -v4, v26, v9
	v_mul_f32_e32 v10, v42, v10
	s_waitcnt lgkmcnt(2)
	v_fma_f32 v9, -v11, v29, v9
	s_waitcnt lgkmcnt(1)
	v_mul_f32_e32 v26, v7, v30
	s_add_i32 s9, s7, 0xfffffcf8
	v_fma_f32 v9, -v10, v28, v9
	v_fma_f32 v8, v8, s16, -v26
	v_mov_b32_e32 v26, s9
	s_waitcnt lgkmcnt(0)
	v_mul_f32_e32 v9, v27, v9
	ds_read2_b32 v[26:27], v26 offset1:1
	s_add_i32 s9, s7, 0xfffffcf0
	v_mov_b32_e32 v28, s9
	ds_read2_b32 v[28:29], v28 offset1:1
	s_add_i32 s9, s7, 0xfffffce8
	v_mov_b32_e32 v30, s9
	s_waitcnt lgkmcnt(1)
	v_fma_f32 v8, -v6, v27, v8
	s_add_i32 s9, s8, 0xfffffd44
	ds_read2_b32 v[30:31], v30 offset1:1
	v_fma_f32 v8, -v5, v26, v8
	v_mov_b32_e32 v26, s9
	s_add_i32 s9, s7, 0xfffffca0
	v_mov_b32_e32 v27, s9
	ds_read_b32 v27, v27
	ds_read_b32 v26, v26
	s_waitcnt lgkmcnt(3)
	v_fma_f32 v8, -v4, v29, v8
	v_fma_f32 v8, -v11, v28, v8
	s_waitcnt lgkmcnt(2)
	v_fma_f32 v8, -v10, v31, v8
	v_fma_f32 v8, -v9, v30, v8
	s_waitcnt lgkmcnt(0)
	v_mul_f32_e32 v8, v26, v8
	v_mul_f32_e32 v26, v7, v27
	s_add_i32 s9, s7, 0xfffffc9c
	s_waitcnt vmcnt(1)
	v_fma_f32 v15, v15, s16, -v26
	v_mov_b32_e32 v26, s9
	s_add_i32 s9, s7, 0xfffffc94
	global_store_dwordx4 v[24:25], v[8:11], off offset:-32
	v_mov_b32_e32 v27, s9
	ds_read_b32 v32, v26
	ds_read2_b32 v[26:27], v27 offset1:1
	s_add_i32 s9, s7, 0xfffffc8c
	v_mov_b32_e32 v28, s9
	s_add_i32 s9, s7, 0xfffffc84
	v_mov_b32_e32 v30, s9
	s_waitcnt lgkmcnt(1)
	v_fma_f32 v15, -v6, v32, v15
	ds_read2_b32 v[28:29], v28 offset1:1
	ds_read2_b32 v[30:31], v30 offset1:1
	s_waitcnt lgkmcnt(2)
	v_fma_f32 v15, -v5, v27, v15
	s_add_i32 s9, s8, 0xfffffce0
	v_fma_f32 v15, -v4, v26, v15
	v_mov_b32_e32 v26, s9
	s_add_i32 s9, s7, 0xfffffc40
	v_mov_b32_e32 v27, s9
	ds_read_b32 v26, v26
	ds_read_b32 v27, v27
	s_waitcnt lgkmcnt(3)
	v_fma_f32 v15, -v11, v29, v15
	v_fma_f32 v15, -v10, v28, v15
	s_waitcnt lgkmcnt(2)
	v_fma_f32 v15, -v9, v31, v15
	v_fma_f32 v15, -v8, v30, v15
	s_waitcnt lgkmcnt(1)
	v_mul_f32_e32 v15, v26, v15
	s_waitcnt lgkmcnt(0)
	v_mul_f32_e32 v26, v7, v27
	s_add_i32 s9, s7, 0xfffffc38
	v_fma_f32 v14, v14, s16, -v26
	v_mov_b32_e32 v26, s9
	s_add_i32 s9, s7, 0xfffffc30
	ds_read2_b32 v[26:27], v26 offset1:1
	v_mov_b32_e32 v28, s9
	s_add_i32 s9, s7, 0xfffffc28
	v_mov_b32_e32 v30, s9
	s_add_i32 s9, s7, 0xfffffc20
	v_mov_b32_e32 v32, s9
	ds_read2_b32 v[28:29], v28 offset1:1
	ds_read2_b32 v[30:31], v30 offset1:1
	;; [unrolled: 1-line block ×3, first 2 shown]
	s_waitcnt lgkmcnt(3)
	v_fma_f32 v14, -v6, v27, v14
	s_addk_i32 s8, 0xfc7c
	v_fma_f32 v14, -v5, v26, v14
	v_mov_b32_e32 v26, s8
	s_add_i32 s8, s7, 0xfffffbe0
	s_waitcnt lgkmcnt(2)
	v_fma_f32 v14, -v4, v29, v14
	v_mov_b32_e32 v27, s8
	v_fma_f32 v14, -v11, v28, v14
	ds_read_b32 v26, v26
	ds_read_b32 v27, v27
	s_waitcnt lgkmcnt(3)
	v_fma_f32 v14, -v10, v31, v14
	v_fma_f32 v14, -v9, v30, v14
	s_waitcnt lgkmcnt(2)
	v_fma_f32 v14, -v8, v33, v14
	v_fma_f32 v14, -v15, v32, v14
	s_waitcnt lgkmcnt(1)
	v_mul_f32_e32 v14, v26, v14
	s_waitcnt lgkmcnt(0)
	v_mul_f32_e32 v26, v7, v27
	s_add_i32 s8, s7, 0xfffffbdc
	v_fma_f32 v13, v13, s16, -v26
	v_mov_b32_e32 v26, s8
	s_add_i32 s8, s7, 0xfffffbd4
	v_mov_b32_e32 v27, s8
	ds_read_b32 v32, v26
	ds_read2_b32 v[26:27], v27 offset1:1
	s_add_i32 s8, s7, 0xfffffbcc
	v_mov_b32_e32 v28, s8
	s_add_i32 s8, s7, 0xfffffbc4
	v_mov_b32_e32 v30, s8
	ds_read2_b32 v[28:29], v28 offset1:1
	ds_read2_b32 v[30:31], v30 offset1:1
	s_waitcnt lgkmcnt(3)
	v_fma_f32 v13, -v6, v32, v13
	s_waitcnt lgkmcnt(2)
	v_fma_f32 v13, -v5, v27, v13
	s_add_i32 s8, s7, 0xfffffbbc
	v_fma_f32 v13, -v4, v26, v13
	v_mov_b32_e32 v26, s8
	ds_read2_b32 v[26:27], v26 offset1:1
	s_waitcnt lgkmcnt(2)
	v_fma_f32 v13, -v11, v29, v13
	v_fma_f32 v13, -v10, v28, v13
	s_waitcnt lgkmcnt(1)
	v_fma_f32 v13, -v9, v31, v13
	v_fma_f32 v13, -v8, v30, v13
	s_mul_i32 s8, s18, 0x64
	s_waitcnt lgkmcnt(0)
	v_fma_f32 v13, -v15, v27, v13
	s_add_i32 s9, s8, 0xfffffbb4
	v_fma_f32 v13, -v14, v26, v13
	v_mov_b32_e32 v26, s9
	s_add_i32 s9, s7, 0xfffffb7c
	v_mov_b32_e32 v27, s9
	ds_read_b32 v32, v26
	ds_read2_b32 v[26:27], v27 offset1:1
	s_add_i32 s9, s7, 0xfffffb74
	v_mov_b32_e32 v28, s9
	s_add_i32 s9, s7, 0xfffffb6c
	v_mov_b32_e32 v30, s9
	ds_read2_b32 v[28:29], v28 offset1:1
	ds_read2_b32 v[30:31], v30 offset1:1
	s_waitcnt lgkmcnt(2)
	v_mul_f32_e32 v27, v7, v27
	v_fma_f32 v12, v12, s16, -v27
	v_fma_f32 v12, -v6, v26, v12
	s_waitcnt lgkmcnt(1)
	v_fma_f32 v12, -v5, v29, v12
	s_add_i32 s9, s7, 0xfffffb64
	v_fma_f32 v12, -v4, v28, v12
	v_mov_b32_e32 v26, s9
	s_add_i32 s9, s7, 0xfffffb5c
	s_waitcnt lgkmcnt(0)
	v_fma_f32 v12, -v11, v31, v12
	v_mov_b32_e32 v28, s9
	s_add_i32 s9, s8, 0xfffffb50
	v_fma_f32 v12, -v10, v30, v12
	v_mov_b32_e32 v30, s9
	s_add_i32 s9, s7, 0xfffffb20
	v_mul_f32_e32 v13, v32, v13
	ds_read2_b32 v[26:27], v26 offset1:1
	v_mov_b32_e32 v32, s9
	ds_read2_b32 v[28:29], v28 offset1:1
	ds_read2_b32 v[30:31], v30 offset1:1
	ds_read_b32 v32, v32
	s_add_i32 s9, s7, 0xfffffb18
	s_waitcnt lgkmcnt(3)
	v_fma_f32 v12, -v9, v27, v12
	v_fma_f32 v12, -v8, v26, v12
	s_waitcnt lgkmcnt(0)
	v_mul_f32_e32 v26, v7, v32
	v_fma_f32 v12, -v15, v29, v12
	v_fma_f32 v19, v19, s16, -v26
	v_mov_b32_e32 v26, s9
	v_fma_f32 v12, -v14, v28, v12
	s_add_i32 s9, s7, 0xfffffb10
	ds_read2_b32 v[26:27], v26 offset1:1
	v_fma_f32 v12, -v13, v31, v12
	v_mov_b32_e32 v28, s9
	s_add_i32 s9, s7, 0xfffffb08
	v_mul_f32_e32 v12, v30, v12
	v_mov_b32_e32 v30, s9
	s_add_i32 s9, s7, 0xfffffb00
	global_store_dwordx4 v[24:25], v[12:15], off offset:-48
	v_mov_b32_e32 v32, s9
	ds_read2_b32 v[28:29], v28 offset1:1
	ds_read2_b32 v[30:31], v30 offset1:1
	ds_read2_b32 v[32:33], v32 offset1:1
	s_waitcnt lgkmcnt(3)
	v_fma_f32 v19, -v6, v27, v19
	v_fma_f32 v19, -v5, v26, v19
	s_waitcnt lgkmcnt(2)
	v_fma_f32 v19, -v4, v29, v19
	v_fma_f32 v19, -v11, v28, v19
	s_add_i32 s9, s7, 0xfffffaf8
	s_waitcnt lgkmcnt(1)
	v_fma_f32 v19, -v10, v31, v19
	v_mov_b32_e32 v26, s9
	s_add_i32 s9, s8, 0xfffffaec
	v_fma_f32 v19, -v9, v30, v19
	v_mov_b32_e32 v28, s9
	s_add_i32 s9, s7, 0xfffffabc
	s_waitcnt lgkmcnt(0)
	v_fma_f32 v19, -v8, v33, v19
	v_mov_b32_e32 v30, s9
	s_add_i32 s9, s7, 0xfffffab4
	ds_read2_b32 v[26:27], v26 offset1:1
	v_fma_f32 v19, -v15, v32, v19
	v_mov_b32_e32 v32, s9
	ds_read2_b32 v[28:29], v28 offset1:1
	ds_read2_b32 v[30:31], v30 offset1:1
	;; [unrolled: 1-line block ×3, first 2 shown]
	s_add_i32 s9, s7, 0xfffffaac
	s_waitcnt lgkmcnt(3)
	v_fma_f32 v19, -v14, v27, v19
	v_fma_f32 v19, -v13, v26, v19
	s_waitcnt lgkmcnt(1)
	v_mul_f32_e32 v26, v7, v31
	v_fma_f32 v18, v18, s16, -v26
	v_mov_b32_e32 v26, s9
	v_fma_f32 v19, -v12, v29, v19
	s_add_i32 s9, s7, 0xfffffaa4
	ds_read2_b32 v[26:27], v26 offset1:1
	v_mul_f32_e32 v19, v28, v19
	v_fma_f32 v18, -v6, v30, v18
	v_mov_b32_e32 v28, s9
	s_add_i32 s9, s7, 0xfffffa9c
	s_waitcnt lgkmcnt(1)
	v_fma_f32 v18, -v5, v33, v18
	v_mov_b32_e32 v30, s9
	s_add_i32 s9, s7, 0xfffffa94
	v_fma_f32 v18, -v4, v32, v18
	v_mov_b32_e32 v32, s9
	ds_read2_b32 v[28:29], v28 offset1:1
	ds_read2_b32 v[30:31], v30 offset1:1
	;; [unrolled: 1-line block ×3, first 2 shown]
	s_waitcnt lgkmcnt(3)
	v_fma_f32 v18, -v11, v27, v18
	v_fma_f32 v18, -v10, v26, v18
	s_waitcnt lgkmcnt(2)
	v_fma_f32 v18, -v9, v29, v18
	s_add_i32 s9, s8, 0xfffffa88
	v_fma_f32 v18, -v8, v28, v18
	v_mov_b32_e32 v26, s9
	s_add_i32 s9, s7, 0xfffffa60
	s_waitcnt lgkmcnt(1)
	v_fma_f32 v18, -v15, v31, v18
	v_mov_b32_e32 v28, s9
	s_add_i32 s9, s7, 0xfffffa58
	ds_read2_b32 v[26:27], v26 offset1:1
	v_fma_f32 v18, -v14, v30, v18
	v_mov_b32_e32 v29, s9
	s_add_i32 s9, s7, 0xfffffa50
	s_waitcnt lgkmcnt(1)
	v_fma_f32 v18, -v13, v33, v18
	v_mov_b32_e32 v30, s9
	v_fma_f32 v18, -v12, v32, v18
	ds_read_b32 v32, v28
	ds_read2_b32 v[28:29], v29 offset1:1
	ds_read2_b32 v[30:31], v30 offset1:1
	s_waitcnt lgkmcnt(3)
	v_fma_f32 v18, -v19, v27, v18
	v_mul_f32_e32 v18, v26, v18
	s_waitcnt lgkmcnt(2)
	v_mul_f32_e32 v26, v7, v32
	v_fma_f32 v17, v17, s16, -v26
	s_add_i32 s9, s7, 0xfffffa48
	s_waitcnt lgkmcnt(1)
	v_fma_f32 v17, -v6, v29, v17
	v_mov_b32_e32 v26, s9
	v_fma_f32 v17, -v5, v28, v17
	s_add_i32 s9, s7, 0xfffffa40
	ds_read2_b32 v[26:27], v26 offset1:1
	s_waitcnt lgkmcnt(1)
	v_fma_f32 v17, -v4, v31, v17
	v_mov_b32_e32 v28, s9
	s_add_i32 s9, s7, 0xfffffa38
	v_fma_f32 v17, -v11, v30, v17
	v_mov_b32_e32 v30, s9
	s_add_i32 s9, s7, 0xfffffa30
	v_mov_b32_e32 v32, s9
	ds_read2_b32 v[28:29], v28 offset1:1
	ds_read2_b32 v[30:31], v30 offset1:1
	;; [unrolled: 1-line block ×3, first 2 shown]
	s_waitcnt lgkmcnt(3)
	v_fma_f32 v17, -v10, v27, v17
	v_fma_f32 v17, -v9, v26, v17
	s_waitcnt lgkmcnt(2)
	v_fma_f32 v17, -v8, v29, v17
	v_fma_f32 v17, -v15, v28, v17
	s_add_i32 s9, s8, 0xfffffa24
	s_waitcnt lgkmcnt(1)
	v_fma_f32 v17, -v14, v31, v17
	v_mov_b32_e32 v26, s9
	s_add_i32 s9, s7, 0xfffff9fc
	v_fma_f32 v17, -v13, v30, v17
	v_mov_b32_e32 v28, s9
	s_add_i32 s9, s7, 0xfffff9f4
	ds_read2_b32 v[26:27], v26 offset1:1
	s_waitcnt lgkmcnt(1)
	v_fma_f32 v17, -v12, v33, v17
	v_mov_b32_e32 v30, s9
	s_add_i32 s9, s7, 0xfffff9ec
	v_fma_f32 v17, -v19, v32, v17
	v_mov_b32_e32 v32, s9
	ds_read2_b32 v[28:29], v28 offset1:1
	ds_read2_b32 v[30:31], v30 offset1:1
	;; [unrolled: 1-line block ×3, first 2 shown]
	s_waitcnt lgkmcnt(3)
	v_fma_f32 v17, -v18, v27, v17
	v_mul_f32_e32 v17, v26, v17
	s_waitcnt lgkmcnt(2)
	v_mul_f32_e32 v26, v7, v29
	v_fma_f32 v16, v16, s16, -v26
	s_add_i32 s9, s7, 0xfffff9e4
	v_fma_f32 v16, -v6, v28, v16
	v_mov_b32_e32 v26, s9
	s_waitcnt lgkmcnt(1)
	v_fma_f32 v16, -v5, v31, v16
	s_add_i32 s9, s7, 0xfffff9dc
	ds_read2_b32 v[26:27], v26 offset1:1
	v_fma_f32 v16, -v4, v30, v16
	v_mov_b32_e32 v28, s9
	s_add_i32 s9, s7, 0xfffff9d4
	s_waitcnt lgkmcnt(1)
	v_fma_f32 v16, -v11, v33, v16
	v_mov_b32_e32 v30, s9
	s_add_i32 s9, s7, 0xfffff9cc
	v_fma_f32 v16, -v10, v32, v16
	v_mov_b32_e32 v32, s9
	ds_read2_b32 v[28:29], v28 offset1:1
	ds_read2_b32 v[30:31], v30 offset1:1
	;; [unrolled: 1-line block ×3, first 2 shown]
	s_waitcnt lgkmcnt(3)
	v_fma_f32 v16, -v9, v27, v16
	v_fma_f32 v16, -v8, v26, v16
	s_waitcnt lgkmcnt(2)
	v_fma_f32 v16, -v15, v29, v16
	s_add_i32 s9, s8, 0xfffff9c0
	v_fma_f32 v16, -v14, v28, v16
	v_mov_b32_e32 v26, s9
	s_add_i32 s9, s7, 0xfffff9a0
	s_waitcnt lgkmcnt(1)
	v_fma_f32 v16, -v13, v31, v16
	v_mov_b32_e32 v28, s9
	s_add_i32 s9, s7, 0xfffff998
	ds_read2_b32 v[26:27], v26 offset1:1
	v_fma_f32 v16, -v12, v30, v16
	v_mov_b32_e32 v29, s9
	s_add_i32 s9, s7, 0xfffff990
	s_waitcnt lgkmcnt(1)
	v_fma_f32 v16, -v19, v33, v16
	v_mov_b32_e32 v30, s9
	v_fma_f32 v16, -v18, v32, v16
	ds_read_b32 v32, v28
	ds_read2_b32 v[28:29], v29 offset1:1
	ds_read2_b32 v[30:31], v30 offset1:1
	s_waitcnt lgkmcnt(3)
	v_fma_f32 v16, -v17, v27, v16
	v_mul_f32_e32 v16, v26, v16
	s_waitcnt lgkmcnt(2)
	v_mul_f32_e32 v26, v7, v32
	v_fma_f32 v23, v23, s16, -v26
	s_add_i32 s9, s7, 0xfffff988
	s_waitcnt lgkmcnt(1)
	v_fma_f32 v23, -v6, v29, v23
	v_mov_b32_e32 v26, s9
	v_fma_f32 v23, -v5, v28, v23
	s_add_i32 s9, s7, 0xfffff980
	ds_read2_b32 v[26:27], v26 offset1:1
	s_waitcnt lgkmcnt(1)
	v_fma_f32 v23, -v4, v31, v23
	v_mov_b32_e32 v28, s9
	s_add_i32 s9, s7, 0xfffff978
	v_fma_f32 v23, -v11, v30, v23
	v_mov_b32_e32 v30, s9
	s_add_i32 s9, s7, 0xfffff970
	global_store_dwordx4 v[24:25], v[16:19], off offset:-64
	v_mov_b32_e32 v32, s9
	ds_read2_b32 v[28:29], v28 offset1:1
	ds_read2_b32 v[30:31], v30 offset1:1
	;; [unrolled: 1-line block ×3, first 2 shown]
	s_waitcnt lgkmcnt(3)
	v_fma_f32 v23, -v10, v27, v23
	v_fma_f32 v23, -v9, v26, v23
	s_waitcnt lgkmcnt(2)
	v_fma_f32 v23, -v8, v29, v23
	v_fma_f32 v23, -v15, v28, v23
	s_add_i32 s9, s7, 0xfffff968
	s_waitcnt lgkmcnt(1)
	v_fma_f32 v23, -v14, v31, v23
	v_mov_b32_e32 v26, s9
	s_add_i32 s9, s8, 0xfffff95c
	v_fma_f32 v23, -v13, v30, v23
	v_mov_b32_e32 v28, s9
	s_add_i32 s9, s7, 0xfffff93c
	s_waitcnt lgkmcnt(0)
	v_fma_f32 v23, -v12, v33, v23
	v_mov_b32_e32 v30, s9
	s_add_i32 s9, s7, 0xfffff934
	ds_read2_b32 v[26:27], v26 offset1:1
	v_fma_f32 v23, -v19, v32, v23
	v_mov_b32_e32 v32, s9
	ds_read2_b32 v[28:29], v28 offset1:1
	ds_read2_b32 v[30:31], v30 offset1:1
	;; [unrolled: 1-line block ×3, first 2 shown]
	s_add_i32 s9, s7, 0xfffff92c
	s_waitcnt lgkmcnt(3)
	v_fma_f32 v23, -v18, v27, v23
	v_fma_f32 v23, -v17, v26, v23
	s_waitcnt lgkmcnt(1)
	v_mul_f32_e32 v26, v7, v31
	v_fma_f32 v22, v22, s16, -v26
	v_mov_b32_e32 v26, s9
	v_fma_f32 v23, -v16, v29, v23
	s_add_i32 s9, s7, 0xfffff924
	ds_read2_b32 v[26:27], v26 offset1:1
	v_mul_f32_e32 v23, v28, v23
	v_fma_f32 v22, -v6, v30, v22
	v_mov_b32_e32 v28, s9
	s_add_i32 s9, s7, 0xfffff91c
	s_waitcnt lgkmcnt(1)
	v_fma_f32 v22, -v5, v33, v22
	v_mov_b32_e32 v30, s9
	s_add_i32 s9, s7, 0xfffff914
	v_fma_f32 v22, -v4, v32, v22
	v_mov_b32_e32 v32, s9
	ds_read2_b32 v[28:29], v28 offset1:1
	ds_read2_b32 v[30:31], v30 offset1:1
	;; [unrolled: 1-line block ×3, first 2 shown]
	s_waitcnt lgkmcnt(3)
	v_fma_f32 v22, -v11, v27, v22
	v_fma_f32 v22, -v10, v26, v22
	s_waitcnt lgkmcnt(2)
	v_fma_f32 v22, -v9, v29, v22
	v_fma_f32 v22, -v8, v28, v22
	s_add_i32 s9, s7, 0xfffff90c
	s_waitcnt lgkmcnt(1)
	v_fma_f32 v22, -v15, v31, v22
	v_mov_b32_e32 v26, s9
	s_add_i32 s9, s7, 0xfffff904
	v_fma_f32 v22, -v14, v30, v22
	v_mov_b32_e32 v28, s9
	s_add_i32 s9, s8, 0xfffff8f8
	s_waitcnt lgkmcnt(0)
	v_fma_f32 v22, -v13, v33, v22
	v_mov_b32_e32 v30, s9
	s_add_i32 s9, s7, 0xfffff8e0
	v_fma_f32 v22, -v12, v32, v22
	ds_read2_b32 v[26:27], v26 offset1:1
	v_mov_b32_e32 v32, s9
	ds_read2_b32 v[28:29], v28 offset1:1
	ds_read2_b32 v[30:31], v30 offset1:1
	ds_read_b32 v32, v32
	s_add_i32 s9, s7, 0xfffff8d8
	s_waitcnt lgkmcnt(3)
	v_fma_f32 v22, -v19, v27, v22
	v_fma_f32 v22, -v18, v26, v22
	s_waitcnt lgkmcnt(0)
	v_mul_f32_e32 v26, v7, v32
	v_fma_f32 v22, -v17, v29, v22
	v_fma_f32 v21, v21, s16, -v26
	v_mov_b32_e32 v26, s9
	v_fma_f32 v22, -v16, v28, v22
	s_add_i32 s9, s7, 0xfffff8d0
	ds_read2_b32 v[26:27], v26 offset1:1
	v_fma_f32 v22, -v23, v31, v22
	v_mov_b32_e32 v28, s9
	s_add_i32 s9, s7, 0xfffff8c8
	v_mul_f32_e32 v22, v30, v22
	v_mov_b32_e32 v30, s9
	s_add_i32 s9, s7, 0xfffff8c0
	v_mov_b32_e32 v32, s9
	ds_read2_b32 v[28:29], v28 offset1:1
	ds_read2_b32 v[30:31], v30 offset1:1
	;; [unrolled: 1-line block ×3, first 2 shown]
	s_waitcnt lgkmcnt(3)
	v_fma_f32 v21, -v6, v27, v21
	v_fma_f32 v21, -v5, v26, v21
	s_waitcnt lgkmcnt(2)
	v_fma_f32 v21, -v4, v29, v21
	s_add_i32 s9, s7, 0xfffff8b8
	v_fma_f32 v21, -v11, v28, v21
	v_mov_b32_e32 v26, s9
	s_waitcnt lgkmcnt(1)
	v_fma_f32 v21, -v10, v31, v21
	s_add_i32 s9, s7, 0xfffff8b0
	ds_read2_b32 v[26:27], v26 offset1:1
	v_fma_f32 v21, -v9, v30, v21
	v_mov_b32_e32 v28, s9
	s_add_i32 s9, s7, 0xfffff8a8
	s_waitcnt lgkmcnt(1)
	v_fma_f32 v21, -v8, v33, v21
	v_mov_b32_e32 v30, s9
	s_add_i32 s9, s7, 0xfffff8a0
	v_fma_f32 v21, -v15, v32, v21
	v_mov_b32_e32 v32, s9
	ds_read2_b32 v[28:29], v28 offset1:1
	ds_read2_b32 v[30:31], v30 offset1:1
	;; [unrolled: 1-line block ×3, first 2 shown]
	s_waitcnt lgkmcnt(3)
	v_fma_f32 v21, -v14, v27, v21
	v_fma_f32 v21, -v13, v26, v21
	s_waitcnt lgkmcnt(2)
	v_fma_f32 v21, -v12, v29, v21
	v_fma_f32 v21, -v19, v28, v21
	s_add_i32 s9, s8, 0xfffff894
	s_waitcnt lgkmcnt(1)
	v_fma_f32 v21, -v18, v31, v21
	v_mov_b32_e32 v26, s9
	s_add_i32 s9, s7, 0xfffff87c
	v_fma_f32 v21, -v17, v30, v21
	v_mov_b32_e32 v28, s9
	s_add_i32 s9, s7, 0xfffff874
	ds_read2_b32 v[26:27], v26 offset1:1
	s_waitcnt lgkmcnt(1)
	v_fma_f32 v21, -v16, v33, v21
	v_mov_b32_e32 v30, s9
	s_add_i32 s9, s7, 0xfffff86c
	v_fma_f32 v21, -v23, v32, v21
	v_mov_b32_e32 v32, s9
	ds_read2_b32 v[28:29], v28 offset1:1
	ds_read2_b32 v[30:31], v30 offset1:1
	;; [unrolled: 1-line block ×3, first 2 shown]
	s_waitcnt lgkmcnt(3)
	v_fma_f32 v21, -v22, v27, v21
	v_mul_f32_e32 v21, v26, v21
	s_waitcnt lgkmcnt(2)
	v_mul_f32_e32 v26, v7, v29
	v_fma_f32 v20, v20, s16, -v26
	s_add_i32 s9, s7, 0xfffff864
	v_fma_f32 v20, -v6, v28, v20
	v_mov_b32_e32 v26, s9
	s_waitcnt lgkmcnt(1)
	v_fma_f32 v20, -v5, v31, v20
	s_add_i32 s9, s7, 0xfffff85c
	ds_read2_b32 v[26:27], v26 offset1:1
	v_fma_f32 v20, -v4, v30, v20
	v_mov_b32_e32 v28, s9
	s_add_i32 s9, s7, 0xfffff854
	s_waitcnt lgkmcnt(1)
	v_fma_f32 v20, -v11, v33, v20
	v_mov_b32_e32 v30, s9
	s_add_i32 s9, s7, 0xfffff84c
	v_fma_f32 v20, -v10, v32, v20
	v_mov_b32_e32 v32, s9
	ds_read2_b32 v[28:29], v28 offset1:1
	ds_read2_b32 v[30:31], v30 offset1:1
	;; [unrolled: 1-line block ×3, first 2 shown]
	s_waitcnt lgkmcnt(3)
	v_fma_f32 v20, -v9, v27, v20
	v_fma_f32 v20, -v8, v26, v20
	s_waitcnt lgkmcnt(2)
	v_fma_f32 v20, -v15, v29, v20
	v_fma_f32 v20, -v14, v28, v20
	s_add_i32 s9, s7, 0xfffff844
	s_waitcnt lgkmcnt(1)
	v_fma_f32 v20, -v13, v31, v20
	v_mov_b32_e32 v26, s9
	s_add_i32 s9, s7, 0xfffff83c
	v_fma_f32 v20, -v12, v30, v20
	v_mov_b32_e32 v28, s9
	s_add_i32 s9, s8, 0xfffff830
	s_waitcnt lgkmcnt(0)
	v_fma_f32 v20, -v19, v33, v20
	v_mov_b32_e32 v30, s9
	s_add_i32 s9, s7, 0xfffff820
	v_fma_f32 v20, -v18, v32, v20
	ds_read2_b32 v[26:27], v26 offset1:1
	v_mov_b32_e32 v32, s9
	ds_read2_b32 v[28:29], v28 offset1:1
	ds_read2_b32 v[30:31], v30 offset1:1
	ds_read_b32 v32, v32
	s_add_i32 s9, s7, 0xfffff818
	s_waitcnt lgkmcnt(3)
	v_fma_f32 v20, -v17, v27, v20
	v_fma_f32 v20, -v16, v26, v20
	s_waitcnt lgkmcnt(0)
	v_mul_f32_e32 v26, v7, v32
	v_fma_f32 v20, -v23, v29, v20
	v_fma_f32 v3, v3, s16, -v26
	v_mov_b32_e32 v26, s9
	v_fma_f32 v20, -v22, v28, v20
	s_add_i32 s9, s7, 0xfffff810
	ds_read2_b32 v[26:27], v26 offset1:1
	v_fma_f32 v20, -v21, v31, v20
	v_mov_b32_e32 v28, s9
	s_add_i32 s9, s7, 0xfffff808
	v_mul_f32_e32 v20, v30, v20
	v_mov_b32_e32 v30, s9
	s_add_i32 s9, s7, 0xfffff800
	global_store_dwordx4 v[24:25], v[20:23], off offset:-80
	v_mov_b32_e32 v32, s9
	ds_read2_b32 v[28:29], v28 offset1:1
	ds_read2_b32 v[30:31], v30 offset1:1
	ds_read2_b32 v[32:33], v32 offset1:1
	s_waitcnt lgkmcnt(3)
	v_fma_f32 v3, -v6, v27, v3
	v_fma_f32 v3, -v5, v26, v3
	s_waitcnt lgkmcnt(2)
	v_fma_f32 v3, -v4, v29, v3
	s_add_i32 s9, s7, 0xfffff7f8
	v_fma_f32 v3, -v11, v28, v3
	v_mov_b32_e32 v26, s9
	s_waitcnt lgkmcnt(1)
	v_fma_f32 v3, -v10, v31, v3
	s_add_i32 s9, s7, 0xfffff7f0
	ds_read2_b32 v[26:27], v26 offset1:1
	v_fma_f32 v3, -v9, v30, v3
	v_mov_b32_e32 v28, s9
	s_add_i32 s9, s7, 0xfffff7e8
	s_waitcnt lgkmcnt(1)
	v_fma_f32 v3, -v8, v33, v3
	v_mov_b32_e32 v30, s9
	s_add_i32 s9, s7, 0xfffff7e0
	v_fma_f32 v3, -v15, v32, v3
	v_mov_b32_e32 v32, s9
	ds_read2_b32 v[28:29], v28 offset1:1
	ds_read2_b32 v[30:31], v30 offset1:1
	;; [unrolled: 1-line block ×3, first 2 shown]
	s_waitcnt lgkmcnt(3)
	v_fma_f32 v3, -v14, v27, v3
	v_fma_f32 v3, -v13, v26, v3
	s_waitcnt lgkmcnt(2)
	v_fma_f32 v3, -v12, v29, v3
	v_fma_f32 v3, -v19, v28, v3
	s_add_i32 s9, s7, 0xfffff7d8
	s_waitcnt lgkmcnt(1)
	v_fma_f32 v3, -v18, v31, v3
	v_mov_b32_e32 v26, s9
	s_add_i32 s9, s8, 0xfffff7cc
	v_fma_f32 v3, -v17, v30, v3
	v_mov_b32_e32 v28, s9
	s_add_i32 s9, s7, 0xfffff7bc
	s_waitcnt lgkmcnt(0)
	v_fma_f32 v3, -v16, v33, v3
	v_mov_b32_e32 v30, s9
	s_add_i32 s9, s7, 0xfffff7b4
	ds_read2_b32 v[26:27], v26 offset1:1
	v_fma_f32 v3, -v23, v32, v3
	v_mov_b32_e32 v32, s9
	ds_read2_b32 v[28:29], v28 offset1:1
	ds_read2_b32 v[30:31], v30 offset1:1
	;; [unrolled: 1-line block ×3, first 2 shown]
	s_add_i32 s9, s7, 0xfffff7ac
	s_waitcnt lgkmcnt(3)
	v_fma_f32 v3, -v22, v27, v3
	v_fma_f32 v3, -v21, v26, v3
	s_waitcnt lgkmcnt(1)
	v_mul_f32_e32 v26, v7, v31
	v_fma_f32 v2, v2, s16, -v26
	v_mov_b32_e32 v26, s9
	v_fma_f32 v3, -v20, v29, v3
	s_add_i32 s9, s7, 0xfffff7a4
	ds_read2_b32 v[26:27], v26 offset1:1
	v_mul_f32_e32 v3, v28, v3
	v_fma_f32 v2, -v6, v30, v2
	v_mov_b32_e32 v28, s9
	s_add_i32 s9, s7, 0xfffff79c
	s_waitcnt lgkmcnt(1)
	v_fma_f32 v2, -v5, v33, v2
	v_mov_b32_e32 v30, s9
	s_add_i32 s9, s7, 0xfffff794
	v_fma_f32 v2, -v4, v32, v2
	v_mov_b32_e32 v32, s9
	ds_read2_b32 v[28:29], v28 offset1:1
	ds_read2_b32 v[30:31], v30 offset1:1
	;; [unrolled: 1-line block ×3, first 2 shown]
	s_waitcnt lgkmcnt(3)
	v_fma_f32 v2, -v11, v27, v2
	v_fma_f32 v2, -v10, v26, v2
	s_waitcnt lgkmcnt(2)
	v_fma_f32 v2, -v9, v29, v2
	s_add_i32 s9, s7, 0xfffff78c
	v_fma_f32 v2, -v8, v28, v2
	v_mov_b32_e32 v26, s9
	s_waitcnt lgkmcnt(1)
	v_fma_f32 v2, -v15, v31, v2
	s_add_i32 s9, s7, 0xfffff784
	ds_read2_b32 v[26:27], v26 offset1:1
	v_fma_f32 v2, -v14, v30, v2
	v_mov_b32_e32 v28, s9
	s_add_i32 s9, s7, 0xfffff77c
	s_waitcnt lgkmcnt(1)
	v_fma_f32 v2, -v13, v33, v2
	v_mov_b32_e32 v30, s9
	s_add_i32 s9, s7, 0xfffff774
	v_fma_f32 v2, -v12, v32, v2
	v_mov_b32_e32 v32, s9
	ds_read2_b32 v[28:29], v28 offset1:1
	ds_read2_b32 v[30:31], v30 offset1:1
	;; [unrolled: 1-line block ×3, first 2 shown]
	s_waitcnt lgkmcnt(3)
	v_fma_f32 v2, -v19, v27, v2
	v_fma_f32 v2, -v18, v26, v2
	s_waitcnt lgkmcnt(2)
	v_fma_f32 v2, -v17, v29, v2
	s_add_i32 s9, s8, 0xfffff768
	v_fma_f32 v2, -v16, v28, v2
	v_mov_b32_e32 v26, s9
	s_add_i32 s9, s7, 0xfffff760
	s_waitcnt lgkmcnt(1)
	v_fma_f32 v2, -v23, v31, v2
	v_mov_b32_e32 v28, s9
	s_add_i32 s9, s7, 0xfffff758
	ds_read2_b32 v[26:27], v26 offset1:1
	v_fma_f32 v2, -v22, v30, v2
	v_mov_b32_e32 v29, s9
	s_add_i32 s9, s7, 0xfffff750
	s_waitcnt lgkmcnt(1)
	v_fma_f32 v2, -v21, v33, v2
	v_mov_b32_e32 v30, s9
	v_fma_f32 v2, -v20, v32, v2
	ds_read_b32 v32, v28
	ds_read2_b32 v[28:29], v29 offset1:1
	ds_read2_b32 v[30:31], v30 offset1:1
	s_waitcnt lgkmcnt(3)
	v_fma_f32 v2, -v3, v27, v2
	v_mul_f32_e32 v2, v26, v2
	s_waitcnt lgkmcnt(2)
	v_mul_f32_e32 v26, v7, v32
	v_fma_f32 v1, v1, s16, -v26
	s_add_i32 s9, s7, 0xfffff748
	s_waitcnt lgkmcnt(1)
	v_fma_f32 v1, -v6, v29, v1
	v_mov_b32_e32 v26, s9
	v_fma_f32 v1, -v5, v28, v1
	s_add_i32 s9, s7, 0xfffff740
	ds_read2_b32 v[26:27], v26 offset1:1
	s_waitcnt lgkmcnt(1)
	v_fma_f32 v1, -v4, v31, v1
	v_mov_b32_e32 v28, s9
	s_add_i32 s9, s7, 0xfffff738
	v_fma_f32 v1, -v11, v30, v1
	v_mov_b32_e32 v30, s9
	s_add_i32 s9, s7, 0xfffff730
	v_mov_b32_e32 v32, s9
	ds_read2_b32 v[28:29], v28 offset1:1
	ds_read2_b32 v[30:31], v30 offset1:1
	;; [unrolled: 1-line block ×3, first 2 shown]
	s_waitcnt lgkmcnt(3)
	v_fma_f32 v1, -v10, v27, v1
	v_fma_f32 v1, -v9, v26, v1
	s_waitcnt lgkmcnt(2)
	v_fma_f32 v1, -v8, v29, v1
	s_add_i32 s9, s7, 0xfffff728
	v_fma_f32 v1, -v15, v28, v1
	v_mov_b32_e32 v26, s9
	s_waitcnt lgkmcnt(1)
	v_fma_f32 v1, -v14, v31, v1
	s_add_i32 s9, s7, 0xfffff720
	ds_read2_b32 v[26:27], v26 offset1:1
	v_fma_f32 v1, -v13, v30, v1
	v_mov_b32_e32 v28, s9
	s_add_i32 s9, s7, 0xfffff718
	s_waitcnt lgkmcnt(1)
	v_fma_f32 v1, -v12, v33, v1
	v_mov_b32_e32 v30, s9
	s_add_i32 s9, s7, 0xfffff710
	v_fma_f32 v1, -v19, v32, v1
	v_mov_b32_e32 v32, s9
	ds_read2_b32 v[28:29], v28 offset1:1
	ds_read2_b32 v[30:31], v30 offset1:1
	;; [unrolled: 1-line block ×3, first 2 shown]
	s_waitcnt lgkmcnt(3)
	v_fma_f32 v1, -v18, v27, v1
	v_fma_f32 v1, -v17, v26, v1
	s_waitcnt lgkmcnt(2)
	v_fma_f32 v1, -v16, v29, v1
	v_fma_f32 v1, -v23, v28, v1
	s_add_i32 s9, s8, 0xfffff704
	s_waitcnt lgkmcnt(1)
	v_fma_f32 v1, -v22, v31, v1
	v_mov_b32_e32 v26, s9
	s_add_i32 s9, s7, 0xfffff6fc
	v_fma_f32 v1, -v21, v30, v1
	v_mov_b32_e32 v28, s9
	s_add_i32 s9, s7, 0xfffff6f4
	s_waitcnt lgkmcnt(0)
	v_fma_f32 v1, -v20, v33, v1
	v_mov_b32_e32 v30, s9
	s_add_i32 s9, s7, 0xfffff6ec
	v_fma_f32 v1, -v3, v32, v1
	v_mov_b32_e32 v32, s9
	ds_read2_b32 v[26:27], v26 offset1:1
	ds_read2_b32 v[28:29], v28 offset1:1
	;; [unrolled: 1-line block ×4, first 2 shown]
	s_add_i32 s9, s7, 0xfffff6e4
	s_waitcnt lgkmcnt(2)
	v_mul_f32_e32 v7, v7, v29
	v_fma_f32 v0, v0, s16, -v7
	v_fma_f32 v0, -v6, v28, v0
	s_waitcnt lgkmcnt(1)
	v_fma_f32 v0, -v5, v31, v0
	v_fma_f32 v0, -v4, v30, v0
	v_mov_b32_e32 v4, s9
	s_add_i32 s9, s7, 0xfffff6dc
	ds_read2_b32 v[4:5], v4 offset1:1
	s_waitcnt lgkmcnt(1)
	v_fma_f32 v0, -v11, v33, v0
	v_mov_b32_e32 v6, s9
	s_add_i32 s9, s7, 0xfffff6d4
	v_fma_f32 v1, -v2, v27, v1
	v_fma_f32 v0, -v10, v32, v0
	v_mov_b32_e32 v10, s9
	s_add_i32 s9, s7, 0xfffff6cc
	v_mul_f32_e32 v1, v26, v1
	v_mov_b32_e32 v26, s9
	ds_read2_b32 v[6:7], v6 offset1:1
	ds_read2_b32 v[10:11], v10 offset1:1
	;; [unrolled: 1-line block ×3, first 2 shown]
	s_waitcnt lgkmcnt(3)
	v_fma_f32 v0, -v9, v5, v0
	v_fma_f32 v0, -v8, v4, v0
	s_add_i32 s9, s7, 0xfffff6c4
	s_waitcnt lgkmcnt(2)
	v_fma_f32 v0, -v15, v7, v0
	v_mov_b32_e32 v4, s9
	v_fma_f32 v0, -v14, v6, v0
	ds_read2_b32 v[4:5], v4 offset1:1
	s_waitcnt lgkmcnt(2)
	v_fma_f32 v0, -v13, v11, v0
	s_add_i32 s9, s7, 0xfffff6bc
	v_fma_f32 v0, -v12, v10, v0
	v_mov_b32_e32 v6, s9
	s_add_i32 s9, s7, 0xfffff6b4
	s_addk_i32 s7, 0xf6ac
	s_waitcnt lgkmcnt(1)
	v_fma_f32 v0, -v19, v27, v0
	v_mov_b32_e32 v8, s9
	v_mov_b32_e32 v10, s7
	v_fma_f32 v0, -v18, v26, v0
	ds_read2_b32 v[6:7], v6 offset1:1
	ds_read2_b32 v[8:9], v8 offset1:1
	;; [unrolled: 1-line block ×3, first 2 shown]
	s_waitcnt lgkmcnt(3)
	v_fma_f32 v0, -v17, v5, v0
	v_fma_f32 v0, -v16, v4, v0
	s_add_i32 s7, s8, 0xfffff6a0
	s_waitcnt lgkmcnt(2)
	v_fma_f32 v0, -v23, v7, v0
	v_mov_b32_e32 v4, s7
	v_fma_f32 v0, -v22, v6, v0
	ds_read2_b32 v[4:5], v4 offset1:1
	s_waitcnt lgkmcnt(2)
	v_fma_f32 v0, -v21, v9, v0
	v_fma_f32 v0, -v20, v8, v0
	s_waitcnt lgkmcnt(1)
	v_fma_f32 v0, -v3, v11, v0
	v_fma_f32 v0, -v2, v10, v0
	s_waitcnt lgkmcnt(0)
	v_fma_f32 v0, -v1, v5, v0
	v_mul_f32_e32 v0, v4, v0
	s_sub_i32 s8, s18, 25
	global_store_dwordx4 v[24:25], v[0:3], off offset:-96
.LBB29_19:
	s_cmp_gt_i32 s8, -1
	s_cbranch_scc0 .LBB29_38
; %bb.20:
	s_cmp_lt_u32 s8, 19
	s_cbranch_scc1 .LBB29_25
; %bb.21:
	s_mov_b32 s9, 0
	s_lshl_b64 s[12:13], s[8:9], 2
	v_mov_b32_e32 v0, s13
	v_add_co_u32_e32 v12, vcc, s12, v54
	v_addc_co_u32_e32 v13, vcc, v55, v0, vcc
	global_load_dwordx4 v[0:3], v[12:13], off offset:-12
	global_load_dwordx4 v[4:7], v[12:13], off offset:-28
	;; [unrolled: 1-line block ×5, first 2 shown]
	s_cmp_le_i32 s6, s8
	s_waitcnt vmcnt(4)
	v_pk_mul_f32 v[14:15], v[2:3], s[16:17] op_sel_hi:[1,0]
	v_pk_mul_f32 v[22:23], v[0:1], s[16:17] op_sel_hi:[1,0]
	s_waitcnt vmcnt(3)
	v_pk_mul_f32 v[2:3], v[6:7], s[16:17] op_sel_hi:[1,0]
	v_pk_mul_f32 v[0:1], v[4:5], s[16:17] op_sel_hi:[1,0]
	;; [unrolled: 3-line block ×5, first 2 shown]
	s_cbranch_scc1 .LBB29_24
; %bb.22:
	s_mul_i32 s7, s8, 0x60
	s_lshl_b32 s9, s18, 2
	s_add_i32 s7, s7, s9
	s_add_i32 s9, s7, 0xfffff8dc
	s_ashr_i32 s7, s6, 31
	s_lshl_b64 s[12:13], s[6:7], 2
	s_add_u32 s7, s2, s12
	s_addc_u32 s11, s3, s13
	s_add_u32 s7, s7, s4
	s_addc_u32 s11, s11, s5
	;; [unrolled: 2-line block ×3, first 2 shown]
	v_mov_b32_e32 v21, s11
	v_add_co_u32_e32 v20, vcc, s7, v56
	v_addc_co_u32_e32 v21, vcc, v21, v57, vcc
	s_mov_b32 s7, s6
.LBB29_23:                              ; =>This Inner Loop Header: Depth=1
	global_load_dword v24, v[20:21], off
	v_mov_b32_e32 v25, s9
	v_add_u32_e32 v42, 0x400, v25
	v_add_u32_e32 v44, 0x200, v25
	ds_read2_b32 v[26:27], v25 offset0:192 offset1:216
	ds_read2_b32 v[28:29], v25 offset0:144 offset1:168
	ds_read2_b32 v[30:31], v25 offset0:96 offset1:120
	ds_read2_b32 v[32:33], v25 offset0:48 offset1:72
	ds_read2_b32 v[34:35], v25 offset1:24
	ds_read2_b32 v[36:37], v42 offset0:176 offset1:200
	ds_read2_b32 v[38:39], v42 offset0:128 offset1:152
	;; [unrolled: 1-line block ×5, first 2 shown]
	s_add_i32 s7, s7, -1
	s_add_i32 s9, s9, -4
	v_add_co_u32_e32 v20, vcc, -4, v20
	v_addc_co_u32_e32 v21, vcc, -1, v21, vcc
	s_cmp_gt_i32 s7, s8
	s_waitcnt vmcnt(0) lgkmcnt(4)
	v_pk_fma_f32 v[14:15], v[24:25], v[36:37], v[14:15] op_sel_hi:[0,1,1] neg_lo:[1,0,0] neg_hi:[1,0,0]
	s_waitcnt lgkmcnt(3)
	v_pk_fma_f32 v[22:23], v[24:25], v[38:39], v[22:23] op_sel_hi:[0,1,1] neg_lo:[1,0,0] neg_hi:[1,0,0]
	s_waitcnt lgkmcnt(2)
	v_pk_fma_f32 v[2:3], v[24:25], v[40:41], v[2:3] op_sel_hi:[0,1,1] neg_lo:[1,0,0] neg_hi:[1,0,0]
	s_waitcnt lgkmcnt(1)
	v_pk_fma_f32 v[0:1], v[24:25], v[42:43], v[0:1] op_sel_hi:[0,1,1] neg_lo:[1,0,0] neg_hi:[1,0,0]
	s_waitcnt lgkmcnt(0)
	v_pk_fma_f32 v[6:7], v[24:25], v[44:45], v[6:7] op_sel_hi:[0,1,1] neg_lo:[1,0,0] neg_hi:[1,0,0]
	v_pk_fma_f32 v[4:5], v[24:25], v[26:27], v[4:5] op_sel_hi:[0,1,1] neg_lo:[1,0,0] neg_hi:[1,0,0]
	;; [unrolled: 1-line block ×6, first 2 shown]
	s_cbranch_scc1 .LBB29_23
.LBB29_24:
	s_mul_i32 s7, s8, 0x64
	v_mov_b32_e32 v20, s7
	s_add_i32 s9, s7, 0xffffff9c
	v_mov_b32_e32 v21, s9
	s_add_i32 s9, s7, 0xffffff40
	ds_read_b32 v26, v20
	v_mov_b32_e32 v24, s9
	s_add_i32 s9, s7, 0xffffff38
	v_mov_b32_e32 v25, s9
	ds_read2_b32 v[20:21], v21 offset1:1
	ds_read_b32 v27, v24
	ds_read2_b32 v[24:25], v25 offset1:1
	s_waitcnt lgkmcnt(3)
	v_mul_f32_e32 v15, v26, v15
	s_ashr_i32 s9, s8, 31
	global_store_dword v[12:13], v15, off
	s_waitcnt lgkmcnt(2)
	v_fma_f32 v12, -v15, v21, v14
	s_lshl_b64 s[12:13], s[8:9], 2
	v_mul_f32_e32 v14, v20, v12
	v_mov_b32_e32 v12, s13
	v_add_co_u32_e32 v20, vcc, s12, v54
	v_addc_co_u32_e32 v21, vcc, v55, v12, vcc
	s_waitcnt lgkmcnt(1)
	v_fma_f32 v12, -v15, v27, v23
	s_waitcnt lgkmcnt(0)
	v_fma_f32 v12, -v14, v25, v12
	s_add_i32 s9, s7, 0xfffffedc
	v_mul_f32_e32 v13, v24, v12
	v_mov_b32_e32 v12, s9
	s_add_i32 s9, s7, 0xfffffed4
	v_mov_b32_e32 v23, s9
	s_add_i32 s9, s7, 0xfffffe80
	ds_read2_b32 v[24:25], v12 offset1:1
	v_mov_b32_e32 v28, s9
	s_add_i32 s9, s7, 0xfffffe78
	v_mov_b32_e32 v12, s9
	ds_read2_b32 v[26:27], v23 offset1:1
	ds_read_b32 v23, v28
	ds_read2_b32 v[28:29], v12 offset1:1
	s_add_i32 s9, s7, 0xfffffe70
	s_waitcnt lgkmcnt(3)
	v_fma_f32 v12, -v15, v25, v22
	v_mov_b32_e32 v22, s9
	s_waitcnt lgkmcnt(1)
	v_fma_f32 v3, -v15, v23, v3
	ds_read2_b32 v[22:23], v22 offset1:1
	v_fma_f32 v12, -v14, v24, v12
	s_add_i32 s9, s7, 0xfffffe1c
	v_fma_f32 v12, -v13, v27, v12
	s_waitcnt lgkmcnt(1)
	v_fma_f32 v3, -v14, v29, v3
	v_mov_b32_e32 v24, s9
	s_add_i32 s9, s7, 0xfffffe14
	v_mul_f32_e32 v12, v26, v12
	v_fma_f32 v3, -v13, v28, v3
	v_mov_b32_e32 v26, s9
	s_add_i32 s9, s7, 0xfffffe0c
	v_mov_b32_e32 v28, s9
	s_waitcnt lgkmcnt(0)
	v_fma_f32 v3, -v12, v23, v3
	s_add_i32 s9, s7, 0xfffffdc0
	global_store_dwordx3 v[20:21], v[12:14], off offset:-12
	v_mul_f32_e32 v3, v22, v3
	v_mov_b32_e32 v22, s9
	ds_read2_b32 v[24:25], v24 offset1:1
	ds_read2_b32 v[26:27], v26 offset1:1
	;; [unrolled: 1-line block ×3, first 2 shown]
	ds_read_b32 v22, v22
	s_add_i32 s9, s7, 0xfffffdbc
	s_waitcnt lgkmcnt(3)
	v_fma_f32 v2, -v15, v25, v2
	v_fma_f32 v2, -v14, v24, v2
	s_waitcnt lgkmcnt(2)
	v_fma_f32 v2, -v13, v27, v2
	s_waitcnt lgkmcnt(0)
	v_fma_f32 v1, -v15, v22, v1
	v_mov_b32_e32 v22, s9
	s_add_i32 s9, s7, 0xfffffdb4
	v_mov_b32_e32 v23, s9
	v_fma_f32 v2, -v12, v26, v2
	ds_read_b32 v26, v22
	ds_read2_b32 v[22:23], v23 offset1:1
	s_add_i32 s9, s7, 0xfffffdac
	v_mov_b32_e32 v24, s9
	ds_read2_b32 v[24:25], v24 offset1:1
	s_waitcnt lgkmcnt(2)
	v_fma_f32 v1, -v14, v26, v1
	s_add_i32 s9, s7, 0xfffffda8
	s_waitcnt lgkmcnt(1)
	v_fma_f32 v1, -v13, v23, v1
	v_mov_b32_e32 v23, s9
	ds_read_b32 v23, v23
	s_add_i32 s9, s7, 0xfffffd60
	v_fma_f32 v2, -v3, v29, v2
	v_mov_b32_e32 v26, s9
	ds_read_b32 v26, v26
	v_fma_f32 v1, -v12, v22, v1
	v_mul_f32_e32 v2, v28, v2
	s_waitcnt lgkmcnt(2)
	v_fma_f32 v1, -v3, v25, v1
	s_add_i32 s9, s7, 0xfffffd58
	v_fma_f32 v1, -v2, v24, v1
	v_mov_b32_e32 v22, s9
	s_waitcnt lgkmcnt(1)
	v_mul_f32_e32 v1, v23, v1
	ds_read2_b32 v[22:23], v22 offset1:1
	s_add_i32 s9, s7, 0xfffffd50
	v_mov_b32_e32 v24, s9
	ds_read2_b32 v[24:25], v24 offset1:1
	s_add_i32 s9, s7, 0xfffffd48
	s_waitcnt lgkmcnt(2)
	v_fma_f32 v0, -v15, v26, v0
	v_mov_b32_e32 v26, s9
	ds_read2_b32 v[26:27], v26 offset1:1
	s_waitcnt lgkmcnt(2)
	v_fma_f32 v0, -v14, v23, v0
	s_add_i32 s9, s7, 0xfffffd44
	v_fma_f32 v0, -v13, v22, v0
	v_mov_b32_e32 v22, s9
	s_add_i32 s9, s7, 0xfffffd00
	ds_read_b32 v22, v22
	v_mov_b32_e32 v23, s9
	ds_read_b32 v23, v23
	s_waitcnt lgkmcnt(3)
	v_fma_f32 v0, -v12, v25, v0
	v_fma_f32 v0, -v3, v24, v0
	s_waitcnt lgkmcnt(2)
	v_fma_f32 v0, -v2, v27, v0
	v_fma_f32 v0, -v1, v26, v0
	s_add_i32 s9, s7, 0xfffffcfc
	s_waitcnt lgkmcnt(1)
	v_mul_f32_e32 v0, v22, v0
	v_mov_b32_e32 v22, s9
	s_add_i32 s9, s7, 0xfffffcf4
	global_store_dwordx4 v[20:21], v[0:3], off offset:-28
	s_waitcnt lgkmcnt(0)
	v_fma_f32 v7, -v15, v23, v7
	v_mov_b32_e32 v23, s9
	ds_read_b32 v28, v22
	ds_read2_b32 v[22:23], v23 offset1:1
	s_add_i32 s9, s7, 0xfffffcec
	v_mov_b32_e32 v24, s9
	s_add_i32 s9, s7, 0xfffffce4
	v_mov_b32_e32 v26, s9
	ds_read2_b32 v[24:25], v24 offset1:1
	ds_read2_b32 v[26:27], v26 offset1:1
	s_waitcnt lgkmcnt(3)
	v_fma_f32 v7, -v14, v28, v7
	s_waitcnt lgkmcnt(2)
	v_fma_f32 v7, -v13, v23, v7
	s_add_i32 s9, s7, 0xfffffce0
	v_fma_f32 v7, -v12, v22, v7
	v_mov_b32_e32 v22, s9
	s_add_i32 s9, s7, 0xfffffca0
	ds_read_b32 v22, v22
	v_mov_b32_e32 v23, s9
	s_waitcnt lgkmcnt(2)
	v_fma_f32 v7, -v3, v25, v7
	ds_read_b32 v23, v23
	v_fma_f32 v7, -v2, v24, v7
	s_waitcnt lgkmcnt(2)
	v_fma_f32 v7, -v1, v27, v7
	v_fma_f32 v7, -v0, v26, v7
	s_add_i32 s9, s7, 0xfffffc98
	s_waitcnt lgkmcnt(1)
	v_mul_f32_e32 v7, v22, v7
	v_mov_b32_e32 v22, s9
	s_waitcnt lgkmcnt(0)
	v_fma_f32 v6, -v15, v23, v6
	s_add_i32 s9, s7, 0xfffffc90
	ds_read2_b32 v[22:23], v22 offset1:1
	v_mov_b32_e32 v24, s9
	s_add_i32 s9, s7, 0xfffffc88
	v_mov_b32_e32 v26, s9
	s_add_i32 s9, s7, 0xfffffc80
	v_mov_b32_e32 v28, s9
	ds_read2_b32 v[24:25], v24 offset1:1
	ds_read2_b32 v[26:27], v26 offset1:1
	;; [unrolled: 1-line block ×3, first 2 shown]
	s_waitcnt lgkmcnt(3)
	v_fma_f32 v6, -v14, v23, v6
	v_fma_f32 v6, -v13, v22, v6
	s_add_i32 s9, s7, 0xfffffc7c
	s_waitcnt lgkmcnt(2)
	v_fma_f32 v6, -v12, v25, v6
	v_mov_b32_e32 v22, s9
	s_add_i32 s9, s7, 0xfffffc40
	v_fma_f32 v6, -v3, v24, v6
	ds_read_b32 v22, v22
	v_mov_b32_e32 v23, s9
	s_waitcnt lgkmcnt(2)
	v_fma_f32 v6, -v2, v27, v6
	ds_read_b32 v23, v23
	v_fma_f32 v6, -v1, v26, v6
	s_waitcnt lgkmcnt(2)
	v_fma_f32 v6, -v0, v29, v6
	v_fma_f32 v6, -v7, v28, v6
	s_add_i32 s9, s7, 0xfffffc3c
	s_waitcnt lgkmcnt(1)
	v_mul_f32_e32 v6, v22, v6
	v_mov_b32_e32 v22, s9
	s_add_i32 s9, s7, 0xfffffc34
	s_waitcnt lgkmcnt(0)
	v_fma_f32 v5, -v15, v23, v5
	v_mov_b32_e32 v23, s9
	ds_read_b32 v28, v22
	ds_read2_b32 v[22:23], v23 offset1:1
	s_add_i32 s9, s7, 0xfffffc2c
	v_mov_b32_e32 v24, s9
	s_add_i32 s9, s7, 0xfffffc24
	v_mov_b32_e32 v26, s9
	ds_read2_b32 v[24:25], v24 offset1:1
	ds_read2_b32 v[26:27], v26 offset1:1
	s_waitcnt lgkmcnt(3)
	v_fma_f32 v5, -v14, v28, v5
	s_waitcnt lgkmcnt(2)
	v_fma_f32 v5, -v13, v23, v5
	s_add_i32 s9, s7, 0xfffffc1c
	v_fma_f32 v5, -v12, v22, v5
	v_mov_b32_e32 v22, s9
	ds_read2_b32 v[22:23], v22 offset1:1
	s_waitcnt lgkmcnt(2)
	v_fma_f32 v5, -v3, v25, v5
	v_fma_f32 v5, -v2, v24, v5
	s_waitcnt lgkmcnt(1)
	v_fma_f32 v5, -v1, v27, v5
	v_fma_f32 v5, -v0, v26, v5
	s_waitcnt lgkmcnt(0)
	v_fma_f32 v5, -v7, v23, v5
	s_add_i32 s9, s7, 0xfffffc18
	v_fma_f32 v5, -v6, v22, v5
	v_mov_b32_e32 v22, s9
	s_add_i32 s9, s7, 0xfffffbdc
	v_mov_b32_e32 v23, s9
	s_add_i32 s9, s7, 0xfffffbd4
	ds_read_b32 v28, v22
	ds_read2_b32 v[22:23], v23 offset1:1
	v_mov_b32_e32 v24, s9
	s_add_i32 s9, s7, 0xfffffbcc
	v_mov_b32_e32 v26, s9
	ds_read2_b32 v[24:25], v24 offset1:1
	ds_read2_b32 v[26:27], v26 offset1:1
	s_waitcnt lgkmcnt(2)
	v_fma_f32 v4, -v15, v23, v4
	v_fma_f32 v4, -v14, v22, v4
	s_add_i32 s9, s7, 0xfffffbc4
	s_waitcnt lgkmcnt(1)
	v_fma_f32 v4, -v13, v25, v4
	v_mov_b32_e32 v22, s9
	v_fma_f32 v4, -v12, v24, v4
	s_add_i32 s9, s7, 0xfffffbbc
	ds_read2_b32 v[22:23], v22 offset1:1
	s_waitcnt lgkmcnt(1)
	v_fma_f32 v4, -v3, v27, v4
	v_mov_b32_e32 v24, s9
	s_add_i32 s9, s7, 0xfffffbb4
	v_fma_f32 v4, -v2, v26, v4
	v_mov_b32_e32 v26, s9
	s_add_i32 s9, s7, 0xfffffb80
	v_mul_f32_e32 v5, v28, v5
	v_mov_b32_e32 v28, s9
	ds_read2_b32 v[24:25], v24 offset1:1
	ds_read2_b32 v[26:27], v26 offset1:1
	ds_read_b32 v28, v28
	s_waitcnt lgkmcnt(3)
	v_fma_f32 v4, -v1, v23, v4
	v_fma_f32 v4, -v0, v22, v4
	s_add_i32 s9, s7, 0xfffffb78
	s_waitcnt lgkmcnt(2)
	v_fma_f32 v4, -v7, v25, v4
	v_mov_b32_e32 v22, s9
	v_fma_f32 v4, -v6, v24, v4
	s_add_i32 s9, s7, 0xfffffb70
	ds_read2_b32 v[22:23], v22 offset1:1
	s_waitcnt lgkmcnt(2)
	v_fma_f32 v4, -v5, v27, v4
	v_mov_b32_e32 v24, s9
	s_add_i32 s9, s7, 0xfffffb68
	v_mul_f32_e32 v4, v26, v4
	v_mov_b32_e32 v26, s9
	s_add_i32 s9, s7, 0xfffffb60
	global_store_dwordx4 v[20:21], v[4:7], off offset:-44
	s_waitcnt lgkmcnt(1)
	v_fma_f32 v11, -v15, v28, v11
	v_mov_b32_e32 v28, s9
	ds_read2_b32 v[24:25], v24 offset1:1
	ds_read2_b32 v[26:27], v26 offset1:1
	;; [unrolled: 1-line block ×3, first 2 shown]
	s_waitcnt lgkmcnt(3)
	v_fma_f32 v11, -v14, v23, v11
	v_fma_f32 v11, -v13, v22, v11
	s_waitcnt lgkmcnt(2)
	v_fma_f32 v11, -v12, v25, v11
	v_fma_f32 v11, -v3, v24, v11
	s_add_i32 s9, s7, 0xfffffb58
	s_waitcnt lgkmcnt(1)
	v_fma_f32 v11, -v2, v27, v11
	v_mov_b32_e32 v22, s9
	s_add_i32 s9, s7, 0xfffffb50
	v_fma_f32 v11, -v1, v26, v11
	v_mov_b32_e32 v24, s9
	s_add_i32 s9, s7, 0xfffffb1c
	ds_read2_b32 v[22:23], v22 offset1:1
	s_waitcnt lgkmcnt(1)
	v_fma_f32 v11, -v0, v29, v11
	v_mov_b32_e32 v26, s9
	s_add_i32 s9, s7, 0xfffffb14
	v_fma_f32 v11, -v7, v28, v11
	v_mov_b32_e32 v28, s9
	ds_read2_b32 v[24:25], v24 offset1:1
	ds_read2_b32 v[26:27], v26 offset1:1
	;; [unrolled: 1-line block ×3, first 2 shown]
	s_waitcnt lgkmcnt(3)
	v_fma_f32 v11, -v6, v23, v11
	s_add_i32 s9, s7, 0xfffffb0c
	v_fma_f32 v11, -v5, v22, v11
	v_mov_b32_e32 v22, s9
	s_waitcnt lgkmcnt(2)
	v_fma_f32 v11, -v4, v25, v11
	s_waitcnt lgkmcnt(1)
	v_fma_f32 v10, -v15, v27, v10
	s_add_i32 s9, s7, 0xfffffb04
	ds_read2_b32 v[22:23], v22 offset1:1
	v_mul_f32_e32 v11, v24, v11
	v_fma_f32 v10, -v14, v26, v10
	v_mov_b32_e32 v24, s9
	s_add_i32 s9, s7, 0xfffffafc
	s_waitcnt lgkmcnt(1)
	v_fma_f32 v10, -v13, v29, v10
	v_mov_b32_e32 v26, s9
	s_add_i32 s9, s7, 0xfffffaf4
	v_fma_f32 v10, -v12, v28, v10
	v_mov_b32_e32 v28, s9
	ds_read2_b32 v[24:25], v24 offset1:1
	ds_read2_b32 v[26:27], v26 offset1:1
	;; [unrolled: 1-line block ×3, first 2 shown]
	s_waitcnt lgkmcnt(3)
	v_fma_f32 v10, -v3, v23, v10
	v_fma_f32 v10, -v2, v22, v10
	s_waitcnt lgkmcnt(2)
	v_fma_f32 v10, -v1, v25, v10
	s_add_i32 s9, s7, 0xfffffaec
	v_fma_f32 v10, -v0, v24, v10
	v_mov_b32_e32 v22, s9
	s_add_i32 s9, s7, 0xfffffac0
	s_waitcnt lgkmcnt(1)
	v_fma_f32 v10, -v7, v27, v10
	v_mov_b32_e32 v24, s9
	s_add_i32 s9, s7, 0xfffffab8
	v_fma_f32 v10, -v6, v26, v10
	v_mov_b32_e32 v25, s9
	s_add_i32 s9, s7, 0xfffffab0
	ds_read2_b32 v[22:23], v22 offset1:1
	s_waitcnt lgkmcnt(1)
	v_fma_f32 v10, -v5, v29, v10
	v_mov_b32_e32 v26, s9
	v_fma_f32 v10, -v4, v28, v10
	ds_read_b32 v28, v24
	ds_read2_b32 v[24:25], v25 offset1:1
	ds_read2_b32 v[26:27], v26 offset1:1
	s_waitcnt lgkmcnt(3)
	v_fma_f32 v10, -v11, v23, v10
	s_add_i32 s9, s7, 0xfffffaa8
	s_waitcnt lgkmcnt(2)
	v_fma_f32 v9, -v15, v28, v9
	v_mul_f32_e32 v10, v22, v10
	s_waitcnt lgkmcnt(1)
	v_fma_f32 v9, -v14, v25, v9
	v_mov_b32_e32 v22, s9
	v_fma_f32 v9, -v13, v24, v9
	s_add_i32 s9, s7, 0xfffffaa0
	ds_read2_b32 v[22:23], v22 offset1:1
	s_waitcnt lgkmcnt(1)
	v_fma_f32 v9, -v12, v27, v9
	v_mov_b32_e32 v24, s9
	s_add_i32 s9, s7, 0xfffffa98
	v_fma_f32 v9, -v3, v26, v9
	v_mov_b32_e32 v26, s9
	s_add_i32 s9, s7, 0xfffffa90
	v_mov_b32_e32 v28, s9
	ds_read2_b32 v[24:25], v24 offset1:1
	ds_read2_b32 v[26:27], v26 offset1:1
	;; [unrolled: 1-line block ×3, first 2 shown]
	s_waitcnt lgkmcnt(3)
	v_fma_f32 v9, -v2, v23, v9
	v_fma_f32 v9, -v1, v22, v9
	s_waitcnt lgkmcnt(2)
	v_fma_f32 v9, -v0, v25, v9
	v_fma_f32 v9, -v7, v24, v9
	s_add_i32 s9, s7, 0xfffffa88
	s_waitcnt lgkmcnt(1)
	v_fma_f32 v9, -v6, v27, v9
	v_mov_b32_e32 v22, s9
	s_add_i32 s9, s7, 0xfffffa5c
	v_fma_f32 v9, -v5, v26, v9
	v_mov_b32_e32 v24, s9
	s_add_i32 s9, s7, 0xfffffa54
	s_waitcnt lgkmcnt(0)
	v_fma_f32 v9, -v4, v29, v9
	v_mov_b32_e32 v26, s9
	s_add_i32 s9, s7, 0xfffffa4c
	ds_read2_b32 v[22:23], v22 offset1:1
	v_fma_f32 v9, -v11, v28, v9
	v_mov_b32_e32 v28, s9
	ds_read2_b32 v[24:25], v24 offset1:1
	ds_read2_b32 v[26:27], v26 offset1:1
	;; [unrolled: 1-line block ×3, first 2 shown]
	s_add_i32 s9, s7, 0xfffffa44
	s_waitcnt lgkmcnt(3)
	v_fma_f32 v9, -v10, v23, v9
	s_waitcnt lgkmcnt(2)
	v_fma_f32 v8, -v15, v25, v8
	v_mul_f32_e32 v9, v22, v9
	v_fma_f32 v8, -v14, v24, v8
	v_mov_b32_e32 v22, s9
	s_waitcnt lgkmcnt(1)
	v_fma_f32 v8, -v13, v27, v8
	s_add_i32 s9, s7, 0xfffffa3c
	ds_read2_b32 v[22:23], v22 offset1:1
	v_fma_f32 v8, -v12, v26, v8
	v_mov_b32_e32 v24, s9
	s_add_i32 s9, s7, 0xfffffa34
	s_waitcnt lgkmcnt(1)
	v_fma_f32 v8, -v3, v29, v8
	v_mov_b32_e32 v26, s9
	s_add_i32 s9, s7, 0xfffffa2c
	v_fma_f32 v8, -v2, v28, v8
	v_mov_b32_e32 v28, s9
	ds_read2_b32 v[24:25], v24 offset1:1
	ds_read2_b32 v[26:27], v26 offset1:1
	;; [unrolled: 1-line block ×3, first 2 shown]
	s_waitcnt lgkmcnt(3)
	v_fma_f32 v8, -v1, v23, v8
	v_fma_f32 v8, -v0, v22, v8
	s_waitcnt lgkmcnt(2)
	v_fma_f32 v8, -v7, v25, v8
	s_add_i32 s9, s7, 0xfffffa24
	v_fma_f32 v8, -v6, v24, v8
	v_mov_b32_e32 v22, s9
	s_add_i32 s9, s7, 0xfffffa00
	s_waitcnt lgkmcnt(1)
	v_fma_f32 v8, -v5, v27, v8
	v_mov_b32_e32 v24, s9
	s_add_i32 s9, s7, 0xfffff9f8
	v_fma_f32 v8, -v4, v26, v8
	v_mov_b32_e32 v25, s9
	s_add_i32 s9, s7, 0xfffff9f0
	ds_read2_b32 v[22:23], v22 offset1:1
	s_waitcnt lgkmcnt(1)
	v_fma_f32 v8, -v11, v29, v8
	v_mov_b32_e32 v26, s9
	v_fma_f32 v8, -v10, v28, v8
	ds_read_b32 v28, v24
	ds_read2_b32 v[24:25], v25 offset1:1
	ds_read2_b32 v[26:27], v26 offset1:1
	s_waitcnt lgkmcnt(3)
	v_fma_f32 v8, -v9, v23, v8
	s_add_i32 s9, s7, 0xfffff9e8
	s_waitcnt lgkmcnt(2)
	v_fma_f32 v19, -v15, v28, v19
	v_mul_f32_e32 v8, v22, v8
	s_waitcnt lgkmcnt(1)
	v_fma_f32 v19, -v14, v25, v19
	v_mov_b32_e32 v22, s9
	v_fma_f32 v19, -v13, v24, v19
	s_add_i32 s9, s7, 0xfffff9e0
	ds_read2_b32 v[22:23], v22 offset1:1
	s_waitcnt lgkmcnt(1)
	v_fma_f32 v19, -v12, v27, v19
	v_mov_b32_e32 v24, s9
	s_add_i32 s9, s7, 0xfffff9d8
	v_fma_f32 v19, -v3, v26, v19
	v_mov_b32_e32 v26, s9
	s_add_i32 s9, s7, 0xfffff9d0
	global_store_dwordx4 v[20:21], v[8:11], off offset:-60
	v_mov_b32_e32 v28, s9
	ds_read2_b32 v[24:25], v24 offset1:1
	ds_read2_b32 v[26:27], v26 offset1:1
	ds_read2_b32 v[28:29], v28 offset1:1
	s_waitcnt lgkmcnt(3)
	v_fma_f32 v19, -v2, v23, v19
	v_fma_f32 v19, -v1, v22, v19
	s_waitcnt lgkmcnt(2)
	v_fma_f32 v19, -v0, v25, v19
	v_fma_f32 v19, -v7, v24, v19
	s_add_i32 s9, s7, 0xfffff9c8
	s_waitcnt lgkmcnt(1)
	v_fma_f32 v19, -v6, v27, v19
	v_mov_b32_e32 v22, s9
	s_add_i32 s9, s7, 0xfffff9c0
	v_fma_f32 v19, -v5, v26, v19
	v_mov_b32_e32 v24, s9
	s_add_i32 s9, s7, 0xfffff99c
	ds_read2_b32 v[22:23], v22 offset1:1
	s_waitcnt lgkmcnt(1)
	v_fma_f32 v19, -v4, v29, v19
	v_mov_b32_e32 v26, s9
	s_add_i32 s9, s7, 0xfffff994
	v_fma_f32 v19, -v11, v28, v19
	v_mov_b32_e32 v28, s9
	ds_read2_b32 v[24:25], v24 offset1:1
	ds_read2_b32 v[26:27], v26 offset1:1
	;; [unrolled: 1-line block ×3, first 2 shown]
	s_waitcnt lgkmcnt(3)
	v_fma_f32 v19, -v10, v23, v19
	s_add_i32 s9, s7, 0xfffff98c
	v_fma_f32 v19, -v9, v22, v19
	v_mov_b32_e32 v22, s9
	s_waitcnt lgkmcnt(2)
	v_fma_f32 v19, -v8, v25, v19
	s_waitcnt lgkmcnt(1)
	v_fma_f32 v18, -v15, v27, v18
	s_add_i32 s9, s7, 0xfffff984
	ds_read2_b32 v[22:23], v22 offset1:1
	v_mul_f32_e32 v19, v24, v19
	v_fma_f32 v18, -v14, v26, v18
	v_mov_b32_e32 v24, s9
	s_add_i32 s9, s7, 0xfffff97c
	s_waitcnt lgkmcnt(1)
	v_fma_f32 v18, -v13, v29, v18
	v_mov_b32_e32 v26, s9
	s_add_i32 s9, s7, 0xfffff974
	v_fma_f32 v18, -v12, v28, v18
	v_mov_b32_e32 v28, s9
	ds_read2_b32 v[24:25], v24 offset1:1
	ds_read2_b32 v[26:27], v26 offset1:1
	;; [unrolled: 1-line block ×3, first 2 shown]
	s_waitcnt lgkmcnt(3)
	v_fma_f32 v18, -v3, v23, v18
	v_fma_f32 v18, -v2, v22, v18
	s_waitcnt lgkmcnt(2)
	v_fma_f32 v18, -v1, v25, v18
	s_add_i32 s9, s7, 0xfffff96c
	v_fma_f32 v18, -v0, v24, v18
	v_mov_b32_e32 v22, s9
	s_waitcnt lgkmcnt(1)
	v_fma_f32 v18, -v7, v27, v18
	s_add_i32 s9, s7, 0xfffff964
	ds_read2_b32 v[22:23], v22 offset1:1
	v_fma_f32 v18, -v6, v26, v18
	v_mov_b32_e32 v24, s9
	s_add_i32 s9, s7, 0xfffff95c
	s_waitcnt lgkmcnt(1)
	v_fma_f32 v18, -v5, v29, v18
	v_mov_b32_e32 v26, s9
	s_add_i32 s9, s7, 0xfffff940
	v_fma_f32 v18, -v4, v28, v18
	v_mov_b32_e32 v28, s9
	ds_read2_b32 v[24:25], v24 offset1:1
	ds_read2_b32 v[26:27], v26 offset1:1
	ds_read_b32 v28, v28
	s_waitcnt lgkmcnt(3)
	v_fma_f32 v18, -v11, v23, v18
	v_fma_f32 v18, -v10, v22, v18
	s_add_i32 s9, s7, 0xfffff938
	s_waitcnt lgkmcnt(2)
	v_fma_f32 v18, -v9, v25, v18
	v_mov_b32_e32 v22, s9
	v_fma_f32 v18, -v8, v24, v18
	s_add_i32 s9, s7, 0xfffff930
	ds_read2_b32 v[22:23], v22 offset1:1
	s_waitcnt lgkmcnt(2)
	v_fma_f32 v18, -v19, v27, v18
	v_mov_b32_e32 v24, s9
	s_add_i32 s9, s7, 0xfffff928
	v_mul_f32_e32 v18, v26, v18
	v_mov_b32_e32 v26, s9
	s_add_i32 s9, s7, 0xfffff920
	s_waitcnt lgkmcnt(1)
	v_fma_f32 v17, -v15, v28, v17
	v_mov_b32_e32 v28, s9
	ds_read2_b32 v[24:25], v24 offset1:1
	ds_read2_b32 v[26:27], v26 offset1:1
	;; [unrolled: 1-line block ×3, first 2 shown]
	s_waitcnt lgkmcnt(3)
	v_fma_f32 v17, -v14, v23, v17
	v_fma_f32 v17, -v13, v22, v17
	s_waitcnt lgkmcnt(2)
	v_fma_f32 v17, -v12, v25, v17
	s_add_i32 s9, s7, 0xfffff918
	v_fma_f32 v17, -v3, v24, v17
	v_mov_b32_e32 v22, s9
	s_waitcnt lgkmcnt(1)
	v_fma_f32 v17, -v2, v27, v17
	s_add_i32 s9, s7, 0xfffff910
	ds_read2_b32 v[22:23], v22 offset1:1
	v_fma_f32 v17, -v1, v26, v17
	v_mov_b32_e32 v24, s9
	s_add_i32 s9, s7, 0xfffff908
	s_waitcnt lgkmcnt(1)
	v_fma_f32 v17, -v0, v29, v17
	v_mov_b32_e32 v26, s9
	s_add_i32 s9, s7, 0xfffff900
	v_fma_f32 v17, -v7, v28, v17
	v_mov_b32_e32 v28, s9
	ds_read2_b32 v[24:25], v24 offset1:1
	ds_read2_b32 v[26:27], v26 offset1:1
	ds_read2_b32 v[28:29], v28 offset1:1
	s_waitcnt lgkmcnt(3)
	v_fma_f32 v17, -v6, v23, v17
	v_fma_f32 v17, -v5, v22, v17
	s_waitcnt lgkmcnt(2)
	v_fma_f32 v17, -v4, v25, v17
	v_fma_f32 v17, -v11, v24, v17
	s_add_i32 s9, s7, 0xfffff8f8
	s_waitcnt lgkmcnt(1)
	v_fma_f32 v17, -v10, v27, v17
	v_mov_b32_e32 v22, s9
	s_add_i32 s9, s7, 0xfffff8dc
	v_fma_f32 v17, -v9, v26, v17
	v_mov_b32_e32 v24, s9
	s_add_i32 s9, s7, 0xfffff8d4
	s_waitcnt lgkmcnt(0)
	v_fma_f32 v17, -v8, v29, v17
	v_mov_b32_e32 v26, s9
	s_add_i32 s9, s7, 0xfffff8cc
	v_fma_f32 v17, -v19, v28, v17
	v_mov_b32_e32 v28, s9
	ds_read2_b32 v[22:23], v22 offset1:1
	ds_read2_b32 v[24:25], v24 offset1:1
	;; [unrolled: 1-line block ×4, first 2 shown]
	s_add_i32 s9, s7, 0xfffff8c4
	s_sub_i32 s8, s8, 20
	s_waitcnt lgkmcnt(2)
	v_fma_f32 v15, -v15, v25, v16
	v_fma_f32 v14, -v14, v24, v15
	s_waitcnt lgkmcnt(1)
	v_fma_f32 v13, -v13, v27, v14
	v_fma_f32 v12, -v12, v26, v13
	;; [unrolled: 3-line block ×3, first 2 shown]
	v_mov_b32_e32 v2, s9
	s_add_i32 s9, s7, 0xfffff8bc
	ds_read2_b32 v[2:3], v2 offset1:1
	v_mov_b32_e32 v12, s9
	s_add_i32 s9, s7, 0xfffff8b4
	v_fma_f32 v17, -v18, v23, v17
	v_mov_b32_e32 v14, s9
	s_add_i32 s9, s7, 0xfffff8ac
	v_mul_f32_e32 v17, v22, v17
	v_mov_b32_e32 v22, s9
	ds_read2_b32 v[12:13], v12 offset1:1
	ds_read2_b32 v[14:15], v14 offset1:1
	;; [unrolled: 1-line block ×3, first 2 shown]
	s_waitcnt lgkmcnt(3)
	v_fma_f32 v1, -v1, v3, v16
	v_fma_f32 v0, -v0, v2, v1
	s_waitcnt lgkmcnt(2)
	v_fma_f32 v0, -v7, v13, v0
	v_fma_f32 v0, -v6, v12, v0
	;; [unrolled: 3-line block ×3, first 2 shown]
	s_waitcnt lgkmcnt(0)
	v_fma_f32 v0, -v11, v23, v0
	s_add_i32 s9, s7, 0xfffff8a4
	v_fma_f32 v6, -v10, v22, v0
	v_mov_b32_e32 v0, s9
	s_add_i32 s9, s7, 0xfffff89c
	ds_read2_b32 v[0:1], v0 offset1:1
	v_mov_b32_e32 v2, s9
	ds_read2_b32 v[2:3], v2 offset1:1
	s_addk_i32 s7, 0xf894
	v_mov_b32_e32 v4, s7
	ds_read2_b32 v[4:5], v4 offset1:1
	s_waitcnt lgkmcnt(2)
	v_fma_f32 v1, -v9, v1, v6
	v_fma_f32 v0, -v8, v0, v1
	s_waitcnt lgkmcnt(1)
	v_fma_f32 v0, -v19, v3, v0
	v_fma_f32 v0, -v18, v2, v0
	s_waitcnt lgkmcnt(0)
	v_fma_f32 v0, -v17, v5, v0
	v_mul_f32_e32 v16, v4, v0
	global_store_dwordx4 v[20:21], v[16:19], off offset:-76
.LBB29_25:
	s_cmp_lt_i32 s8, 0
	s_cbranch_scc1 .LBB29_38
; %bb.26:
	s_bitcmp1_b32 s8, 0
	s_cselect_b64 s[12:13], -1, 0
	s_and_b64 vcc, exec, s[12:13]
	s_mov_b32 s12, s8
	s_cbranch_vccnz .LBB29_31
; %bb.27:
	s_mov_b32 s9, 0
	s_lshl_b64 s[12:13], s[8:9], 2
	v_mov_b32_e32 v1, s13
	v_add_co_u32_e32 v0, vcc, s12, v54
	v_addc_co_u32_e32 v1, vcc, v55, v1, vcc
	global_load_dword v2, v[0:1], off
	s_cmp_le_i32 s6, s8
	s_waitcnt vmcnt(0)
	v_mul_f32_e32 v4, s16, v2
	s_cbranch_scc1 .LBB29_30
; %bb.28:
	s_mul_i32 s7, s8, 0x60
	s_lshl_b32 s9, s18, 2
	s_add_i32 s7, s7, s9
	s_add_i32 s9, s7, -4
	s_ashr_i32 s7, s6, 31
	s_lshl_b64 s[12:13], s[6:7], 2
	s_add_u32 s7, s2, s12
	s_addc_u32 s11, s3, s13
	s_add_u32 s7, s7, s4
	s_addc_u32 s11, s11, s5
	;; [unrolled: 2-line block ×3, first 2 shown]
	v_mov_b32_e32 v3, s11
	v_add_co_u32_e32 v2, vcc, s7, v56
	v_addc_co_u32_e32 v3, vcc, v3, v57, vcc
	s_mov_b32 s7, s6
.LBB29_29:                              ; =>This Inner Loop Header: Depth=1
	global_load_dword v5, v[2:3], off
	v_mov_b32_e32 v6, s9
	ds_read_b32 v6, v6
	s_add_i32 s7, s7, -1
	s_add_i32 s9, s9, -4
	v_add_co_u32_e32 v2, vcc, -4, v2
	v_addc_co_u32_e32 v3, vcc, -1, v3, vcc
	s_cmp_gt_i32 s7, s8
	s_waitcnt vmcnt(0) lgkmcnt(0)
	v_fma_f32 v4, -v5, v6, v4
	s_cbranch_scc1 .LBB29_29
.LBB29_30:
	s_mul_i32 s7, s8, 0x64
	v_mov_b32_e32 v2, s7
	ds_read_b32 v2, v2
	s_add_i32 s12, s8, -1
	s_waitcnt lgkmcnt(0)
	v_mul_f32_e32 v2, v2, v4
	global_store_dword v[0:1], v2, off
.LBB29_31:
	s_cmp_eq_u32 s8, 0
	s_mov_b32 s13, 0
	s_cbranch_scc1 .LBB29_38
; %bb.32:
	s_mul_i32 s7, s12, 0x60
	s_lshl_b32 s8, s18, 2
	s_add_i32 s9, s7, s8
	s_add_i32 s8, s9, -4
	s_add_u32 s7, s4, s0
	s_addc_u32 s11, s5, s1
	v_add_co_u32_e32 v2, vcc, s7, v56
	s_ashr_i32 s7, s6, 31
	s_lshl_b64 s[14:15], s[6:7], 2
	s_add_u32 s7, s2, s14
	v_mov_b32_e32 v0, s11
	s_addc_u32 s11, s3, s15
	v_addc_co_u32_e32 v3, vcc, v0, v57, vcc
	v_mov_b32_e32 v1, s11
	s_ashr_i32 s11, s10, 31
	v_add_co_u32_e32 v0, vcc, s7, v2
	s_add_i32 s7, s9, 0xffffff9c
	v_cmp_lt_i64_e64 s[14:15], s[10:11], 24
	s_and_b64 s[14:15], s[14:15], exec
	s_cselect_b32 s15, s11, 0
	s_cselect_b32 s14, s10, 24
	s_lshl_b64 s[14:15], s[14:15], 2
	s_add_u32 s9, s2, s14
	v_addc_co_u32_e32 v1, vcc, v1, v3, vcc
	s_addc_u32 s11, s3, s15
	v_mov_b32_e32 v4, s11
	v_add_co_u32_e32 v2, vcc, s9, v2
	v_addc_co_u32_e32 v3, vcc, v4, v3, vcc
	v_add_co_u32_e32 v2, vcc, -4, v2
	v_addc_co_u32_e32 v3, vcc, -1, v3, vcc
	s_branch .LBB29_34
.LBB29_33:                              ;   in Loop: Header=BB29_34 Depth=1
	s_addk_i32 s9, 0xff9c
	v_mov_b32_e32 v6, s9
	ds_read_b32 v6, v6
	s_add_i32 s9, s12, -2
	s_addk_i32 s8, 0xff40
	s_addk_i32 s7, 0xff40
	s_cmp_lt_i32 s12, 2
	s_waitcnt lgkmcnt(0)
	v_mul_f32_e32 v6, v6, v8
	s_mov_b32 s12, s9
	global_store_dword v[4:5], v6, off offset:-4
	s_cbranch_scc1 .LBB29_38
.LBB29_34:                              ; =>This Loop Header: Depth=1
                                        ;     Child Loop BB29_35 Depth 2
                                        ;     Child Loop BB29_37 Depth 2
	s_lshl_b64 s[14:15], s[12:13], 2
	v_mov_b32_e32 v5, s15
	v_add_co_u32_e32 v4, vcc, s14, v54
	v_addc_co_u32_e32 v5, vcc, v55, v5, vcc
	global_load_dword v6, v[4:5], off
	v_pk_mov_b32 v[4:5], v[0:1], v[0:1] op_sel:[0,1]
	s_mov_b32 s9, s8
	s_cmp_le_i32 s6, s12
	s_mov_b32 s11, s6
	s_waitcnt vmcnt(0)
	v_mul_f32_e32 v8, s16, v6
	s_cbranch_scc1 .LBB29_36
.LBB29_35:                              ;   Parent Loop BB29_34 Depth=1
                                        ; =>  This Inner Loop Header: Depth=2
	global_load_dword v6, v[4:5], off
	v_mov_b32_e32 v7, s9
	ds_read_b32 v7, v7
	s_add_i32 s11, s11, -1
	s_add_i32 s9, s9, -4
	v_add_co_u32_e32 v4, vcc, -4, v4
	v_addc_co_u32_e32 v5, vcc, -1, v5, vcc
	s_cmp_gt_i32 s11, s12
	s_waitcnt vmcnt(0) lgkmcnt(0)
	v_fma_f32 v8, -v6, v7, v8
	s_cbranch_scc1 .LBB29_35
.LBB29_36:                              ;   in Loop: Header=BB29_34 Depth=1
	s_add_i32 s14, s12, -1
	s_mov_b32 s15, s13
	s_lshl_b64 s[14:15], s[14:15], 2
	v_mov_b32_e32 v5, s15
	v_add_co_u32_e32 v4, vcc, s14, v54
	v_addc_co_u32_e32 v5, vcc, v55, v5, vcc
	global_load_dword v9, v[4:5], off
	s_mul_i32 s9, s12, 0x64
	v_mov_b32_e32 v4, s9
	ds_read_b32 v10, v4
	s_ashr_i32 s15, s12, 31
	s_mov_b32 s14, s12
	s_lshl_b64 s[14:15], s[14:15], 2
	v_mov_b32_e32 v5, s15
	v_add_co_u32_e32 v4, vcc, s14, v54
	v_addc_co_u32_e32 v5, vcc, v55, v5, vcc
	s_waitcnt lgkmcnt(0)
	v_mul_f32_e32 v8, v10, v8
	v_pk_mov_b32 v[6:7], v[2:3], v[2:3] op_sel:[0,1]
	s_mov_b32 s11, s7
	s_cmp_le_i32 s18, s12
	global_store_dword v[4:5], v8, off
	s_mov_b32 s14, s18
	s_waitcnt vmcnt(1)
	v_mul_f32_e32 v8, s16, v9
	s_cbranch_scc1 .LBB29_33
.LBB29_37:                              ;   Parent Loop BB29_34 Depth=1
                                        ; =>  This Inner Loop Header: Depth=2
	global_load_dword v9, v[6:7], off
	v_mov_b32_e32 v10, s11
	ds_read_b32 v10, v10
	s_add_i32 s14, s14, -1
	s_add_i32 s11, s11, -4
	v_add_co_u32_e32 v6, vcc, -4, v6
	v_addc_co_u32_e32 v7, vcc, -1, v7, vcc
	s_cmp_gt_i32 s14, s12
	s_waitcnt vmcnt(0) lgkmcnt(0)
	v_fma_f32 v8, -v9, v10, v8
	s_cbranch_scc1 .LBB29_37
	s_branch .LBB29_33
.LBB29_38:
	s_mov_b64 s[6:7], 0
.LBB29_39:
	s_and_b64 vcc, exec, s[6:7]
	s_cbranch_vccz .LBB29_62
; %bb.40:
	s_cmp_gt_i32 s10, 23
	s_cselect_b64 s[6:7], -1, 0
	s_mov_b32 s8, 0
	s_and_b64 vcc, exec, s[6:7]
	s_cbranch_vccz .LBB29_42
; %bb.41:
	global_load_dwordx4 v[80:83], v[54:55], off
	global_load_dwordx4 v[2:5], v[54:55], off offset:16
	global_load_dwordx4 v[16:19], v[54:55], off offset:32
	;; [unrolled: 1-line block ×3, first 2 shown]
	v_mov_b32_e32 v84, 0
	ds_read_b128 v[86:89], v84
	ds_read_b128 v[90:93], v84 offset:16
	ds_read2_b64 v[12:15], v84 offset0:25 offset1:26
	ds_read2_b64 v[38:41], v84 offset0:27 offset1:28
	ds_read2_b32 v[6:7], v84 offset0:25 offset1:26
	ds_read2_b32 v[60:61], v84 offset0:27 offset1:28
	;; [unrolled: 1-line block ×4, first 2 shown]
	ds_read_b128 v[20:23], v84 offset:400
	ds_read_b128 v[34:37], v84 offset:416
	ds_read2_b32 v[72:73], v84 offset0:75 offset1:76
	ds_read2_b32 v[52:53], v84 offset0:77 offset1:78
	;; [unrolled: 1-line block ×4, first 2 shown]
	ds_read2_b64 v[42:45], v84 offset0:75 offset1:76
	ds_read2_b64 v[28:31], v84 offset0:77 offset1:78
	ds_read2_b32 v[66:67], v84 offset0:179 offset1:180
	ds_read_b128 v[46:49], v84 offset:32
	ds_read_b128 v[24:27], v84 offset:48
	ds_read2_b32 v[76:77], v84 offset0:127 offset1:128
	ds_read2_b32 v[78:79], v84 offset0:129 offset1:130
	;; [unrolled: 1-line block ×4, first 2 shown]
	s_movk_i32 s8, 0x400
	s_waitcnt vmcnt(3)
	v_mul_f32_e32 v0, s16, v80
	s_waitcnt lgkmcnt(14)
	v_mul_f32_e32 v0, v86, v0
	v_mul_f32_e32 v1, v0, v87
	;; [unrolled: 1-line block ×3, first 2 shown]
	v_fma_f32 v1, v81, s16, -v1
	v_mul_f32_e32 v63, v0, v89
	v_mul_f32_e32 v85, v0, v90
	v_fma_f32 v89, v82, s16, -v62
	v_mul_f32_e32 v1, v6, v1
	v_mul_f32_e32 v86, v0, v91
	;; [unrolled: 1-line block ×4, first 2 shown]
	v_fma_f32 v92, v83, s16, -v63
	s_waitcnt vmcnt(2)
	v_fma_f32 v2, v2, s16, -v85
	v_fma_f32 v93, -v1, v7, v89
	s_waitcnt lgkmcnt(5)
	v_mul_f32_e32 v46, v0, v46
	ds_read2_b32 v[80:81], v84 offset0:33 offset1:34
	ds_read2_b32 v[82:83], v84 offset0:35 offset1:36
	;; [unrolled: 1-line block ×4, first 2 shown]
	v_fma_f32 v3, v3, s16, -v86
	s_waitcnt vmcnt(1)
	v_fma_f32 v16, v16, s16, -v46
	v_fma_f32 v46, -v1, v60, v92
	v_fma_f32 v92, -v1, v61, v2
	v_mul_f32_e32 v2, v12, v93
	v_mul_f32_e32 v12, v0, v47
	v_fma_f32 v85, v4, s16, -v87
	v_fma_f32 v3, -v1, v58, v3
	v_fma_f32 v12, v17, s16, -v12
	v_fma_f32 v13, -v2, v13, v46
	;; [unrolled: 2-line block ×3, first 2 shown]
	s_waitcnt lgkmcnt(3)
	v_fma_f32 v12, -v1, v80, v12
	v_fma_f32 v14, -v2, v14, v92
	;; [unrolled: 1-line block ×3, first 2 shown]
	v_mul_f32_e32 v3, v72, v13
	ds_read2_b32 v[90:91], v84 offset0:125 offset1:126
	ds_read_b128 v[4:7], v84 offset:464
	v_fma_f32 v59, -v1, v74, v86
	v_fma_f32 v16, -v1, v75, v16
	;; [unrolled: 1-line block ×10, first 2 shown]
	v_mul_f32_e32 v12, v20, v13
	ds_read_b128 v[86:89], v84 offset:800
	ds_read2_b32 v[60:61], v84 offset0:189 offset1:190
	ds_read2_b32 v[46:47], v84 offset0:177 offset1:178
	;; [unrolled: 1-line block ×3, first 2 shown]
	ds_read_b64 v[58:59], v84 offset:664
	v_fma_f32 v32, -v3, v32, v39
	v_fma_f32 v33, -v3, v33, v40
	;; [unrolled: 1-line block ×4, first 2 shown]
	ds_read2_b64 v[38:41], v84 offset0:29 offset1:30
	v_fma_f32 v14, -v12, v22, v15
	v_fma_f32 v15, -v12, v23, v32
	s_waitcnt lgkmcnt(7)
	v_mul_f32_e32 v13, v90, v13
	v_mul_f32_e32 v32, v0, v48
	v_fma_f32 v14, -v13, v91, v14
	v_fma_f32 v18, v18, s16, -v32
	v_fma_f32 v20, -v12, v34, v33
	ds_read2_b64 v[32:35], v84 offset0:31 offset1:32
	v_fma_f32 v15, -v13, v76, v15
	v_mul_f32_e32 v14, v42, v14
	v_fma_f32 v18, -v1, v81, v18
	v_fma_f32 v20, -v13, v77, v20
	;; [unrolled: 1-line block ×3, first 2 shown]
	s_waitcnt lgkmcnt(1)
	v_fma_f32 v18, -v2, v38, v18
	v_fma_f32 v20, -v14, v44, v20
	v_mul_f32_e32 v15, v16, v15
	ds_read2_b32 v[42:43], v84 offset0:225 offset1:226
	v_fma_f32 v18, -v3, v51, v18
	ds_read2_b64 v[50:53], v84 offset0:125 offset1:126
	v_fma_f32 v16, -v15, v17, v20
	v_fma_f32 v17, -v13, v78, v21
	;; [unrolled: 1-line block ×5, first 2 shown]
	v_mul_f32_e32 v16, v86, v16
	v_fma_f32 v17, -v15, v46, v17
	v_fma_f32 v18, -v14, v28, v18
	;; [unrolled: 1-line block ×4, first 2 shown]
	s_waitcnt lgkmcnt(1)
	v_mul_f32_e32 v17, v42, v17
	v_fma_f32 v18, -v16, v88, v18
	v_fma_f32 v28, -v17, v43, v18
	v_mul_f32_e32 v18, v0, v49
	v_fma_f32 v18, v19, s16, -v18
	ds_read_b128 v[20:23], v84 offset:848
	v_fma_f32 v36, -v1, v82, v18
	ds_read2_b32 v[18:19], v84 offset0:83 offset1:84
	v_fma_f32 v36, -v2, v39, v36
	ds_read2_b32 v[80:81], v84 offset0:85 offset1:86
	ds_read2_b32 v[74:75], v84 offset0:87 offset1:88
	;; [unrolled: 1-line block ×3, first 2 shown]
	ds_read_b128 v[46:49], v84 offset:432
	v_mul_f32_e32 v26, v0, v26
	s_waitcnt lgkmcnt(4)
	v_fma_f32 v18, -v3, v18, v36
	v_fma_f32 v18, -v12, v37, v18
	ds_read_b128 v[36:39], v84 offset:448
	v_fma_f32 v18, -v13, v70, v18
	v_fma_f32 v18, -v14, v29, v18
	;; [unrolled: 1-line block ×4, first 2 shown]
	v_mul_f32_e32 v18, v0, v24
	s_waitcnt vmcnt(0)
	v_fma_f32 v8, v8, s16, -v18
	v_fma_f32 v8, -v1, v83, v8
	v_fma_f32 v8, -v2, v40, v8
	;; [unrolled: 1-line block ×3, first 2 shown]
	ds_read2_b32 v[18:19], v84 offset0:227 offset1:228
	s_waitcnt lgkmcnt(2)
	v_fma_f32 v8, -v12, v46, v8
	v_fma_f32 v8, -v13, v71, v8
	ds_read2_b32 v[94:95], v84 offset0:229 offset1:230
	ds_read2_b32 v[78:79], v84 offset0:231 offset1:232
	;; [unrolled: 1-line block ×3, first 2 shown]
	ds_read_b128 v[86:89], v84 offset:816
	s_waitcnt lgkmcnt(4)
	v_fma_f32 v24, -v17, v18, v29
	v_mul_f32_e32 v18, v0, v25
	v_fma_f32 v9, v9, s16, -v18
	v_fma_f32 v9, -v1, v68, v9
	v_fma_f32 v9, -v2, v41, v9
	;; [unrolled: 1-line block ×6, first 2 shown]
	ds_read2_b64 v[44:47], v84 offset0:127 offset1:128
	s_waitcnt lgkmcnt(1)
	v_fma_f32 v8, -v16, v86, v8
	v_mul_f32_e32 v18, v50, v28
	ds_read_b128 v[40:43], v84 offset:832
	v_fma_f32 v8, -v17, v19, v8
	v_fma_f32 v19, -v18, v51, v24
	ds_read2_b32 v[24:25], v84 offset0:181 offset1:182
	v_fma_f32 v9, -v13, v64, v9
	v_fma_f32 v29, -v14, v31, v9
	v_mov_b32_e32 v28, 0x44c
	v_fma_f32 v30, -v18, v52, v8
	ds_read2_b32 v[8:9], v84 offset0:183 offset1:184
	ds_read2_b32 v[76:77], v84 offset0:185 offset1:186
	;; [unrolled: 1-line block ×3, first 2 shown]
	s_waitcnt lgkmcnt(3)
	v_fma_f32 v24, -v15, v24, v29
	ds_read2_b32 v[28:29], v28 offset1:1
	v_fma_f32 v10, v10, s16, -v26
	v_mov_b32_e32 v31, 0x454
	v_fma_f32 v10, -v1, v69, v10
	v_mov_b32_e32 v52, 0x514
	s_waitcnt lgkmcnt(0)
	v_mul_f32_e32 v19, v28, v19
	ds_read2_b32 v[50:51], v31 offset1:1
	ds_read2_b32 v[82:83], v52 offset1:1
	ds_read_b32 v68, v84 offset:2300
	v_fma_f32 v80, -v19, v29, v30
	v_fma_f32 v10, -v2, v32, v10
	ds_read2_b64 v[90:93], v84 offset0:79 offset1:80
	ds_read2_b64 v[28:31], v84 offset0:81 offset1:82
	v_fma_f32 v10, -v3, v81, v10
	v_fma_f32 v10, -v12, v48, v10
	;; [unrolled: 1-line block ×3, first 2 shown]
	s_waitcnt lgkmcnt(1)
	v_fma_f32 v10, -v14, v90, v10
	v_fma_f32 v10, -v15, v25, v10
	;; [unrolled: 1-line block ×6, first 2 shown]
	v_mul_f32_e32 v10, v0, v27
	v_fma_f32 v10, v11, s16, -v10
	v_fma_f32 v10, -v1, v62, v10
	v_fma_f32 v10, -v2, v33, v10
	ds_read2_b32 v[32:33], v84 offset0:135 offset1:136
	v_fma_f32 v24, -v16, v87, v24
	v_fma_f32 v24, -v17, v94, v24
	;; [unrolled: 1-line block ×6, first 2 shown]
	ds_read2_b32 v[10:11], v84 offset0:137 offset1:138
	ds_read2_b32 v[52:53], v84 offset0:139 offset1:140
	;; [unrolled: 1-line block ×3, first 2 shown]
	s_waitcnt lgkmcnt(3)
	v_fma_f32 v32, -v13, v32, v24
	ds_read_b128 v[24:27], v84 offset:1200
	v_fma_f32 v32, -v14, v91, v32
	v_fma_f32 v8, -v15, v8, v32
	;; [unrolled: 1-line block ×3, first 2 shown]
	ds_read_b128 v[86:89], v84 offset:1216
	s_waitcnt lgkmcnt(1)
	v_mul_f32_e32 v8, v24, v80
	v_fma_f32 v69, -v8, v25, v48
	v_fma_f32 v24, -v17, v78, v32
	v_mov_b32_e32 v25, 0x45c
	v_fma_f32 v74, -v8, v26, v44
	v_fma_f32 v24, -v18, v45, v24
	ds_read2_b32 v[44:45], v25 offset1:1
	v_mov_b32_e32 v25, 0x51c
	ds_read2_b32 v[80:81], v25 offset1:1
	v_mov_b32_e32 v25, 0x5dc
	ds_read2_b32 v[90:91], v25 offset1:1
	s_waitcnt lgkmcnt(2)
	v_fma_f32 v24, -v19, v44, v24
	v_fma_f32 v32, -v8, v27, v24
	ds_read_b128 v[94:97], v84 offset:64
	ds_read_b128 v[24:27], v84 offset:80
	global_load_dwordx4 v[98:101], v[54:55], off offset:64
	global_load_dwordx4 v[48:51], v[54:55], off offset:80
	s_waitcnt lgkmcnt(1)
	v_mul_f32_e32 v44, v0, v94
	s_waitcnt lgkmcnt(0)
	v_mul_f32_e32 v24, v0, v24
	v_mul_f32_e32 v25, v0, v25
	;; [unrolled: 1-line block ×3, first 2 shown]
	s_waitcnt vmcnt(1)
	v_fma_f32 v44, v98, s16, -v44
	v_fma_f32 v44, -v1, v63, v44
	v_fma_f32 v34, -v2, v34, v44
	v_mul_f32_e32 v44, v0, v95
	v_fma_f32 v44, v99, s16, -v44
	ds_read2_b32 v[62:63], v84 offset0:41 offset1:42
	ds_read2_b32 v[94:95], v84 offset0:43 offset1:44
	;; [unrolled: 1-line block ×3, first 2 shown]
	v_fma_f32 v34, -v3, v75, v34
	v_fma_f32 v34, -v12, v36, v34
	s_waitcnt lgkmcnt(2)
	v_fma_f32 v44, -v1, v62, v44
	v_fma_f32 v35, -v2, v35, v44
	;; [unrolled: 1-line block ×16, first 2 shown]
	v_mul_f32_e32 v9, v82, v69
	v_fma_f32 v33, -v19, v45, v33
	v_fma_f32 v37, -v9, v80, v32
	;; [unrolled: 1-line block ×4, first 2 shown]
	ds_read2_b64 v[44:47], v84 offset0:175 offset1:176
	ds_read_b128 v[32:35], v84 offset:1232
	v_fma_f32 v10, -v9, v83, v74
	s_waitcnt vmcnt(0)
	v_fma_f32 v24, v48, s16, -v24
	s_waitcnt lgkmcnt(3)
	v_fma_f32 v24, -v1, v95, v24
	s_waitcnt lgkmcnt(1)
	v_mul_f32_e32 v10, v44, v10
	v_fma_f32 v69, -v10, v45, v37
	v_mov_b32_e32 v37, 0x464
	v_fma_f32 v70, -v10, v46, v40
	ds_read2_b32 v[40:41], v37 offset1:1
	v_mov_b32_e32 v37, 0x524
	ds_read2_b32 v[74:75], v37 offset1:1
	v_mov_b32_e32 v44, 0x6a4
	v_mov_b32_e32 v37, 0x46c
	s_waitcnt lgkmcnt(1)
	v_fma_f32 v36, -v19, v40, v36
	v_fma_f32 v36, -v8, v87, v36
	s_waitcnt lgkmcnt(0)
	v_fma_f32 v36, -v9, v74, v36
	v_fma_f32 v72, -v10, v47, v36
	v_mul_f32_e32 v36, v0, v96
	v_mov_b32_e32 v40, 0x5e4
	v_fma_f32 v36, v100, s16, -v36
	ds_read2_b32 v[78:79], v40 offset1:1
	ds_read2_b32 v[80:81], v44 offset1:1
	ds_read2_b32 v[82:83], v37 offset1:1
	v_fma_f32 v36, -v1, v63, v36
	ds_read_b64 v[62:63], v84 offset:280
	ds_read2_b64 v[44:47], v84 offset0:33 offset1:34
	v_mul_f32_e32 v37, v0, v97
	v_fma_f32 v37, v101, s16, -v37
	v_fma_f32 v37, -v1, v94, v37
	v_fma_f32 v25, v49, s16, -v25
	s_waitcnt lgkmcnt(0)
	v_fma_f32 v36, -v2, v44, v36
	v_fma_f32 v37, -v2, v45, v37
	ds_read2_b32 v[44:45], v84 offset0:91 offset1:92
	ds_read2_b32 v[86:87], v84 offset0:93 offset1:94
	v_fma_f32 v36, -v3, v73, v36
	v_fma_f32 v36, -v12, v38, v36
	;; [unrolled: 1-line block ×3, first 2 shown]
	s_waitcnt lgkmcnt(1)
	v_fma_f32 v37, -v3, v44, v37
	v_fma_f32 v37, -v12, v39, v37
	;; [unrolled: 1-line block ×4, first 2 shown]
	ds_read_b64 v[92:93], v84 offset:1048
	ds_read2_b64 v[36:39], v84 offset0:129 offset1:130
	v_fma_f32 v11, -v15, v77, v11
	v_fma_f32 v11, -v16, v42, v11
	ds_read2_b32 v[96:97], v84 offset0:235 offset1:236
	ds_read2_b32 v[100:101], v84 offset0:237 offset1:238
	v_fma_f32 v28, -v14, v29, v28
	v_fma_f32 v11, -v17, v71, v11
	;; [unrolled: 1-line block ×3, first 2 shown]
	s_waitcnt lgkmcnt(2)
	v_fma_f32 v11, -v18, v36, v11
	v_fma_f32 v28, -v16, v43, v28
	;; [unrolled: 1-line block ×4, first 2 shown]
	s_waitcnt lgkmcnt(1)
	v_fma_f32 v11, -v17, v96, v28
	v_fma_f32 v11, -v18, v37, v11
	;; [unrolled: 1-line block ×3, first 2 shown]
	ds_read2_b64 v[40:43], v84 offset0:177 offset1:178
	v_fma_f32 v44, -v8, v89, v11
	ds_read_b64 v[88:89], v84 offset:1432
	v_mul_f32_e32 v11, v90, v69
	v_fma_f32 v28, -v11, v91, v70
	v_fma_f32 v29, -v9, v75, v29
	;; [unrolled: 1-line block ×3, first 2 shown]
	ds_read_b128 v[70:73], v84 offset:1600
	ds_read_b128 v[74:77], v84 offset:1616
	s_waitcnt lgkmcnt(3)
	v_fma_f32 v29, -v10, v40, v29
	v_fma_f32 v29, -v11, v79, v29
	v_mov_b32_e32 v66, 0x5ec
	s_waitcnt lgkmcnt(1)
	v_mul_f32_e32 v28, v70, v28
	v_fma_f32 v52, -v28, v72, v29
	v_mov_b32_e32 v29, 0x52c
	v_fma_f32 v40, -v28, v71, v36
	ds_read2_b32 v[36:37], v29 offset1:1
	v_mov_b32_e32 v69, 0x6ac
	v_mov_b32_e32 v29, 0x76c
	ds_read2_b32 v[70:71], v66 offset1:1
	ds_read2_b32 v[78:79], v69 offset1:1
	;; [unrolled: 1-line block ×3, first 2 shown]
	v_fma_f32 v24, -v2, v46, v24
	s_waitcnt lgkmcnt(3)
	v_fma_f32 v29, -v9, v36, v44
	v_fma_f32 v29, -v10, v41, v29
	s_waitcnt lgkmcnt(2)
	v_fma_f32 v29, -v11, v70, v29
	v_fma_f32 v24, -v3, v45, v24
	;; [unrolled: 1-line block ×4, first 2 shown]
	v_mul_f32_e32 v29, v80, v40
	v_fma_f32 v4, -v12, v4, v24
	v_fma_f32 v25, -v2, v47, v25
	;; [unrolled: 1-line block ×4, first 2 shown]
	ds_read_b32 v52, v84 offset:188
	ds_read2_b64 v[44:47], v84 offset0:225 offset1:226
	v_fma_f32 v4, -v14, v30, v4
	v_fma_f32 v4, -v15, v67, v4
	;; [unrolled: 1-line block ×6, first 2 shown]
	s_waitcnt lgkmcnt(3)
	v_fma_f32 v20, -v29, v78, v36
	s_waitcnt lgkmcnt(0)
	v_mul_f32_e32 v30, v44, v40
	v_fma_f32 v26, v50, s16, -v26
	v_fma_f32 v5, -v14, v31, v5
	v_fma_f32 v20, -v30, v45, v20
	;; [unrolled: 1-line block ×3, first 2 shown]
	ds_read_b64 v[24:25], v84 offset:1816
	v_mul_f32_e32 v31, v90, v20
	global_store_dwordx4 v[54:55], v[0:3], off
	global_store_dwordx4 v[54:55], v[12:15], off offset:16
	global_store_dwordx4 v[54:55], v[16:19], off offset:32
	v_fma_f32 v5, -v15, v60, v5
	v_mov_b32_e32 v20, 0x474
	global_store_dwordx4 v[54:55], v[8:11], off offset:48
	global_store_dwordx4 v[54:55], v[28:31], off offset:64
	v_fma_f32 v26, -v2, v62, v26
	v_fma_f32 v4, -v17, v97, v4
	;; [unrolled: 1-line block ×3, first 2 shown]
	ds_read2_b32 v[20:21], v20 offset1:1
	v_fma_f32 v26, -v3, v87, v26
	v_fma_f32 v4, -v18, v38, v4
	;; [unrolled: 1-line block ×7, first 2 shown]
	v_mov_b32_e32 v32, 0x534
	v_fma_f32 v6, -v14, v58, v6
	v_fma_f32 v4, -v9, v37, v4
	;; [unrolled: 1-line block ×3, first 2 shown]
	v_mov_b32_e32 v36, 0x5f4
	v_mov_b32_e32 v37, 0x6b4
	ds_read2_b32 v[40:41], v32 offset1:1
	ds_read2_b32 v[44:45], v36 offset1:1
	;; [unrolled: 1-line block ×3, first 2 shown]
	v_fma_f32 v6, -v15, v61, v6
	s_waitcnt lgkmcnt(3)
	v_fma_f32 v5, -v19, v20, v5
	v_fma_f32 v6, -v16, v22, v6
	;; [unrolled: 1-line block ×4, first 2 shown]
	s_waitcnt lgkmcnt(2)
	v_fma_f32 v5, -v9, v40, v5
	v_mov_b32_e32 v20, 0x774
	v_fma_f32 v6, -v18, v92, v6
	v_fma_f32 v4, -v10, v42, v4
	;; [unrolled: 1-line block ×3, first 2 shown]
	v_mov_b32_e32 v36, 0x834
	ds_read2_b32 v[32:33], v20 offset1:1
	ds_read2_b32 v[42:43], v36 offset1:1
	v_fma_f32 v6, -v19, v21, v6
	ds_read2_b32 v[20:21], v84 offset0:95 offset1:143
	v_mul_f32_e32 v0, v0, v27
	v_fma_f32 v0, v51, s16, -v0
	v_fma_f32 v0, -v1, v52, v0
	v_fma_f32 v0, -v2, v63, v0
	s_waitcnt lgkmcnt(0)
	v_fma_f32 v0, -v3, v20, v0
	v_fma_f32 v0, -v12, v7, v0
	;; [unrolled: 1-line block ×3, first 2 shown]
	ds_read2_b32 v[0:1], v84 offset0:191 offset1:239
	v_add_u32_e64 v12, s8, 0
	v_fma_f32 v7, -v14, v59, v2
	ds_read2_b32 v[2:3], v12 offset0:31 offset1:79
	v_fma_f32 v6, -v8, v34, v6
	s_waitcnt lgkmcnt(1)
	v_fma_f32 v0, -v15, v0, v7
	v_fma_f32 v0, -v16, v23, v0
	;; [unrolled: 1-line block ×4, first 2 shown]
	s_waitcnt lgkmcnt(0)
	v_fma_f32 v0, -v19, v2, v0
	v_fma_f32 v0, -v8, v35, v0
	;; [unrolled: 1-line block ×3, first 2 shown]
	ds_read2_b32 v[0:1], v12 offset0:127 offset1:175
	v_fma_f32 v4, -v11, v71, v4
	ds_read_b128 v[36:39], v84 offset:2000
	v_fma_f32 v6, -v9, v41, v6
	s_movk_i32 s8, 0x600
	v_fma_f32 v4, -v28, v74, v4
	v_fma_f32 v5, -v11, v44, v5
	;; [unrolled: 1-line block ×4, first 2 shown]
	v_add_u32_e64 v2, s8, 0
	v_fma_f32 v4, -v29, v79, v4
	v_fma_f32 v5, -v28, v75, v5
	;; [unrolled: 1-line block ×3, first 2 shown]
	ds_read2_b32 v[2:3], v2 offset0:95 offset1:143
	v_fma_f32 v4, -v30, v46, v4
	v_fma_f32 v5, -v29, v48, v5
	;; [unrolled: 1-line block ×3, first 2 shown]
	s_waitcnt lgkmcnt(2)
	v_fma_f32 v0, -v11, v0, v7
	v_fma_f32 v4, -v31, v91, v4
	;; [unrolled: 1-line block ×3, first 2 shown]
	ds_read_b64 v[46:47], v84 offset:2200
	v_fma_f32 v6, -v29, v49, v6
	v_fma_f32 v0, -v28, v77, v0
	s_waitcnt lgkmcnt(2)
	v_mul_f32_e32 v4, v36, v4
	v_fma_f32 v5, -v31, v32, v5
	v_fma_f32 v6, -v30, v24, v6
	;; [unrolled: 1-line block ×6, first 2 shown]
	v_mul_f32_e32 v5, v42, v5
	v_fma_f32 v6, -v4, v38, v6
	s_waitcnt lgkmcnt(1)
	v_fma_f32 v0, -v31, v2, v0
	v_fma_f32 v6, -v5, v43, v6
	;; [unrolled: 1-line block ×3, first 2 shown]
	s_waitcnt lgkmcnt(0)
	v_mul_f32_e32 v6, v46, v6
	v_fma_f32 v0, -v5, v3, v0
	v_fma_f32 v0, -v6, v47, v0
	v_mul_f32_e32 v7, v68, v0
	s_mov_b32 s8, 24
	global_store_dwordx4 v[54:55], v[4:7], off offset:80
.LBB29_42:
	s_cmp_lt_i32 s8, s18
	s_cbranch_scc0 .LBB29_62
; %bb.43:
	s_add_i32 s9, s8, 19
	s_cmp_ge_u32 s9, s18
	s_cbranch_scc1 .LBB29_51
; %bb.44:
	s_lshl_b32 s11, s8, 2
	v_add_co_u32_e32 v12, vcc, s11, v54
	v_addc_co_u32_e32 v13, vcc, 0, v55, vcc
	global_load_dwordx4 v[0:3], v[12:13], off
	global_load_dwordx4 v[4:7], v[12:13], off offset:16
	global_load_dwordx4 v[8:11], v[12:13], off offset:32
	;; [unrolled: 1-line block ×4, first 2 shown]
	s_mov_b32 s10, 0
	s_andn2_b64 vcc, exec, s[6:7]
	s_waitcnt vmcnt(4)
	v_pk_mul_f32 v[32:33], v[0:1], s[16:17] op_sel_hi:[1,0]
	v_pk_mul_f32 v[30:31], v[2:3], s[16:17] op_sel_hi:[1,0]
	s_waitcnt vmcnt(3)
	v_pk_mul_f32 v[28:29], v[4:5], s[16:17] op_sel_hi:[1,0]
	v_pk_mul_f32 v[26:27], v[6:7], s[16:17] op_sel_hi:[1,0]
	;; [unrolled: 3-line block ×5, first 2 shown]
	s_cbranch_vccnz .LBB29_50
; %bb.45:
	s_max_u32 s6, s8, 1
	s_cmp_eq_u32 s6, 1
	s_cbranch_scc1 .LBB29_48
; %bb.46:
	s_and_b32 s10, s6, 24
	s_add_u32 s7, s2, s4
	s_addc_u32 s12, s3, s5
	s_add_u32 s7, s7, s0
	s_addc_u32 s12, s12, s1
	v_mov_b32_e32 v0, s12
	v_add_co_u32_e32 v1, vcc, s7, v56
	v_addc_co_u32_e32 v2, vcc, v0, v57, vcc
	v_add_co_u32_e32 v0, vcc, 4, v1
	v_addc_co_u32_e32 v1, vcc, 0, v2, vcc
	s_mov_b32 s7, 0
.LBB29_47:                              ; =>This Inner Loop Header: Depth=1
	global_load_dwordx2 v[10:11], v[0:1], off offset:-4
	v_mov_b32_e32 v66, s11
	ds_read_b128 v[2:5], v66
	ds_read_b128 v[6:9], v66 offset:16
	ds_read_b128 v[34:37], v66 offset:32
	;; [unrolled: 1-line block ×9, first 2 shown]
	s_add_i32 s7, s7, 2
	s_addk_i32 s11, 0xc0
	v_add_co_u32_e32 v0, vcc, 8, v0
	v_addc_co_u32_e32 v1, vcc, 0, v1, vcc
	s_cmp_lg_u32 s10, s7
	s_waitcnt vmcnt(0) lgkmcnt(9)
	v_pk_fma_f32 v[2:3], v[10:11], v[2:3], v[32:33] op_sel_hi:[0,1,1] neg_lo:[1,0,0] neg_hi:[1,0,0]
	v_pk_fma_f32 v[4:5], v[10:11], v[4:5], v[30:31] op_sel_hi:[0,1,1] neg_lo:[1,0,0] neg_hi:[1,0,0]
	s_waitcnt lgkmcnt(8)
	v_pk_fma_f32 v[6:7], v[10:11], v[6:7], v[28:29] op_sel_hi:[0,1,1] neg_lo:[1,0,0] neg_hi:[1,0,0]
	v_pk_fma_f32 v[8:9], v[10:11], v[8:9], v[26:27] op_sel_hi:[0,1,1] neg_lo:[1,0,0] neg_hi:[1,0,0]
	s_waitcnt lgkmcnt(7)
	;; [unrolled: 3-line block ×5, first 2 shown]
	v_pk_fma_f32 v[32:33], v[10:11], v[46:47], v[2:3] op_sel:[1,0,0] neg_lo:[1,0,0] neg_hi:[1,0,0]
	v_pk_fma_f32 v[30:31], v[10:11], v[48:49], v[4:5] op_sel:[1,0,0] neg_lo:[1,0,0] neg_hi:[1,0,0]
	s_waitcnt lgkmcnt(3)
	v_pk_fma_f32 v[28:29], v[10:11], v[50:51], v[6:7] op_sel:[1,0,0] neg_lo:[1,0,0] neg_hi:[1,0,0]
	v_pk_fma_f32 v[26:27], v[10:11], v[52:53], v[8:9] op_sel:[1,0,0] neg_lo:[1,0,0] neg_hi:[1,0,0]
	s_waitcnt lgkmcnt(2)
	;; [unrolled: 3-line block ×4, first 2 shown]
	v_pk_fma_f32 v[16:17], v[10:11], v[66:67], v[16:17] op_sel:[1,0,0] neg_lo:[1,0,0] neg_hi:[1,0,0]
	v_pk_fma_f32 v[14:15], v[10:11], v[68:69], v[14:15] op_sel:[1,0,0] neg_lo:[1,0,0] neg_hi:[1,0,0]
	s_cbranch_scc1 .LBB29_47
.LBB29_48:
	s_bitcmp0_b32 s6, 0
	s_cbranch_scc1 .LBB29_50
; %bb.49:
	s_lshl_b32 s6, s10, 2
	v_add_co_u32_e32 v0, vcc, s6, v54
	v_addc_co_u32_e32 v1, vcc, 0, v55, vcc
	global_load_dword v42, v[0:1], off
	s_mul_i32 s6, s10, 24
	s_add_i32 s6, s6, s8
	s_lshl_b32 s6, s6, 2
	v_mov_b32_e32 v38, s6
	ds_read_b128 v[0:3], v38
	ds_read_b128 v[4:7], v38 offset:16
	ds_read_b128 v[8:11], v38 offset:32
	ds_read_b128 v[34:37], v38 offset:48
	ds_read_b128 v[38:41], v38 offset:64
	s_waitcnt vmcnt(0) lgkmcnt(4)
	v_pk_fma_f32 v[32:33], v[42:43], v[0:1], v[32:33] op_sel_hi:[0,1,1] neg_lo:[1,0,0] neg_hi:[1,0,0]
	v_pk_fma_f32 v[30:31], v[42:43], v[2:3], v[30:31] op_sel_hi:[0,1,1] neg_lo:[1,0,0] neg_hi:[1,0,0]
	s_waitcnt lgkmcnt(3)
	v_pk_fma_f32 v[28:29], v[42:43], v[4:5], v[28:29] op_sel_hi:[0,1,1] neg_lo:[1,0,0] neg_hi:[1,0,0]
	v_pk_fma_f32 v[26:27], v[42:43], v[6:7], v[26:27] op_sel_hi:[0,1,1] neg_lo:[1,0,0] neg_hi:[1,0,0]
	s_waitcnt lgkmcnt(2)
	;; [unrolled: 3-line block ×4, first 2 shown]
	v_pk_fma_f32 v[16:17], v[42:43], v[38:39], v[16:17] op_sel_hi:[0,1,1] neg_lo:[1,0,0] neg_hi:[1,0,0]
	v_pk_fma_f32 v[14:15], v[42:43], v[40:41], v[14:15] op_sel_hi:[0,1,1] neg_lo:[1,0,0] neg_hi:[1,0,0]
.LBB29_50:
	s_mul_i32 s6, s8, 0x64
	v_mov_b32_e32 v34, s6
	ds_read_b128 v[0:3], v34
	ds_read_b128 v[8:11], v34 offset:16
	ds_read2_b32 v[40:41], v34 offset0:25 offset1:26
	ds_read_b128 v[4:7], v34 offset:64
	ds_read2_b64 v[36:39], v34 offset0:25 offset1:26
	s_waitcnt lgkmcnt(4)
	v_mul_f32_e32 v0, v0, v32
	v_fma_f32 v1, -v0, v1, v33
	s_waitcnt lgkmcnt(2)
	v_mul_f32_e32 v1, v40, v1
	v_fma_f32 v2, -v0, v2, v30
	v_fma_f32 v2, -v1, v41, v2
	ds_read_b32 v86, v34 offset:172
	ds_read2_b32 v[40:41], v34 offset0:27 offset1:28
	ds_read2_b32 v[44:45], v34 offset0:29 offset1:30
	;; [unrolled: 1-line block ×4, first 2 shown]
	v_fma_f32 v3, -v0, v3, v31
	v_fma_f32 v8, -v0, v8, v28
	;; [unrolled: 1-line block ×3, first 2 shown]
	s_waitcnt lgkmcnt(5)
	v_mul_f32_e32 v2, v36, v2
	s_waitcnt lgkmcnt(3)
	v_fma_f32 v3, -v1, v40, v3
	v_fma_f32 v8, -v1, v41, v8
	s_waitcnt lgkmcnt(2)
	v_fma_f32 v9, -v1, v44, v9
	ds_read2_b32 v[42:43], v34 offset0:75 offset1:76
	v_fma_f32 v3, -v2, v37, v3
	ds_read2_b32 v[48:49], v34 offset0:77 offset1:78
	ds_read2_b32 v[68:69], v34 offset0:79 offset1:80
	;; [unrolled: 1-line block ×3, first 2 shown]
	ds_read_b128 v[30:33], v34 offset:400
	v_fma_f32 v8, -v2, v38, v8
	v_fma_f32 v9, -v2, v39, v9
	ds_read2_b64 v[36:39], v34 offset0:27 offset1:28
	v_fma_f32 v10, -v0, v10, v26
	v_fma_f32 v10, -v1, v45, v10
	;; [unrolled: 1-line block ×3, first 2 shown]
	s_waitcnt lgkmcnt(5)
	v_mul_f32_e32 v3, v42, v3
	s_waitcnt lgkmcnt(0)
	v_fma_f32 v10, -v2, v36, v10
	v_fma_f32 v11, -v1, v52, v11
	;; [unrolled: 1-line block ×3, first 2 shown]
	ds_read2_b32 v[28:29], v34 offset0:91 offset1:125
	v_fma_f32 v9, -v3, v48, v9
	ds_read2_b64 v[44:47], v34 offset0:29 offset1:30
	v_fma_f32 v10, -v3, v49, v10
	ds_read_b128 v[48:51], v34 offset:32
	v_fma_f32 v11, -v2, v37, v11
	v_mul_f32_e32 v8, v30, v8
	v_fma_f32 v11, -v3, v68, v11
	ds_read_b128 v[40:43], v34 offset:416
	v_fma_f32 v9, -v8, v31, v9
	v_fma_f32 v10, -v8, v32, v10
	;; [unrolled: 1-line block ×3, first 2 shown]
	ds_read_b128 v[30:33], v34 offset:48
	ds_read2_b64 v[58:61], v34 offset0:63 offset1:64
	ds_read2_b32 v[26:27], v34 offset0:150 offset1:163
	s_waitcnt lgkmcnt(6)
	v_mul_f32_e32 v9, v29, v9
	s_waitcnt lgkmcnt(4)
	v_fma_f32 v24, -v0, v48, v24
	s_or_b32 s7, s8, 7
	v_fma_f32 v24, -v1, v53, v24
	s_waitcnt lgkmcnt(1)
	v_fma_f32 v10, -v9, v58, v10
	s_mulk_i32 s7, 0x64
	v_fma_f32 v25, -v0, v49, v25
	s_waitcnt lgkmcnt(0)
	v_mul_f32_e32 v10, v26, v10
	v_mov_b32_e32 v26, s7
	v_fma_f32 v29, -v2, v38, v24
	v_fma_f32 v24, -v1, v66, v25
	ds_read2_b64 v[62:65], v34 offset0:65 offset1:66
	v_fma_f32 v11, -v9, v59, v11
	v_fma_f32 v35, -v2, v39, v24
	ds_read2_b32 v[24:25], v34 offset0:151 offset1:152
	ds_read_b32 v26, v26
	ds_read2_b32 v[36:37], v34 offset0:153 offset1:154
	ds_read2_b32 v[48:49], v34 offset0:155 offset1:156
	;; [unrolled: 1-line block ×3, first 2 shown]
	s_waitcnt lgkmcnt(4)
	v_fma_f32 v11, -v10, v24, v11
	v_fma_f32 v24, -v3, v69, v29
	;; [unrolled: 1-line block ×5, first 2 shown]
	s_waitcnt lgkmcnt(3)
	v_mul_f32_e32 v11, v26, v11
	v_fma_f32 v26, -v10, v25, v24
	v_fma_f32 v24, -v3, v70, v35
	;; [unrolled: 1-line block ×5, first 2 shown]
	ds_read2_b32 v[40:41], v34 offset0:35 offset1:36
	v_fma_f32 v22, -v3, v71, v22
	v_fma_f32 v22, -v8, v42, v22
	v_fma_f32 v22, -v9, v62, v22
	s_waitcnt lgkmcnt(3)
	v_fma_f32 v35, -v10, v37, v22
	v_fma_f32 v22, -v0, v51, v23
	;; [unrolled: 1-line block ×3, first 2 shown]
	s_waitcnt lgkmcnt(0)
	v_fma_f32 v22, -v1, v40, v22
	v_fma_f32 v29, -v10, v36, v24
	ds_read2_b32 v[58:59], v34 offset0:37 offset1:38
	ds_read2_b32 v[66:67], v34 offset0:39 offset1:40
	;; [unrolled: 1-line block ×3, first 2 shown]
	v_fma_f32 v36, -v2, v45, v22
	ds_read2_b32 v[44:45], v34 offset0:83 offset1:84
	ds_read_b128 v[22:25], v34 offset:704
	ds_read2_b32 v[60:61], v34 offset0:85 offset1:86
	ds_read2_b32 v[70:71], v34 offset0:87 offset1:88
	;; [unrolled: 1-line block ×3, first 2 shown]
	s_waitcnt lgkmcnt(4)
	v_fma_f32 v36, -v3, v44, v36
	v_fma_f32 v40, -v8, v43, v36
	s_waitcnt lgkmcnt(3)
	v_fma_f32 v26, -v11, v22, v26
	v_fma_f32 v22, -v9, v63, v40
	;; [unrolled: 1-line block ×12, first 2 shown]
	ds_read_b128 v[20:23], v34 offset:432
	v_fma_f32 v25, -v3, v45, v25
	v_fma_f32 v58, -v0, v32, v18
	;; [unrolled: 1-line block ×3, first 2 shown]
	ds_read_b128 v[30:33], v34 offset:448
	s_waitcnt lgkmcnt(1)
	v_fma_f32 v18, -v8, v20, v25
	ds_read2_b32 v[62:63], v34 offset0:200 offset1:211
	v_fma_f32 v25, -v9, v64, v18
	v_fma_f32 v18, -v3, v60, v40
	v_fma_f32 v18, -v8, v21, v18
	ds_read2_b32 v[20:21], v34 offset0:201 offset1:202
	ds_read_b32 v19, v34 offset:900
	v_fma_f32 v48, -v9, v65, v18
	s_waitcnt lgkmcnt(2)
	v_mul_f32_e32 v18, v62, v26
	ds_read_b128 v[36:39], v34 offset:720
	ds_read_b128 v[40:43], v34 offset:736
	s_waitcnt lgkmcnt(3)
	v_fma_f32 v20, -v18, v20, v29
	ds_read2_b64 v[44:47], v34 offset0:113 offset1:114
	s_waitcnt lgkmcnt(3)
	v_mul_f32_e32 v19, v19, v20
	v_fma_f32 v26, -v18, v21, v24
	ds_read2_b32 v[20:21], v34 offset0:203 offset1:204
	v_fma_f32 v29, -v10, v49, v25
	s_waitcnt lgkmcnt(3)
	v_fma_f32 v29, -v11, v36, v29
	ds_read2_b32 v[24:25], v34 offset0:205 offset1:206
	ds_read2_b32 v[64:65], v34 offset0:207 offset1:208
	;; [unrolled: 1-line block ×3, first 2 shown]
	s_waitcnt lgkmcnt(4)
	v_fma_f32 v26, -v19, v44, v26
	s_waitcnt lgkmcnt(3)
	v_fma_f32 v20, -v18, v20, v35
	v_fma_f32 v21, -v18, v21, v29
	v_fma_f32 v29, -v19, v45, v20
	v_fma_f32 v20, -v10, v52, v48
	ds_read_b64 v[76:77], v34 offset:264
	ds_read2_b64 v[48:51], v34 offset0:31 offset1:32
	v_fma_f32 v20, -v11, v37, v20
	s_waitcnt lgkmcnt(4)
	v_fma_f32 v20, -v18, v24, v20
	v_fma_f32 v21, -v19, v46, v21
	;; [unrolled: 1-line block ×4, first 2 shown]
	ds_read_b64 v[78:79], v34 offset:552
	ds_read2_b64 v[44:47], v34 offset0:67 offset1:68
	s_waitcnt lgkmcnt(2)
	v_fma_f32 v20, -v2, v48, v20
	v_fma_f32 v20, -v3, v61, v20
	;; [unrolled: 1-line block ×6, first 2 shown]
	s_waitcnt lgkmcnt(0)
	v_fma_f32 v20, -v9, v44, v20
	v_fma_f32 v22, -v8, v23, v22
	;; [unrolled: 1-line block ×5, first 2 shown]
	ds_read2_b32 v[44:45], v34 offset0:159 offset1:160
	v_add_u32_e32 v22, 0x200, v34
	ds_read2_b32 v[48:49], v22 offset0:122 offset1:131
	ds_read2_b32 v[52:53], v34 offset0:161 offset1:162
	;; [unrolled: 1-line block ×3, first 2 shown]
	v_fma_f32 v4, -v0, v4, v16
	v_fma_f32 v4, -v1, v67, v4
	s_waitcnt lgkmcnt(3)
	v_fma_f32 v20, -v10, v44, v20
	v_fma_f32 v44, -v11, v39, v20
	s_waitcnt lgkmcnt(2)
	v_mul_f32_e32 v20, v48, v26
	v_fma_f32 v4, -v2, v50, v4
	ds_read2_b32 v[58:59], v34 offset0:253 offset1:254
	s_waitcnt lgkmcnt(1)
	v_fma_f32 v26, -v20, v22, v29
	v_fma_f32 v29, -v20, v23, v21
	;; [unrolled: 1-line block ×3, first 2 shown]
	ds_read_b64 v[80:81], v34 offset:936
	ds_read2_b64 v[22:25], v34 offset0:115 offset1:116
	v_add_u32_e32 v48, 0x400, v34
	v_fma_f32 v5, -v0, v5, v17
	v_fma_f32 v4, -v3, v71, v4
	ds_read2_b32 v[82:83], v48 offset0:19 offset1:44
	v_fma_f32 v5, -v1, v68, v5
	v_fma_f32 v4, -v8, v30, v4
	ds_read_b128 v[36:39], v34 offset:1104
	v_fma_f32 v5, -v2, v51, v5
	v_fma_f32 v4, -v9, v46, v4
	v_fma_f32 v5, -v3, v72, v5
	v_fma_f32 v4, -v10, v45, v4
	v_fma_f32 v5, -v8, v31, v5
	v_fma_f32 v4, -v11, v40, v4
	s_waitcnt lgkmcnt(2)
	v_fma_f32 v21, -v19, v22, v21
	v_fma_f32 v5, -v9, v47, v5
	;; [unrolled: 1-line block ×4, first 2 shown]
	s_waitcnt lgkmcnt(1)
	v_mul_f32_e32 v21, v82, v26
	s_add_i32 s7, s6, 0x3fc
	v_fma_f32 v24, -v19, v24, v4
	v_fma_f32 v4, -v10, v52, v5
	;; [unrolled: 1-line block ×3, first 2 shown]
	ds_read_b128 v[58:61], v34 offset:1120
	s_waitcnt lgkmcnt(1)
	v_fma_f32 v26, -v21, v36, v29
	v_mov_b32_e32 v29, s7
	v_fma_f32 v4, -v11, v41, v4
	ds_read2_b32 v[84:85], v29 offset1:1
	v_fma_f32 v4, -v18, v74, v4
	s_add_i32 s7, s6, 0x4b4
	v_fma_f32 v25, -v19, v25, v4
	v_mov_b32_e32 v4, s7
	ds_read2_b32 v[4:5], v4 offset1:1
	s_add_i32 s7, s6, 0x4bc
	v_fma_f32 v29, -v21, v37, v35
	v_fma_f32 v35, -v21, v38, v22
	v_fma_f32 v22, -v18, v64, v44
	v_mov_b32_e32 v16, s7
	ds_read2_b32 v[16:17], v16 offset1:1
	v_fma_f32 v22, -v19, v23, v22
	s_waitcnt lgkmcnt(2)
	v_fma_f32 v22, -v20, v84, v22
	v_fma_f32 v23, -v21, v39, v22
	v_mul_f32_e32 v22, v83, v26
	s_waitcnt lgkmcnt(1)
	v_fma_f32 v26, -v22, v4, v29
	v_fma_f32 v4, -v20, v85, v24
	;; [unrolled: 1-line block ×4, first 2 shown]
	s_waitcnt lgkmcnt(0)
	v_fma_f32 v24, -v22, v16, v23
	v_fma_f32 v35, -v22, v17, v4
	ds_read2_b32 v[16:17], v48 offset0:51 offset1:69
	ds_read_b64 v[30:31], v34 offset:1320
	ds_read2_b64 v[36:39], v34 offset0:163 offset1:164
	s_add_i32 s7, s6, 0x404
	v_mov_b32_e32 v4, s7
	ds_read2_b32 v[4:5], v4 offset1:1
	s_waitcnt lgkmcnt(3)
	v_mul_f32_e32 v23, v17, v26
	s_add_i32 s7, s6, 0x4c4
	s_waitcnt lgkmcnt(1)
	v_fma_f32 v26, -v23, v37, v24
	v_mov_b32_e32 v24, s7
	v_fma_f32 v17, -v23, v36, v29
	ds_read2_b32 v[36:37], v24 offset1:1
	ds_read2_b32 v[40:41], v48 offset0:94 offset1:99
	s_waitcnt lgkmcnt(2)
	v_fma_f32 v4, -v20, v4, v25
	v_fma_f32 v4, -v21, v59, v4
	s_add_i32 s7, s6, 0x57c
	s_waitcnt lgkmcnt(1)
	v_fma_f32 v4, -v22, v36, v4
	v_fma_f32 v36, -v23, v39, v4
	;; [unrolled: 1-line block ×6, first 2 shown]
	v_mov_b32_e32 v24, s7
	v_fma_f32 v4, -v8, v32, v4
	ds_read2_b32 v[44:45], v24 offset1:1
	v_fma_f32 v4, -v9, v78, v4
	v_fma_f32 v4, -v10, v53, v4
	;; [unrolled: 1-line block ×5, first 2 shown]
	s_add_i32 s7, s8, 20
	ds_read2_b32 v[38:39], v48 offset0:119 offset1:144
	s_add_i32 s8, s6, 0x584
	s_waitcnt lgkmcnt(2)
	v_mul_f32_e32 v24, v40, v17
	v_fma_f32 v4, -v19, v80, v4
	v_mov_b32_e32 v14, s8
	s_waitcnt lgkmcnt(1)
	v_fma_f32 v17, -v24, v44, v26
	v_fma_f32 v26, -v24, v45, v29
	;; [unrolled: 1-line block ×4, first 2 shown]
	ds_read_b128 v[4:7], v34 offset:1504
	ds_read2_b32 v[14:15], v14 offset1:1
	s_waitcnt lgkmcnt(2)
	v_mul_f32_e32 v25, v38, v17
	s_addk_i32 s6, 0x644
	global_store_dwordx4 v[12:13], v[0:3], off
	v_mov_b32_e32 v17, s6
	s_waitcnt lgkmcnt(1)
	v_fma_f32 v0, -v25, v4, v26
	v_fma_f32 v4, -v21, v60, v29
	s_waitcnt lgkmcnt(0)
	v_fma_f32 v14, -v24, v14, v36
	v_fma_f32 v4, -v22, v37, v4
	ds_read2_b32 v[36:37], v17 offset1:1
	v_fma_f32 v4, -v23, v30, v4
	v_fma_f32 v15, -v24, v15, v4
	v_mul_f32_e32 v4, v39, v0
	v_fma_f32 v0, -v25, v5, v14
	v_fma_f32 v5, -v25, v6, v15
	ds_read2_b32 v[14:15], v48 offset0:147 offset1:169
	ds_read_b64 v[34:35], v34 offset:1704
	s_waitcnt lgkmcnt(2)
	v_fma_f32 v0, -v4, v36, v0
	v_fma_f32 v6, -v4, v37, v5
	ds_read2_b32 v[36:37], v48 offset0:194 offset1:195
	s_waitcnt lgkmcnt(2)
	v_mul_f32_e32 v5, v15, v0
	s_waitcnt lgkmcnt(1)
	v_fma_f32 v0, -v5, v34, v6
	s_mul_i32 s6, s9, 0x64
	global_store_dwordx4 v[12:13], v[8:11], off offset:16
	s_waitcnt lgkmcnt(0)
	v_mul_f32_e32 v6, v36, v0
	v_fma_f32 v0, -v1, v86, v32
	v_fma_f32 v0, -v2, v77, v0
	;; [unrolled: 1-line block ×12, first 2 shown]
	global_store_dwordx4 v[12:13], v[18:21], off offset:32
	global_store_dwordx4 v[12:13], v[22:25], off offset:48
	v_fma_f32 v0, -v23, v31, v0
	v_mov_b32_e32 v1, s6
	v_fma_f32 v0, -v24, v41, v0
	ds_read_b32 v1, v1
	v_fma_f32 v0, -v25, v7, v0
	v_fma_f32 v0, -v4, v14, v0
	v_fma_f32 v0, -v5, v35, v0
	v_fma_f32 v0, -v6, v37, v0
	s_waitcnt lgkmcnt(0)
	v_mul_f32_e32 v7, v1, v0
	s_mov_b32 s8, s7
	global_store_dwordx4 v[12:13], v[4:7], off offset:64
.LBB29_51:
	s_cmp_ge_i32 s8, s18
	s_cbranch_scc1 .LBB29_62
; %bb.52:
	s_add_i32 s6, s8, -1
	s_lshl_b32 s7, s8, 2
	s_add_u32 s2, s2, s4
	s_addc_u32 s3, s3, s5
	s_add_u32 s0, s2, s0
	s_addc_u32 s1, s3, s1
	v_mov_b32_e32 v0, s1
	v_add_co_u32_e32 v6, vcc, s0, v56
	v_addc_co_u32_e32 v7, vcc, v0, v57, vcc
	v_add_co_u32_e32 v0, vcc, 28, v6
	v_addc_co_u32_e32 v1, vcc, 0, v7, vcc
	s_mov_b32 s1, 0
	s_mov_b32 s3, s8
	;; [unrolled: 1-line block ×3, first 2 shown]
	s_branch .LBB29_54
.LBB29_53:                              ;   in Loop: Header=BB29_54 Depth=1
	s_mul_i32 s0, s8, 0x64
	v_mov_b32_e32 v4, s0
	ds_read_b32 v4, v4
	s_add_i32 s8, s8, 1
	s_add_i32 s2, s2, 1
	;; [unrolled: 1-line block ×3, first 2 shown]
	v_add_u16_e64 v5, s3, 1
	s_waitcnt lgkmcnt(0)
	v_mul_f32_e32 v4, v4, v8
	s_cmp_ge_i32 s8, s18
	v_readfirstlane_b32 s3, v5
	global_store_dword v[2:3], v4, off
	s_cbranch_scc1 .LBB29_62
.LBB29_54:                              ; =>This Loop Header: Depth=1
                                        ;     Child Loop BB29_57 Depth 2
                                        ;     Child Loop BB29_61 Depth 2
	s_ashr_i32 s9, s8, 31
	s_lshl_b64 s[4:5], s[8:9], 2
	v_mov_b32_e32 v3, s5
	v_add_co_u32_e32 v2, vcc, s4, v54
	v_addc_co_u32_e32 v3, vcc, v55, v3, vcc
	global_load_dword v4, v[2:3], off
	s_cmp_eq_u32 s8, 0
	s_waitcnt vmcnt(0)
	v_mul_f32_e32 v8, s16, v4
	s_cbranch_scc1 .LBB29_53
; %bb.55:                               ;   in Loop: Header=BB29_54 Depth=1
	s_add_i32 s0, s6, s2
	s_cmp_lt_u32 s0, 7
	s_cbranch_scc1 .LBB29_59
; %bb.56:                               ;   in Loop: Header=BB29_54 Depth=1
	s_and_b32 s0, s8, -8
	s_mov_b32 s4, 0
	v_pk_mov_b32 v[4:5], v[0:1], v[0:1] op_sel:[0,1]
	s_mov_b32 s5, s7
.LBB29_57:                              ;   Parent Loop BB29_54 Depth=1
                                        ; =>  This Inner Loop Header: Depth=2
	global_load_dwordx4 v[10:13], v[4:5], off offset:-28
	global_load_dwordx4 v[14:17], v[4:5], off offset:-12
	v_mov_b32_e32 v9, s5
	ds_read2_b32 v[18:19], v9 offset1:24
	ds_read2_b32 v[20:21], v9 offset0:48 offset1:72
	ds_read2_b32 v[22:23], v9 offset0:96 offset1:120
	;; [unrolled: 1-line block ×3, first 2 shown]
	s_add_i32 s4, s4, 8
	s_addk_i32 s5, 0x300
	v_add_co_u32_e32 v4, vcc, 32, v4
	v_addc_co_u32_e32 v5, vcc, 0, v5, vcc
	s_cmp_lg_u32 s0, s4
	s_waitcnt vmcnt(1) lgkmcnt(3)
	v_fma_f32 v8, -v10, v18, v8
	v_fma_f32 v8, -v11, v19, v8
	s_waitcnt lgkmcnt(2)
	v_fma_f32 v8, -v12, v20, v8
	v_fma_f32 v8, -v13, v21, v8
	s_waitcnt vmcnt(0) lgkmcnt(1)
	v_fma_f32 v8, -v14, v22, v8
	v_fma_f32 v8, -v15, v23, v8
	s_waitcnt lgkmcnt(0)
	v_fma_f32 v8, -v16, v24, v8
	v_fma_f32 v8, -v17, v25, v8
	s_cbranch_scc1 .LBB29_57
; %bb.58:                               ;   in Loop: Header=BB29_54 Depth=1
	s_and_b32 s4, s8, 7
	s_cmp_eq_u32 s4, 0
	s_cbranch_scc0 .LBB29_60
	s_branch .LBB29_53
.LBB29_59:                              ;   in Loop: Header=BB29_54 Depth=1
	s_mov_b32 s0, 0
	s_and_b32 s4, s8, 7
	s_cmp_eq_u32 s4, 0
	s_cbranch_scc1 .LBB29_53
.LBB29_60:                              ;   in Loop: Header=BB29_54 Depth=1
	s_lshl_b64 s[10:11], s[0:1], 2
	v_mov_b32_e32 v5, s11
	v_add_co_u32_e32 v4, vcc, s10, v6
	s_and_b32 s4, s3, 7
	s_mul_i32 s5, s0, 0x60
	v_addc_co_u32_e32 v5, vcc, v7, v5, vcc
.LBB29_61:                              ;   Parent Loop BB29_54 Depth=1
                                        ; =>  This Inner Loop Header: Depth=2
	global_load_dword v9, v[4:5], off
	s_add_i32 s0, s7, s5
	v_mov_b32_e32 v10, s0
	ds_read_b32 v10, v10
	s_addk_i32 s5, 0x60
	v_add_co_u32_e32 v4, vcc, 4, v4
	s_add_i32 s4, s4, -1
	v_addc_co_u32_e32 v5, vcc, 0, v5, vcc
	s_cmp_lg_u32 s4, 0
	s_waitcnt vmcnt(0) lgkmcnt(0)
	v_fma_f32 v8, -v9, v10, v8
	s_cbranch_scc1 .LBB29_61
	s_branch .LBB29_53
.LBB29_62:
	s_endpgm
	.section	.rodata,"a",@progbits
	.p2align	6, 0x0
	.amdhsa_kernel _ZL30rocblas_trsm_small_left_deviceILi24ELi24ELb1EffPKfPfEv13rocblas_fill_18rocblas_operation_17rocblas_diagonal_iiT3_T4_lilT5_lili
		.amdhsa_group_segment_fixed_size 2304
		.amdhsa_private_segment_fixed_size 0
		.amdhsa_kernarg_size 352
		.amdhsa_user_sgpr_count 6
		.amdhsa_user_sgpr_private_segment_buffer 1
		.amdhsa_user_sgpr_dispatch_ptr 0
		.amdhsa_user_sgpr_queue_ptr 0
		.amdhsa_user_sgpr_kernarg_segment_ptr 1
		.amdhsa_user_sgpr_dispatch_id 0
		.amdhsa_user_sgpr_flat_scratch_init 0
		.amdhsa_user_sgpr_kernarg_preload_length 0
		.amdhsa_user_sgpr_kernarg_preload_offset 0
		.amdhsa_user_sgpr_private_segment_size 0
		.amdhsa_uses_dynamic_stack 0
		.amdhsa_system_sgpr_private_segment_wavefront_offset 0
		.amdhsa_system_sgpr_workgroup_id_x 1
		.amdhsa_system_sgpr_workgroup_id_y 0
		.amdhsa_system_sgpr_workgroup_id_z 1
		.amdhsa_system_sgpr_workgroup_info 0
		.amdhsa_system_vgpr_workitem_id 0
		.amdhsa_next_free_vgpr 102
		.amdhsa_next_free_sgpr 43
		.amdhsa_accum_offset 104
		.amdhsa_reserve_vcc 1
		.amdhsa_reserve_flat_scratch 0
		.amdhsa_float_round_mode_32 0
		.amdhsa_float_round_mode_16_64 0
		.amdhsa_float_denorm_mode_32 3
		.amdhsa_float_denorm_mode_16_64 3
		.amdhsa_dx10_clamp 1
		.amdhsa_ieee_mode 1
		.amdhsa_fp16_overflow 0
		.amdhsa_tg_split 0
		.amdhsa_exception_fp_ieee_invalid_op 0
		.amdhsa_exception_fp_denorm_src 0
		.amdhsa_exception_fp_ieee_div_zero 0
		.amdhsa_exception_fp_ieee_overflow 0
		.amdhsa_exception_fp_ieee_underflow 0
		.amdhsa_exception_fp_ieee_inexact 0
		.amdhsa_exception_int_div_zero 0
	.end_amdhsa_kernel
	.section	.text._ZL30rocblas_trsm_small_left_deviceILi24ELi24ELb1EffPKfPfEv13rocblas_fill_18rocblas_operation_17rocblas_diagonal_iiT3_T4_lilT5_lili,"axG",@progbits,_ZL30rocblas_trsm_small_left_deviceILi24ELi24ELb1EffPKfPfEv13rocblas_fill_18rocblas_operation_17rocblas_diagonal_iiT3_T4_lilT5_lili,comdat
.Lfunc_end29:
	.size	_ZL30rocblas_trsm_small_left_deviceILi24ELi24ELb1EffPKfPfEv13rocblas_fill_18rocblas_operation_17rocblas_diagonal_iiT3_T4_lilT5_lili, .Lfunc_end29-_ZL30rocblas_trsm_small_left_deviceILi24ELi24ELb1EffPKfPfEv13rocblas_fill_18rocblas_operation_17rocblas_diagonal_iiT3_T4_lilT5_lili
                                        ; -- End function
	.section	.AMDGPU.csdata,"",@progbits
; Kernel info:
; codeLenInByte = 21020
; NumSgprs: 47
; NumVgprs: 102
; NumAgprs: 0
; TotalNumVgprs: 102
; ScratchSize: 0
; MemoryBound: 1
; FloatMode: 240
; IeeeMode: 1
; LDSByteSize: 2304 bytes/workgroup (compile time only)
; SGPRBlocks: 5
; VGPRBlocks: 12
; NumSGPRsForWavesPerEU: 47
; NumVGPRsForWavesPerEU: 102
; AccumOffset: 104
; Occupancy: 4
; WaveLimiterHint : 0
; COMPUTE_PGM_RSRC2:SCRATCH_EN: 0
; COMPUTE_PGM_RSRC2:USER_SGPR: 6
; COMPUTE_PGM_RSRC2:TRAP_HANDLER: 0
; COMPUTE_PGM_RSRC2:TGID_X_EN: 1
; COMPUTE_PGM_RSRC2:TGID_Y_EN: 0
; COMPUTE_PGM_RSRC2:TGID_Z_EN: 1
; COMPUTE_PGM_RSRC2:TIDIG_COMP_CNT: 0
; COMPUTE_PGM_RSRC3_GFX90A:ACCUM_OFFSET: 25
; COMPUTE_PGM_RSRC3_GFX90A:TG_SPLIT: 0
	.section	.text._ZL31rocblas_trsm_small_right_deviceIffPKfPfLi24EEv13rocblas_fill_18rocblas_operation_17rocblas_diagonal_iiT0_T1_lilT2_lili,"axG",@progbits,_ZL31rocblas_trsm_small_right_deviceIffPKfPfLi24EEv13rocblas_fill_18rocblas_operation_17rocblas_diagonal_iiT0_T1_lilT2_lili,comdat
	.globl	_ZL31rocblas_trsm_small_right_deviceIffPKfPfLi24EEv13rocblas_fill_18rocblas_operation_17rocblas_diagonal_iiT0_T1_lilT2_lili ; -- Begin function _ZL31rocblas_trsm_small_right_deviceIffPKfPfLi24EEv13rocblas_fill_18rocblas_operation_17rocblas_diagonal_iiT0_T1_lilT2_lili
	.p2align	8
	.type	_ZL31rocblas_trsm_small_right_deviceIffPKfPfLi24EEv13rocblas_fill_18rocblas_operation_17rocblas_diagonal_iiT0_T1_lilT2_lili,@function
_ZL31rocblas_trsm_small_right_deviceIffPKfPfLi24EEv13rocblas_fill_18rocblas_operation_17rocblas_diagonal_iiT0_T1_lilT2_lili: ; @_ZL31rocblas_trsm_small_right_deviceIffPKfPfLi24EEv13rocblas_fill_18rocblas_operation_17rocblas_diagonal_iiT0_T1_lilT2_lili
; %bb.0:
	s_load_dwordx4 s[8:11], s[4:5], 0x0
	s_load_dwordx2 s[18:19], s[4:5], 0x10
	s_load_dwordx4 s[0:3], s[4:5], 0x30
	s_load_dwordx2 s[16:17], s[4:5], 0x40
	s_mov_b32 s27, 0
	s_waitcnt lgkmcnt(0)
	s_min_i32 s26, s18, 24
	v_cmp_gt_i32_e32 vcc, s26, v0
	s_and_saveexec_b64 s[20:21], vcc
	s_cbranch_execz .LBB30_14
; %bb.1:
	s_load_dword s22, s[4:5], 0x28
	s_load_dwordx4 s[12:15], s[4:5], 0x18
	s_cmp_gt_u32 s26, 1
	s_cselect_b64 s[24:25], -1, 0
	s_mov_b32 s23, 1
	s_waitcnt lgkmcnt(0)
	s_cmp_eq_u32 s22, 1
	s_cselect_b64 s[28:29], -1, 0
	s_and_b64 s[28:29], s[24:25], s[28:29]
	s_mov_b64 s[24:25], -1
	s_and_b64 vcc, exec, s[28:29]
	s_cbranch_vccz .LBB30_9
; %bb.2:
	s_add_i32 s24, s26, -2
	s_lshr_b32 s25, s24, 1
	s_add_i32 s25, s25, 1
	s_cmp_lt_u32 s24, 14
	s_mov_b32 s24, s27
	s_cbranch_scc1 .LBB30_5
; %bb.3:
	s_mul_i32 s23, s1, s7
	s_mul_hi_u32 s24, s0, s7
	s_add_i32 s31, s24, s23
	s_mul_i32 s30, s0, s7
	s_and_b32 s28, s25, -8
	s_lshl_b64 s[30:31], s[30:31], 2
	s_lshl_b64 s[34:35], s[14:15], 2
	s_add_u32 s23, s30, s34
	s_addc_u32 s24, s31, s35
	s_add_u32 s23, s12, s23
	v_lshlrev_b32_e32 v1, 2, v0
	s_addc_u32 s24, s13, s24
	v_mov_b32_e32 v2, s24
	v_add_co_u32_e32 v1, vcc, s23, v1
	v_addc_co_u32_e32 v3, vcc, 0, v2, vcc
	v_add_co_u32_e32 v2, vcc, 56, v1
	v_addc_co_u32_e32 v3, vcc, 0, v3, vcc
	s_mov_b32 s23, 1
	s_mov_b32 s24, 0
.LBB30_4:                               ; =>This Inner Loop Header: Depth=1
	global_load_dwordx4 v[4:7], v[2:3], off offset:-56
	global_load_dwordx4 v[8:11], v[2:3], off offset:-40
	global_load_dwordx4 v[12:15], v[2:3], off offset:-24
	global_load_dwordx4 v[16:19], v[2:3], off offset:-8
	s_mul_i32 s29, s23, 24
	s_mul_i32 s30, s27, 24
	s_add_i32 s24, s24, 16
	s_add_i32 s23, s23, 16
	;; [unrolled: 1-line block ×3, first 2 shown]
	s_add_i32 s28, s28, -8
	v_add_co_u32_e32 v2, vcc, 64, v2
	v_add_lshl_u32 v1, s30, v0, 2
	v_add_lshl_u32 v20, s29, v0, 2
	s_add_i32 s31, s29, 48
	s_add_i32 s33, s30, 48
	;; [unrolled: 1-line block ×12, first 2 shown]
	s_addk_i32 s29, 0x150
	s_addk_i32 s30, 0x150
	v_addc_co_u32_e32 v3, vcc, 0, v3, vcc
	s_cmp_lg_u32 s28, 0
	v_add_lshl_u32 v21, s33, v0, 2
	v_add_lshl_u32 v22, s31, v0, 2
	;; [unrolled: 1-line block ×14, first 2 shown]
	s_waitcnt vmcnt(3)
	ds_write_b32 v1, v4
	ds_write_b32 v20, v5
	ds_write_b32 v21, v6
	ds_write_b32 v22, v7
	s_waitcnt vmcnt(2)
	ds_write_b32 v23, v8
	ds_write_b32 v24, v9
	ds_write_b32 v25, v10
	ds_write_b32 v26, v11
	;; [unrolled: 5-line block ×4, first 2 shown]
	s_cbranch_scc1 .LBB30_4
.LBB30_5:
	s_and_b32 s28, s25, 7
	s_cmp_eq_u32 s28, 0
	s_mov_b32 s25, 0
	s_cbranch_scc1 .LBB30_8
; %bb.6:
	s_mul_i32 s29, s1, s7
	s_mul_hi_u32 s30, s0, s7
	s_add_i32 s31, s30, s29
	s_mul_i32 s30, s0, s7
	s_lshl_b64 s[30:31], s[30:31], 2
	s_lshl_b64 s[34:35], s[14:15], 2
	s_add_u32 s29, s30, s34
	s_addc_u32 s30, s31, s35
	s_lshl_b64 s[24:25], s[24:25], 2
	s_add_u32 s24, s12, s24
	s_addc_u32 s25, s13, s25
	s_add_u32 s24, s24, s29
	v_lshlrev_b32_e32 v1, 2, v0
	s_addc_u32 s25, s25, s30
	v_mov_b32_e32 v3, s25
	v_add_co_u32_e32 v2, vcc, s24, v1
	v_addc_co_u32_e32 v3, vcc, 0, v3, vcc
	s_lshl_b32 s24, s28, 3
.LBB30_7:                               ; =>This Inner Loop Header: Depth=1
	global_load_dwordx2 v[4:5], v[2:3], off
	s_mul_i32 s25, s23, 24
	s_mul_i32 s28, s27, 24
	s_add_i32 s23, s23, 2
	s_add_i32 s27, s27, 2
	v_add_co_u32_e32 v2, vcc, 8, v2
	s_add_i32 s24, s24, -8
	v_addc_co_u32_e32 v3, vcc, 0, v3, vcc
	v_add_lshl_u32 v1, s28, v0, 2
	s_cmp_lg_u32 s24, 0
	v_add_lshl_u32 v6, s25, v0, 2
	s_waitcnt vmcnt(0)
	ds_write_b32 v1, v4
	ds_write_b32 v6, v5
	s_cbranch_scc1 .LBB30_7
.LBB30_8:
	s_and_b32 s27, s26, -2
	s_cmp_lg_u32 s26, s27
	s_cselect_b64 s[24:25], -1, 0
.LBB30_9:
	s_and_b64 vcc, exec, s[24:25]
	s_cbranch_vccz .LBB30_12
; %bb.10:
	s_ashr_i32 s23, s22, 31
	s_mul_i32 s1, s1, s7
	s_mul_hi_u32 s24, s0, s7
	s_add_i32 s1, s24, s1
	s_mul_hi_u32 s24, s22, s27
	s_mul_i32 s25, s23, s27
	s_mul_i32 s0, s0, s7
	s_add_i32 s25, s24, s25
	s_mul_i32 s24, s22, s27
	s_lshl_b64 s[0:1], s[0:1], 2
	s_lshl_b64 s[24:25], s[24:25], 2
	s_add_u32 s24, s0, s24
	s_addc_u32 s25, s1, s25
	s_lshl_b64 s[0:1], s[14:15], 2
	s_add_u32 s0, s24, s0
	s_addc_u32 s1, s25, s1
	s_add_u32 s0, s12, s0
	v_lshlrev_b32_e32 v1, 2, v0
	s_addc_u32 s1, s13, s1
	v_mov_b32_e32 v3, s1
	v_add_co_u32_e32 v2, vcc, s0, v1
	s_lshl_b64 s[0:1], s[22:23], 2
	s_mul_i32 s13, s27, 0x60
	v_addc_co_u32_e32 v3, vcc, 0, v3, vcc
	s_sub_i32 s12, s26, s27
	v_lshl_add_u32 v1, v0, 2, s13
	v_mov_b32_e32 v4, s1
.LBB30_11:                              ; =>This Inner Loop Header: Depth=1
	global_load_dword v5, v[2:3], off
	v_add_co_u32_e32 v2, vcc, s0, v2
	s_add_i32 s12, s12, -1
	v_addc_co_u32_e32 v3, vcc, v3, v4, vcc
	s_cmp_eq_u32 s12, 0
	s_waitcnt vmcnt(0)
	ds_write_b32 v1, v5
	v_add_u32_e32 v1, 0x60, v1
	s_cbranch_scc0 .LBB30_11
.LBB30_12:
	s_cmpk_eq_i32 s10, 0x84
	s_cbranch_scc0 .LBB30_14
; %bb.13:
	v_mul_u32_u24_e32 v1, 25, v0
	v_lshlrev_b32_e32 v1, 2, v1
	v_mov_b32_e32 v2, 1.0
	ds_write_b32 v1, v2
.LBB30_14:
	s_or_b64 exec, exec, s[20:21]
	s_load_dword s1, s[4:5], 0x60
	s_load_dword s0, s[4:5], 0x48
	s_load_dwordx2 s[12:13], s[4:5], 0x50
	s_mul_i32 s4, s6, 0xffffffe8
	s_add_i32 s4, s4, s11
	s_waitcnt lgkmcnt(0)
	s_add_i32 s1, s1, -1
	s_cmp_ge_u32 s6, s1
	s_cselect_b32 s1, s4, 24
	s_cmp_gt_i32 s18, 0
	v_cmp_gt_i32_e32 vcc, s1, v0
	s_cselect_b64 s[4:5], -1, 0
	s_mul_hi_i32 s22, s6, 0x60
	s_mulk_i32 s6, 0x60
	s_mov_b32 s21, 0
	s_and_b64 s[4:5], vcc, s[4:5]
	s_and_saveexec_b64 s[10:11], s[4:5]
	s_cbranch_execz .LBB30_26
; %bb.15:
	s_cmp_lt_u32 s18, 2
	s_cselect_b64 s[24:25], -1, 0
	s_cmp_lg_u32 s0, 1
	s_cselect_b64 s[28:29], -1, 0
	s_or_b64 s[24:25], s[24:25], s[28:29]
	s_mov_b32 s1, 1
	s_mov_b64 s[14:15], -1
	s_and_b64 vcc, exec, s[24:25]
	s_cbranch_vccnz .LBB30_23
; %bb.16:
	s_add_i32 s20, s18, -2
	s_lshr_b32 s21, s20, 1
	s_add_i32 s21, s21, 1
	s_mov_b32 s23, 0
	s_mov_b32 s14, s19
	;; [unrolled: 1-line block ×3, first 2 shown]
	s_cmp_lt_u32 s20, 14
	s_mov_b32 s20, s23
	s_cbranch_scc1 .LBB30_19
; %bb.17:
	s_mul_i32 s1, s13, s7
	s_mul_hi_u32 s20, s12, s7
	s_add_i32 s29, s20, s1
	s_mul_i32 s28, s12, s7
	s_and_b32 s24, s21, -8
	s_lshl_b64 s[28:29], s[28:29], 2
	s_add_u32 s1, s28, s6
	s_addc_u32 s20, s29, s22
	s_lshl_b64 s[28:29], s[16:17], 2
	s_add_u32 s1, s1, s28
	s_addc_u32 s20, s20, s29
	s_add_u32 s1, s2, s1
	v_lshlrev_b32_e32 v1, 2, v0
	s_addc_u32 s20, s3, s20
	v_mov_b32_e32 v2, s20
	v_add_co_u32_e32 v1, vcc, s1, v1
	v_addc_co_u32_e32 v3, vcc, 0, v2, vcc
	v_add_co_u32_e32 v2, vcc, 56, v1
	v_addc_co_u32_e32 v3, vcc, 0, v3, vcc
	s_mov_b32 s1, 1
	s_mov_b32 s20, 0
.LBB30_18:                              ; =>This Inner Loop Header: Depth=1
	global_load_dwordx4 v[4:7], v[2:3], off offset:-56
	global_load_dwordx4 v[8:11], v[2:3], off offset:-40
	;; [unrolled: 1-line block ×4, first 2 shown]
	s_mul_i32 s25, s1, 24
	s_mul_i32 s27, s23, 24
	s_add_i32 s20, s20, 16
	s_add_i32 s1, s1, 16
	;; [unrolled: 1-line block ×3, first 2 shown]
	s_add_i32 s24, s24, -8
	v_add_co_u32_e32 v2, vcc, 64, v2
	v_add_lshl_u32 v1, s27, v0, 2
	v_add_lshl_u32 v20, s25, v0, 2
	s_add_i32 s28, s25, 48
	s_add_i32 s29, s27, 48
	;; [unrolled: 1-line block ×12, first 2 shown]
	s_addk_i32 s25, 0x150
	s_addk_i32 s27, 0x150
	v_addc_co_u32_e32 v3, vcc, 0, v3, vcc
	s_cmp_lg_u32 s24, 0
	v_add_lshl_u32 v21, s29, v0, 2
	v_add_lshl_u32 v22, s28, v0, 2
	;; [unrolled: 1-line block ×14, first 2 shown]
	s_waitcnt vmcnt(3)
	v_pk_mul_f32 v[4:5], v[4:5], s[14:15]
	v_pk_mul_f32 v[6:7], v[6:7], s[14:15]
	s_waitcnt vmcnt(2)
	v_pk_mul_f32 v[8:9], v[8:9], s[14:15]
	v_pk_mul_f32 v[10:11], v[10:11], s[14:15]
	;; [unrolled: 3-line block ×4, first 2 shown]
	ds_write_b32 v1, v4 offset:2304
	ds_write_b32 v20, v5 offset:2304
	;; [unrolled: 1-line block ×16, first 2 shown]
	s_cbranch_scc1 .LBB30_18
.LBB30_19:
	s_and_b32 s24, s21, 7
	s_cmp_eq_u32 s24, 0
	s_mov_b32 s21, 0
	s_cbranch_scc1 .LBB30_22
; %bb.20:
	s_mul_i32 s25, s13, s7
	s_mul_hi_u32 s27, s12, s7
	s_add_i32 s29, s27, s25
	s_mul_i32 s28, s12, s7
	s_lshl_b64 s[28:29], s[28:29], 2
	s_add_u32 s25, s28, s6
	s_addc_u32 s27, s29, s22
	s_lshl_b64 s[28:29], s[16:17], 2
	s_add_u32 s25, s25, s28
	s_addc_u32 s27, s27, s29
	;; [unrolled: 3-line block ×3, first 2 shown]
	s_add_u32 s20, s20, s25
	v_lshlrev_b32_e32 v1, 2, v0
	s_addc_u32 s21, s21, s27
	v_mov_b32_e32 v3, s21
	v_add_co_u32_e32 v2, vcc, s20, v1
	v_addc_co_u32_e32 v3, vcc, 0, v3, vcc
.LBB30_21:                              ; =>This Inner Loop Header: Depth=1
	global_load_dwordx2 v[4:5], v[2:3], off
	s_mul_i32 s20, s1, 24
	s_mul_i32 s21, s23, 24
	s_add_i32 s1, s1, 2
	s_add_i32 s23, s23, 2
	v_add_co_u32_e32 v2, vcc, 8, v2
	s_add_i32 s24, s24, -1
	v_addc_co_u32_e32 v3, vcc, 0, v3, vcc
	v_add_lshl_u32 v1, s21, v0, 2
	s_cmp_lg_u32 s24, 0
	v_add_lshl_u32 v6, s20, v0, 2
	s_waitcnt vmcnt(0)
	v_pk_mul_f32 v[4:5], v[4:5], s[14:15]
	ds_write_b32 v1, v4 offset:2304
	ds_write_b32 v6, v5 offset:2304
	s_cbranch_scc1 .LBB30_21
.LBB30_22:
	s_and_b32 s21, s18, 0x7ffffffe
	s_cmp_lg_u32 s21, s18
	s_cselect_b64 s[14:15], -1, 0
.LBB30_23:
	s_and_b64 vcc, exec, s[14:15]
	s_cbranch_vccz .LBB30_26
; %bb.24:
	s_mul_i32 s14, s21, 0x60
	v_lshl_add_u32 v1, v0, 2, s14
	s_mul_i32 s14, s13, s7
	s_mul_hi_u32 s15, s12, s7
	s_add_i32 s15, s15, s14
	s_mul_i32 s14, s12, s7
	s_mul_hi_i32 s25, s0, s21
	s_mul_i32 s24, s0, s21
	s_ashr_i32 s1, s0, 31
	s_sub_i32 s20, s18, s21
	s_lshl_b64 s[14:15], s[14:15], 2
	s_lshl_b64 s[24:25], s[24:25], 2
	s_add_u32 s14, s14, s24
	s_addc_u32 s15, s15, s25
	s_add_u32 s21, s14, s6
	s_addc_u32 s23, s15, s22
	s_lshl_b64 s[14:15], s[16:17], 2
	s_add_u32 s14, s21, s14
	s_addc_u32 s15, s23, s15
	s_add_u32 s14, s2, s14
	v_lshlrev_b32_e32 v2, 2, v0
	s_addc_u32 s15, s3, s15
	v_mov_b32_e32 v3, s15
	v_add_co_u32_e32 v2, vcc, s14, v2
	s_lshl_b64 s[14:15], s[0:1], 2
	v_add_u32_e32 v1, 0x900, v1
	v_addc_co_u32_e32 v3, vcc, 0, v3, vcc
	v_mov_b32_e32 v4, s15
.LBB30_25:                              ; =>This Inner Loop Header: Depth=1
	global_load_dword v5, v[2:3], off
	s_add_i32 s20, s20, -1
	v_add_co_u32_e32 v2, vcc, s14, v2
	v_addc_co_u32_e32 v3, vcc, v3, v4, vcc
	s_cmp_lg_u32 s20, 0
	s_waitcnt vmcnt(0)
	v_mul_f32_e32 v5, s19, v5
	ds_write_b32 v1, v5
	v_add_u32_e32 v1, 0x60, v1
	s_cbranch_scc1 .LBB30_25
.LBB30_26:
	s_or_b64 exec, exec, s[10:11]
	s_cmpk_eq_i32 s9, 0x6f
	s_cselect_b64 s[14:15], -1, 0
	s_cmpk_eq_i32 s8, 0x79
	s_cselect_b64 s[20:21], -1, 0
	s_cmpk_lg_i32 s8, 0x79
	s_cselect_b64 s[10:11], -1, 0
	s_and_b64 s[20:21], s[20:21], s[14:15]
	s_andn2_b64 vcc, exec, s[20:21]
	s_mov_b64 s[20:21], -1
	s_waitcnt lgkmcnt(0)
	; wave barrier
	s_waitcnt lgkmcnt(0)
	s_cbranch_vccz .LBB30_101
; %bb.27:
	s_cmpk_lg_i32 s8, 0x7a
	s_cselect_b64 s[8:9], -1, 0
	s_xor_b64 s[14:15], s[14:15], -1
	s_add_i32 s1, s26, -1
	s_or_b64 s[14:15], s[8:9], s[14:15]
	s_cmp_gt_i32 s18, 3
	s_cselect_b64 s[8:9], -1, 0
	s_and_b64 vcc, exec, s[14:15]
	s_cbranch_vccz .LBB30_80
; %bb.28:
	s_andn2_b64 vcc, exec, s[10:11]
	s_mov_b64 s[10:11], -1
	s_cbranch_vccnz .LBB30_53
; %bb.29:
	s_andn2_b64 vcc, exec, s[8:9]
	s_mov_b32 s19, 0
	s_cbranch_vccnz .LBB30_41
; %bb.30:
	v_mov_b32_e32 v1, 0x900
	v_lshl_or_b32 v1, v0, 2, v1
	s_mov_b32 s14, 0
	s_mov_b32 s15, 0
	s_mov_b64 s[10:11], 0
.LBB30_31:                              ; =>This Loop Header: Depth=1
                                        ;     Child Loop BB30_34 Depth 2
                                        ;     Child Loop BB30_38 Depth 2
	s_mul_i32 s20, s15, 24
	v_add_lshl_u32 v6, s20, v0, 2
	s_add_i32 s19, s20, 24
	s_add_i32 s20, s20, 48
	v_add_lshl_u32 v8, s20, v0, 2
	v_add_u32_e32 v2, 0x800, v8
	v_add_lshl_u32 v7, s19, v0, 2
	ds_read_b32 v4, v6 offset:2304
	ds_read_b32 v5, v7 offset:2304
	ds_read2_b32 v[2:3], v2 offset0:64 offset1:88
	s_cmp_eq_u32 s15, 0
	s_cbranch_scc1 .LBB30_39
; %bb.32:                               ;   in Loop: Header=BB30_31 Depth=1
	s_cmp_lt_u32 s15, 8
	s_cbranch_scc1 .LBB30_36
; %bb.33:                               ;   in Loop: Header=BB30_31 Depth=1
	s_and_b32 s20, s15, -8
	s_mov_b32 s21, 0
	v_mov_b32_e32 v9, v1
	s_mov_b32 s23, s14
.LBB30_34:                              ;   Parent Loop BB30_31 Depth=1
                                        ; =>  This Inner Loop Header: Depth=2
	ds_read2_b32 v[42:43], v9 offset1:24
	v_mov_b32_e32 v38, s23
	ds_read2_b32 v[44:45], v9 offset0:48 offset1:72
	ds_read2_b32 v[46:47], v9 offset0:96 offset1:120
	;; [unrolled: 1-line block ×3, first 2 shown]
	ds_read_b128 v[10:13], v38
	ds_read_b128 v[14:17], v38 offset:96
	ds_read_b128 v[18:21], v38 offset:192
	;; [unrolled: 1-line block ×7, first 2 shown]
	s_add_i32 s21, s21, 8
	s_waitcnt lgkmcnt(11)
	v_mov_b32_e32 v50, v43
	s_waitcnt lgkmcnt(7)
	v_pk_fma_f32 v[4:5], v[42:43], v[10:11], v[4:5] op_sel_hi:[0,1,1] neg_lo:[1,0,0] neg_hi:[1,0,0]
	v_pk_fma_f32 v[2:3], v[42:43], v[12:13], v[2:3] op_sel_hi:[0,1,1] neg_lo:[1,0,0] neg_hi:[1,0,0]
	s_waitcnt lgkmcnt(6)
	v_pk_fma_f32 v[4:5], v[50:51], v[14:15], v[4:5] op_sel_hi:[0,1,1] neg_lo:[1,0,0] neg_hi:[1,0,0]
	v_pk_fma_f32 v[2:3], v[50:51], v[16:17], v[2:3] op_sel_hi:[0,1,1] neg_lo:[1,0,0] neg_hi:[1,0,0]
	v_mov_b32_e32 v52, v45
	s_waitcnt lgkmcnt(5)
	v_pk_fma_f32 v[4:5], v[44:45], v[18:19], v[4:5] op_sel_hi:[0,1,1] neg_lo:[1,0,0] neg_hi:[1,0,0]
	v_pk_fma_f32 v[2:3], v[44:45], v[20:21], v[2:3] op_sel_hi:[0,1,1] neg_lo:[1,0,0] neg_hi:[1,0,0]
	s_waitcnt lgkmcnt(4)
	v_pk_fma_f32 v[4:5], v[52:53], v[22:23], v[4:5] op_sel_hi:[0,1,1] neg_lo:[1,0,0] neg_hi:[1,0,0]
	v_pk_fma_f32 v[2:3], v[52:53], v[24:25], v[2:3] op_sel_hi:[0,1,1] neg_lo:[1,0,0] neg_hi:[1,0,0]
	;; [unrolled: 7-line block ×3, first 2 shown]
	s_addk_i32 s23, 0x300
	v_mov_b32_e32 v56, v49
	s_waitcnt lgkmcnt(1)
	v_pk_fma_f32 v[4:5], v[48:49], v[34:35], v[4:5] op_sel_hi:[0,1,1] neg_lo:[1,0,0] neg_hi:[1,0,0]
	v_pk_fma_f32 v[2:3], v[48:49], v[36:37], v[2:3] op_sel_hi:[0,1,1] neg_lo:[1,0,0] neg_hi:[1,0,0]
	v_add_u32_e32 v9, 0x300, v9
	s_cmp_eq_u32 s20, s21
	s_waitcnt lgkmcnt(0)
	v_pk_fma_f32 v[4:5], v[56:57], v[38:39], v[4:5] op_sel_hi:[0,1,1] neg_lo:[1,0,0] neg_hi:[1,0,0]
	v_pk_fma_f32 v[2:3], v[56:57], v[40:41], v[2:3] op_sel_hi:[0,1,1] neg_lo:[1,0,0] neg_hi:[1,0,0]
	s_cbranch_scc0 .LBB30_34
; %bb.35:                               ;   in Loop: Header=BB30_31 Depth=1
	s_bitcmp0_b32 s15, 2
	s_cbranch_scc0 .LBB30_37
	s_branch .LBB30_39
.LBB30_36:                              ;   in Loop: Header=BB30_31 Depth=1
	s_mov_b32 s20, 0
	s_bitcmp0_b32 s15, 2
	s_cbranch_scc1 .LBB30_39
.LBB30_37:                              ;   in Loop: Header=BB30_31 Depth=1
	v_cndmask_b32_e64 v9, 0, 1, s[10:11]
	v_readfirstlane_b32 s21, v9
	s_lshl_b32 s21, s21, 2
	s_mulk_i32 s20, 0x60
.LBB30_38:                              ;   Parent Loop BB30_31 Depth=1
                                        ; =>  This Inner Loop Header: Depth=2
	v_add_u32_e32 v9, s20, v1
	s_add_i32 s23, s14, s20
	ds_read_b32 v14, v9
	v_mov_b32_e32 v9, s23
	ds_read_b128 v[10:13], v9
	s_addk_i32 s20, 0x60
	s_add_i32 s21, s21, -1
	s_cmp_lg_u32 s21, 0
	s_waitcnt lgkmcnt(0)
	v_pk_fma_f32 v[4:5], v[14:15], v[10:11], v[4:5] op_sel_hi:[0,1,1] neg_lo:[1,0,0] neg_hi:[1,0,0]
	v_pk_fma_f32 v[2:3], v[14:15], v[12:13], v[2:3] op_sel_hi:[0,1,1] neg_lo:[1,0,0] neg_hi:[1,0,0]
	s_cbranch_scc1 .LBB30_38
.LBB30_39:                              ;   in Loop: Header=BB30_31 Depth=1
	s_mul_i32 s20, s15, 0x64
	v_add_u32_e32 v9, 0x900, v6
	v_add_u32_e32 v6, 0x900, v8
	v_mov_b32_e32 v8, s20
	ds_read_b128 v[10:13], v8
	ds_read2_b32 v[14:15], v8 offset0:25 offset1:26
	s_add_i32 s19, s19, s15
	s_lshl_b32 s19, s19, 2
	v_add_u32_e32 v7, 0x900, v7
	s_waitcnt lgkmcnt(1)
	v_div_scale_f32 v16, s[20:21], v10, v10, v4
	v_rcp_f32_e32 v17, v16
	v_div_scale_f32 v18, vcc, v4, v10, v4
	s_add_i32 s14, s14, 16
	v_fma_f32 v19, -v16, v17, 1.0
	v_fmac_f32_e32 v17, v19, v17
	v_mul_f32_e32 v19, v18, v17
	v_fma_f32 v20, -v16, v19, v18
	v_fmac_f32_e32 v19, v20, v17
	v_fma_f32 v16, -v16, v19, v18
	v_div_fmas_f32 v16, v16, v17, v19
	v_div_fixup_f32 v10, v16, v10, v4
	v_fma_f32 v4, -v10, v11, v5
	s_waitcnt lgkmcnt(0)
	v_div_scale_f32 v5, s[20:21], v14, v14, v4
	v_rcp_f32_e32 v11, v5
	v_fma_f32 v2, -v10, v12, v2
	v_div_scale_f32 v12, vcc, v4, v14, v4
	v_fma_f32 v16, -v5, v11, 1.0
	v_fmac_f32_e32 v11, v16, v11
	v_mul_f32_e32 v16, v12, v11
	v_fma_f32 v17, -v5, v16, v12
	v_fmac_f32_e32 v16, v17, v11
	v_fma_f32 v5, -v5, v16, v12
	v_div_fmas_f32 v5, v5, v11, v16
	v_div_fixup_f32 v11, v5, v14, v4
	ds_read_b64 v[4:5], v8 offset:200
	v_fma_f32 v2, -v11, v15, v2
	v_mov_b32_e32 v15, s19
	ds_read_b32 v15, v15 offset:12
	ds_read_b32 v8, v8 offset:300
	s_waitcnt lgkmcnt(2)
	v_div_scale_f32 v12, s[20:21], v4, v4, v2
	v_rcp_f32_e32 v14, v12
	v_fma_f32 v3, -v10, v13, v3
	s_waitcnt lgkmcnt(1)
	v_fma_f32 v3, -v11, v15, v3
	ds_write_b32 v9, v10
	ds_write_b32 v7, v11
	v_fma_f32 v16, -v12, v14, 1.0
	v_fmac_f32_e32 v14, v16, v14
	v_div_scale_f32 v16, vcc, v2, v4, v2
	v_mul_f32_e32 v17, v16, v14
	v_fma_f32 v18, -v12, v17, v16
	v_fmac_f32_e32 v17, v18, v14
	v_fma_f32 v12, -v12, v17, v16
	v_div_fmas_f32 v12, v12, v14, v17
	v_div_fixup_f32 v2, v12, v4, v2
	v_fma_f32 v3, -v2, v5, v3
	s_waitcnt lgkmcnt(2)
	v_div_scale_f32 v4, s[20:21], v8, v8, v3
	v_rcp_f32_e32 v5, v4
	s_add_i32 s19, s15, 4
	s_add_i32 s15, s15, 7
	s_not_b64 s[10:11], s[10:11]
	v_fma_f32 v7, -v4, v5, 1.0
	v_fmac_f32_e32 v5, v7, v5
	v_div_scale_f32 v7, vcc, v3, v8, v3
	v_mul_f32_e32 v9, v7, v5
	v_fma_f32 v10, -v4, v9, v7
	v_fmac_f32_e32 v9, v10, v5
	v_fma_f32 v4, -v4, v9, v7
	v_div_fmas_f32 v4, v4, v5, v9
	v_div_fixup_f32 v3, v4, v8, v3
	s_cmp_ge_i32 s15, s26
	ds_write2_b32 v6, v2, v3 offset1:24
	s_cbranch_scc1 .LBB30_41
; %bb.40:                               ;   in Loop: Header=BB30_31 Depth=1
	s_mov_b32 s15, s19
	s_branch .LBB30_31
.LBB30_41:
	s_cmp_ge_i32 s19, s26
	s_cbranch_scc1 .LBB30_52
; %bb.42:
	v_mov_b32_e32 v1, 0x900
	s_add_i32 s10, s19, -1
	s_lshl_b32 s11, s19, 2
	v_lshl_or_b32 v1, v0, 2, v1
	s_mov_b32 s14, 0
	s_mov_b32 s15, s19
	s_branch .LBB30_44
.LBB30_43:                              ;   in Loop: Header=BB30_44 Depth=1
	s_mul_i32 s20, s19, 0x64
	v_mov_b32_e32 v4, s20
	ds_read_b32 v4, v4
	v_add_u32_e32 v3, 0x900, v3
	s_add_i32 s19, s19, 1
	s_add_i32 s14, s14, 1
	;; [unrolled: 1-line block ×3, first 2 shown]
	s_waitcnt lgkmcnt(0)
	v_div_scale_f32 v5, s[20:21], v4, v4, v2
	v_rcp_f32_e32 v6, v5
	v_div_scale_f32 v7, vcc, v2, v4, v2
	s_cmp_ge_i32 s19, s26
	v_fma_f32 v8, -v5, v6, 1.0
	v_fmac_f32_e32 v6, v8, v6
	v_mul_f32_e32 v8, v7, v6
	v_fma_f32 v9, -v5, v8, v7
	v_fmac_f32_e32 v8, v9, v6
	v_fma_f32 v5, -v5, v8, v7
	v_div_fmas_f32 v5, v5, v6, v8
	v_div_fixup_f32 v2, v5, v4, v2
	ds_write_b32 v3, v2
	v_add_u16_e64 v2, s15, 1
	v_readfirstlane_b32 s15, v2
	s_cbranch_scc1 .LBB30_52
.LBB30_44:                              ; =>This Loop Header: Depth=1
                                        ;     Child Loop BB30_47 Depth 2
                                        ;     Child Loop BB30_51 Depth 2
	s_mul_i32 s20, s19, 24
	v_add_lshl_u32 v3, s20, v0, 2
	ds_read_b32 v2, v3 offset:2304
	s_cmp_eq_u32 s19, 0
	s_cbranch_scc1 .LBB30_43
; %bb.45:                               ;   in Loop: Header=BB30_44 Depth=1
	s_add_i32 s20, s10, s14
	s_cmp_lt_u32 s20, 7
	s_cbranch_scc1 .LBB30_49
; %bb.46:                               ;   in Loop: Header=BB30_44 Depth=1
	s_and_b32 s20, s19, -8
	s_mov_b32 s21, 0
	v_mov_b32_e32 v4, v1
	s_mov_b32 s23, s11
.LBB30_47:                              ;   Parent Loop BB30_44 Depth=1
                                        ; =>  This Inner Loop Header: Depth=2
	ds_read2_b32 v[6:7], v4 offset1:24
	v_mov_b32_e32 v5, s23
	ds_read2_b32 v[8:9], v4 offset0:48 offset1:72
	ds_read2_b32 v[10:11], v4 offset0:96 offset1:120
	;; [unrolled: 1-line block ×3, first 2 shown]
	ds_read2_b32 v[14:15], v5 offset1:24
	ds_read2_b32 v[16:17], v5 offset0:48 offset1:72
	ds_read2_b32 v[18:19], v5 offset0:96 offset1:120
	;; [unrolled: 1-line block ×3, first 2 shown]
	s_add_i32 s21, s21, 8
	s_waitcnt lgkmcnt(3)
	v_fma_f32 v2, -v6, v14, v2
	v_fma_f32 v2, -v7, v15, v2
	s_waitcnt lgkmcnt(2)
	v_fma_f32 v2, -v8, v16, v2
	v_fma_f32 v2, -v9, v17, v2
	;; [unrolled: 3-line block ×3, first 2 shown]
	s_addk_i32 s23, 0x300
	s_waitcnt lgkmcnt(0)
	v_fma_f32 v2, -v12, v20, v2
	v_add_u32_e32 v4, 0x300, v4
	s_cmp_eq_u32 s20, s21
	v_fma_f32 v2, -v13, v21, v2
	s_cbranch_scc0 .LBB30_47
; %bb.48:                               ;   in Loop: Header=BB30_44 Depth=1
	s_and_b32 s21, s19, 7
	s_cmp_eq_u32 s21, 0
	s_cbranch_scc0 .LBB30_50
	s_branch .LBB30_43
.LBB30_49:                              ;   in Loop: Header=BB30_44 Depth=1
	s_mov_b32 s20, 0
	s_and_b32 s21, s19, 7
	s_cmp_eq_u32 s21, 0
	s_cbranch_scc1 .LBB30_43
.LBB30_50:                              ;   in Loop: Header=BB30_44 Depth=1
	s_and_b32 s21, s15, 7
	s_mulk_i32 s20, 0x60
.LBB30_51:                              ;   Parent Loop BB30_44 Depth=1
                                        ; =>  This Inner Loop Header: Depth=2
	s_add_i32 s23, s11, s20
	v_add_u32_e32 v4, s20, v1
	v_mov_b32_e32 v5, s23
	ds_read_b32 v4, v4
	ds_read_b32 v5, v5
	s_addk_i32 s20, 0x60
	s_add_i32 s21, s21, -1
	s_cmp_lg_u32 s21, 0
	s_waitcnt lgkmcnt(0)
	v_fma_f32 v2, -v4, v5, v2
	s_cbranch_scc1 .LBB30_51
	s_branch .LBB30_43
.LBB30_52:
	s_mov_b64 s[10:11], 0
.LBB30_53:
	s_and_b64 vcc, exec, s[10:11]
	s_cbranch_vccz .LBB30_79
; %bb.54:
	s_andn2_b64 vcc, exec, s[8:9]
	s_mov_b32 s21, s1
	s_cbranch_vccnz .LBB30_66
; %bb.55:
	s_mul_i32 s10, s26, 0x64
	s_add_i32 s14, s10, 0xffffff90
	s_mul_i32 s10, s26, 0x60
	v_lshlrev_b32_e32 v2, 2, v0
	v_add_u32_e32 v1, s10, v2
	s_lshl_b32 s10, s26, 2
	v_add_u32_e32 v1, 0x8a0, v1
	v_add_u32_e32 v6, 0x660, v2
	s_add_i32 s15, s10, 0xfffffd50
	s_mov_b32 s19, 0
	s_mov_b64 s[10:11], 0
	s_mov_b32 s20, s1
.LBB30_56:                              ; =>This Loop Header: Depth=1
                                        ;     Child Loop BB30_59 Depth 2
                                        ;     Child Loop BB30_63 Depth 2
	s_mul_i32 s24, s20, 24
	s_sub_i32 s21, s24, 48
	v_add_lshl_u32 v9, s21, v0, 2
	v_add_lshl_u32 v7, s24, v0, 2
	s_sub_i32 s23, s24, 24
	v_add_u32_e32 v2, 0x800, v9
	v_add_lshl_u32 v8, s23, v0, 2
	ds_read_b32 v5, v7 offset:2304
	ds_read_b32 v4, v8 offset:2304
	ds_read2_b32 v[2:3], v2 offset0:40 offset1:64
	s_cmp_le_i32 s1, s20
	s_cbranch_scc1 .LBB30_64
; %bb.57:                               ;   in Loop: Header=BB30_56 Depth=1
	s_lshl_b32 s27, s19, 2
	s_bitcmp0_b32 s27, 2
	s_cbranch_scc1 .LBB30_61
; %bb.58:                               ;   in Loop: Header=BB30_56 Depth=1
	v_cndmask_b32_e64 v10, 0, 1, s[10:11]
	v_readfirstlane_b32 s25, v10
	s_lshl_b32 s28, s25, 2
	v_mov_b32_e32 v10, v1
	s_mov_b32 s29, s14
	s_mov_b32 s25, s1
.LBB30_59:                              ;   Parent Loop BB30_56 Depth=1
                                        ; =>  This Inner Loop Header: Depth=2
	v_mov_b32_e32 v11, s29
	ds_read_b32 v12, v10
	ds_read2_b32 v[14:15], v11 offset0:2 offset1:3
	ds_read2_b32 v[16:17], v11 offset1:1
	s_add_i32 s25, s25, -1
	s_addk_i32 s29, 0xffa0
	s_add_i32 s28, s28, -1
	v_add_u32_e32 v10, 0xffffffa0, v10
	s_cmp_lg_u32 s28, 0
	s_waitcnt lgkmcnt(1)
	v_pk_fma_f32 v[4:5], v[12:13], v[14:15], v[4:5] op_sel_hi:[0,1,1] neg_lo:[1,0,0] neg_hi:[1,0,0]
	s_waitcnt lgkmcnt(0)
	v_pk_fma_f32 v[2:3], v[12:13], v[16:17], v[2:3] op_sel_hi:[0,1,1] neg_lo:[1,0,0] neg_hi:[1,0,0]
	s_cbranch_scc1 .LBB30_59
; %bb.60:                               ;   in Loop: Header=BB30_56 Depth=1
	s_add_i32 s27, s27, -1
	s_cmp_lt_u32 s27, 7
	s_cbranch_scc0 .LBB30_62
	s_branch .LBB30_64
.LBB30_61:                              ;   in Loop: Header=BB30_56 Depth=1
	s_mov_b32 s25, s1
	s_add_i32 s27, s27, -1
	s_cmp_lt_u32 s27, 7
	s_cbranch_scc1 .LBB30_64
.LBB30_62:                              ;   in Loop: Header=BB30_56 Depth=1
	s_mul_i32 s27, s25, 0x60
	v_add_u32_e32 v10, s27, v6
	s_add_i32 s27, s15, s27
.LBB30_63:                              ;   Parent Loop BB30_56 Depth=1
                                        ; =>  This Inner Loop Header: Depth=2
	ds_read2_b32 v[12:13], v10 offset0:144 offset1:168
	ds_read2_b32 v[14:15], v10 offset0:96 offset1:120
	;; [unrolled: 1-line block ×3, first 2 shown]
	ds_read2_b32 v[18:19], v10 offset1:24
	v_mov_b32_e32 v11, s27
	ds_read2_b32 v[20:21], v11 offset0:170 offset1:171
	ds_read2_b32 v[22:23], v11 offset0:168 offset1:169
	;; [unrolled: 1-line block ×15, first 2 shown]
	ds_read2_b32 v[50:51], v11 offset1:1
	s_waitcnt lgkmcnt(14)
	v_mov_b32_e32 v54, v15
	v_mov_b32_e32 v52, v13
	v_pk_fma_f32 v[4:5], v[52:53], v[20:21], v[4:5] op_sel_hi:[0,1,1] neg_lo:[1,0,0] neg_hi:[1,0,0]
	v_pk_fma_f32 v[2:3], v[52:53], v[22:23], v[2:3] op_sel_hi:[0,1,1] neg_lo:[1,0,0] neg_hi:[1,0,0]
	s_waitcnt lgkmcnt(13)
	v_pk_fma_f32 v[4:5], v[12:13], v[24:25], v[4:5] op_sel_hi:[0,1,1] neg_lo:[1,0,0] neg_hi:[1,0,0]
	s_waitcnt lgkmcnt(12)
	;; [unrolled: 2-line block ×4, first 2 shown]
	v_pk_fma_f32 v[2:3], v[54:55], v[30:31], v[2:3] op_sel_hi:[0,1,1] neg_lo:[1,0,0] neg_hi:[1,0,0]
	v_mov_b32_e32 v56, v17
	s_waitcnt lgkmcnt(9)
	v_pk_fma_f32 v[4:5], v[14:15], v[32:33], v[4:5] op_sel_hi:[0,1,1] neg_lo:[1,0,0] neg_hi:[1,0,0]
	s_waitcnt lgkmcnt(8)
	v_pk_fma_f32 v[2:3], v[14:15], v[34:35], v[2:3] op_sel_hi:[0,1,1] neg_lo:[1,0,0] neg_hi:[1,0,0]
	;; [unrolled: 2-line block ×4, first 2 shown]
	v_mov_b32_e32 v58, v19
	s_waitcnt lgkmcnt(5)
	v_pk_fma_f32 v[4:5], v[16:17], v[40:41], v[4:5] op_sel_hi:[0,1,1] neg_lo:[1,0,0] neg_hi:[1,0,0]
	s_waitcnt lgkmcnt(4)
	v_pk_fma_f32 v[2:3], v[16:17], v[42:43], v[2:3] op_sel_hi:[0,1,1] neg_lo:[1,0,0] neg_hi:[1,0,0]
	s_add_i32 s25, s25, -8
	s_addk_i32 s27, 0xfd00
	s_waitcnt lgkmcnt(3)
	v_pk_fma_f32 v[4:5], v[58:59], v[44:45], v[4:5] op_sel_hi:[0,1,1] neg_lo:[1,0,0] neg_hi:[1,0,0]
	s_waitcnt lgkmcnt(2)
	v_pk_fma_f32 v[2:3], v[58:59], v[46:47], v[2:3] op_sel_hi:[0,1,1] neg_lo:[1,0,0] neg_hi:[1,0,0]
	v_add_u32_e32 v10, 0xfffffd00, v10
	s_cmp_le_i32 s25, s20
	s_waitcnt lgkmcnt(1)
	v_pk_fma_f32 v[4:5], v[18:19], v[48:49], v[4:5] op_sel_hi:[0,1,1] neg_lo:[1,0,0] neg_hi:[1,0,0]
	s_waitcnt lgkmcnt(0)
	v_pk_fma_f32 v[2:3], v[18:19], v[50:51], v[2:3] op_sel_hi:[0,1,1] neg_lo:[1,0,0] neg_hi:[1,0,0]
	s_cbranch_scc0 .LBB30_63
.LBB30_64:                              ;   in Loop: Header=BB30_56 Depth=1
	s_add_i32 s25, s20, s24
	s_add_i32 s27, s20, -3
	s_lshl_b32 s25, s25, 2
	s_mul_i32 s28, s20, 0x64
	s_add_i32 s25, s25, -4
	s_add_i32 s24, s24, s27
	s_add_i32 s23, s23, s27
	v_add_u32_e32 v10, 0x900, v7
	v_add_u32_e32 v11, 0x900, v9
	;; [unrolled: 1-line block ×3, first 2 shown]
	v_mov_b32_e32 v9, s25
	s_add_i32 s25, s28, 0xffffff9c
	s_lshl_b32 s24, s24, 2
	s_lshl_b32 s23, s23, 2
	v_mov_b32_e32 v14, s25
	v_mov_b32_e32 v15, s24
	;; [unrolled: 1-line block ×3, first 2 shown]
	ds_read2_b32 v[12:13], v9 offset1:1
	ds_read_b32 v9, v14
	ds_read2_b32 v[14:15], v15 offset1:1
	ds_read2_b32 v[16:17], v16 offset1:1
	s_add_i32 s21, s21, s27
	s_waitcnt lgkmcnt(3)
	v_div_scale_f32 v18, s[24:25], v13, v13, v5
	v_rcp_f32_e32 v19, v18
	s_lshl_b32 s21, s21, 2
	v_add_u32_e32 v8, 0x900, v8
	s_add_i32 s19, s19, 1
	v_fma_f32 v20, -v18, v19, 1.0
	v_fmac_f32_e32 v19, v20, v19
	v_div_scale_f32 v20, vcc, v5, v13, v5
	v_mul_f32_e32 v21, v20, v19
	v_fma_f32 v22, -v18, v21, v20
	v_fmac_f32_e32 v21, v22, v19
	v_fma_f32 v18, -v18, v21, v20
	v_div_fmas_f32 v18, v18, v19, v21
	v_div_fixup_f32 v13, v18, v13, v5
	v_fma_f32 v4, -v13, v12, v4
	s_waitcnt lgkmcnt(2)
	v_div_scale_f32 v5, s[24:25], v9, v9, v4
	v_rcp_f32_e32 v12, v5
	s_waitcnt lgkmcnt(1)
	v_fma_f32 v3, -v13, v15, v3
	v_fma_f32 v2, -v13, v14, v2
	s_add_i32 s14, s14, -16
	v_fma_f32 v18, -v5, v12, 1.0
	v_fmac_f32_e32 v12, v18, v12
	v_div_scale_f32 v18, vcc, v4, v9, v4
	v_mul_f32_e32 v19, v18, v12
	v_fma_f32 v20, -v5, v19, v18
	v_fmac_f32_e32 v19, v20, v12
	v_fma_f32 v5, -v5, v19, v18
	v_div_fmas_f32 v5, v5, v12, v19
	v_div_fixup_f32 v9, v5, v9, v4
	v_mov_b32_e32 v4, s21
	ds_read2_b32 v[4:5], v4 offset1:1
	s_add_i32 s21, s28, 0xfffffed4
	s_waitcnt lgkmcnt(1)
	v_fma_f32 v3, -v9, v17, v3
	v_mov_b32_e32 v12, s21
	ds_read_b32 v12, v12
	s_waitcnt lgkmcnt(1)
	v_div_scale_f32 v15, s[24:25], v5, v5, v3
	v_rcp_f32_e32 v17, v15
	v_fma_f32 v2, -v9, v16, v2
	s_add_i32 s21, s20, -4
	s_not_b64 s[10:11], s[10:11]
	v_fma_f32 v18, -v15, v17, 1.0
	v_fmac_f32_e32 v17, v18, v17
	v_div_scale_f32 v18, vcc, v3, v5, v3
	v_mul_f32_e32 v19, v18, v17
	v_fma_f32 v20, -v15, v19, v18
	v_fmac_f32_e32 v19, v20, v17
	v_fma_f32 v15, -v15, v19, v18
	v_div_fmas_f32 v15, v15, v17, v19
	v_div_fixup_f32 v3, v15, v5, v3
	v_fma_f32 v2, -v3, v4, v2
	s_waitcnt lgkmcnt(0)
	v_div_scale_f32 v4, s[24:25], v12, v12, v2
	v_rcp_f32_e32 v5, v4
	ds_write_b32 v10, v13
	ds_write_b32 v8, v9
	ds_write_b32 v11, v3
	s_add_i32 s15, s15, -16
	s_cmp_lt_i32 s20, 7
	v_fma_f32 v3, -v4, v5, 1.0
	v_fmac_f32_e32 v5, v3, v5
	v_div_scale_f32 v3, vcc, v2, v12, v2
	v_mul_f32_e32 v8, v3, v5
	v_fma_f32 v9, -v4, v8, v3
	v_fmac_f32_e32 v8, v9, v5
	v_fma_f32 v3, -v4, v8, v3
	v_div_fmas_f32 v3, v3, v5, v8
	v_div_fixup_f32 v2, v3, v12, v2
	ds_write_b32 v7, v2
	s_cbranch_scc1 .LBB30_66
; %bb.65:                               ;   in Loop: Header=BB30_56 Depth=1
	s_mov_b32 s20, s21
	s_branch .LBB30_56
.LBB30_66:
	s_cmp_lt_i32 s21, 0
	s_cbranch_scc1 .LBB30_79
; %bb.67:
	s_bitcmp1_b32 s21, 0
	s_cselect_b64 s[10:11], -1, 0
	s_and_b64 vcc, exec, s[10:11]
	s_mov_b32 s10, s21
	s_cbranch_vccnz .LBB30_72
; %bb.68:
	s_mul_i32 s10, s21, 24
	v_add_lshl_u32 v2, s10, v0, 2
	ds_read_b32 v1, v2 offset:2304
	s_cmp_le_i32 s1, s21
	s_cbranch_scc1 .LBB30_71
; %bb.69:
	s_mul_i32 s11, s26, 0x60
	s_lshl_b32 s10, s21, 2
	s_add_i32 s10, s11, s10
	v_lshl_add_u32 v3, v0, 2, s11
	s_addk_i32 s10, 0xffa0
	v_add_u32_e32 v3, 0x8a0, v3
	s_mov_b32 s11, s1
.LBB30_70:                              ; =>This Inner Loop Header: Depth=1
	v_mov_b32_e32 v5, s10
	ds_read_b32 v4, v3
	ds_read_b32 v5, v5
	s_add_i32 s11, s11, -1
	s_addk_i32 s10, 0xffa0
	v_add_u32_e32 v3, 0xffffffa0, v3
	s_cmp_gt_i32 s11, s21
	s_waitcnt lgkmcnt(0)
	v_fma_f32 v1, -v4, v5, v1
	s_cbranch_scc1 .LBB30_70
.LBB30_71:
	s_mul_i32 s10, s21, 0x64
	v_mov_b32_e32 v3, s10
	ds_read_b32 v3, v3
	v_add_u32_e32 v2, 0x900, v2
	s_waitcnt lgkmcnt(0)
	v_div_scale_f32 v4, s[10:11], v3, v3, v1
	v_rcp_f32_e32 v5, v4
	v_div_scale_f32 v6, vcc, v1, v3, v1
	s_add_i32 s10, s21, -1
	v_fma_f32 v7, -v4, v5, 1.0
	v_fmac_f32_e32 v5, v7, v5
	v_mul_f32_e32 v7, v6, v5
	v_fma_f32 v8, -v4, v7, v6
	v_fmac_f32_e32 v7, v8, v5
	v_fma_f32 v4, -v4, v7, v6
	v_div_fmas_f32 v4, v4, v5, v7
	v_div_fixup_f32 v1, v4, v3, v1
	ds_write_b32 v2, v1
.LBB30_72:
	s_cmp_eq_u32 s21, 0
	s_cbranch_scc1 .LBB30_79
; %bb.73:
	s_mul_i32 s14, s26, 0x60
	s_lshl_b32 s11, s10, 2
	s_add_i32 s15, s14, s11
	v_lshl_add_u32 v1, v0, 2, s14
	s_add_i32 s11, s15, 0xffffffa0
	v_add_u32_e32 v1, 0x8a0, v1
	s_add_i32 s14, s15, 0xffffff9c
	s_branch .LBB30_75
.LBB30_74:                              ;   in Loop: Header=BB30_75 Depth=1
	s_addk_i32 s15, 0xff9c
	v_mov_b32_e32 v4, s15
	ds_read_b32 v4, v4
	s_add_i32 s15, s10, -2
	s_add_i32 s11, s11, -8
	;; [unrolled: 1-line block ×3, first 2 shown]
	s_cmp_lt_i32 s10, 2
	s_waitcnt lgkmcnt(0)
	v_div_scale_f32 v5, s[20:21], v4, v4, v3
	v_rcp_f32_e32 v6, v5
	v_div_scale_f32 v7, vcc, v3, v4, v3
	s_mov_b32 s10, s15
	v_fma_f32 v8, -v5, v6, 1.0
	v_fmac_f32_e32 v6, v8, v6
	v_mul_f32_e32 v8, v7, v6
	v_fma_f32 v9, -v5, v8, v7
	v_fmac_f32_e32 v8, v9, v6
	v_fma_f32 v5, -v5, v8, v7
	v_div_fmas_f32 v5, v5, v6, v8
	v_div_fixup_f32 v3, v5, v4, v3
	ds_write_b32 v2, v3
	s_cbranch_scc1 .LBB30_79
.LBB30_75:                              ; =>This Loop Header: Depth=1
                                        ;     Child Loop BB30_76 Depth 2
                                        ;     Child Loop BB30_78 Depth 2
	s_mul_i32 s15, s10, 24
	v_add_lshl_u32 v2, s15, v0, 2
	ds_read_b32 v4, v2 offset:2304
	s_cmp_le_i32 s1, s10
	v_mov_b32_e32 v3, v1
	s_mov_b32 s15, s11
	s_mov_b32 s19, s1
	s_cbranch_scc1 .LBB30_77
.LBB30_76:                              ;   Parent Loop BB30_75 Depth=1
                                        ; =>  This Inner Loop Header: Depth=2
	v_mov_b32_e32 v6, s15
	ds_read_b32 v5, v3
	ds_read_b32 v6, v6
	s_add_i32 s19, s19, -1
	s_addk_i32 s15, 0xffa0
	v_add_u32_e32 v3, 0xffffffa0, v3
	s_cmp_le_i32 s19, s10
	s_waitcnt lgkmcnt(0)
	v_fma_f32 v4, -v5, v6, v4
	s_cbranch_scc0 .LBB30_76
.LBB30_77:                              ;   in Loop: Header=BB30_75 Depth=1
	s_mul_i32 s15, s10, 0x64
	v_add_u32_e32 v5, 0x900, v2
	v_mov_b32_e32 v2, s15
	ds_read_b32 v6, v2
	v_add_u32_e32 v2, 0xffffffa0, v5
	ds_read_b32 v3, v2
	s_cmp_le_i32 s26, s10
	s_mov_b32 s19, s14
	s_waitcnt lgkmcnt(1)
	v_div_scale_f32 v7, s[20:21], v6, v6, v4
	v_rcp_f32_e32 v8, v7
	v_div_scale_f32 v9, vcc, v4, v6, v4
	s_mov_b32 s20, s26
	v_fma_f32 v10, -v7, v8, 1.0
	v_fmac_f32_e32 v8, v10, v8
	v_mul_f32_e32 v10, v9, v8
	v_fma_f32 v11, -v7, v10, v9
	v_fmac_f32_e32 v10, v11, v8
	v_fma_f32 v7, -v7, v10, v9
	v_div_fmas_f32 v7, v7, v8, v10
	v_div_fixup_f32 v4, v7, v6, v4
	ds_write_b32 v5, v4
	v_mov_b32_e32 v4, v1
	s_cbranch_scc1 .LBB30_74
.LBB30_78:                              ;   Parent Loop BB30_75 Depth=1
                                        ; =>  This Inner Loop Header: Depth=2
	v_mov_b32_e32 v6, s19
	ds_read_b32 v5, v4
	ds_read_b32 v6, v6
	s_add_i32 s20, s20, -1
	s_addk_i32 s19, 0xffa0
	v_add_u32_e32 v4, 0xffffffa0, v4
	s_cmp_gt_i32 s20, s10
	s_waitcnt lgkmcnt(0)
	v_fma_f32 v3, -v5, v6, v3
	s_cbranch_scc1 .LBB30_78
	s_branch .LBB30_74
.LBB30_79:
	s_mov_b64 s[20:21], 0
.LBB30_80:
	s_andn2_b64 vcc, exec, s[20:21]
	s_cbranch_vccnz .LBB30_100
; %bb.81:
	s_andn2_b64 vcc, exec, s[8:9]
	s_mov_b32 s10, s1
	s_cbranch_vccnz .LBB30_87
; %bb.82:
	s_mul_i32 s9, s26, 0x60
	s_mul_i32 s8, s26, 0x64
	v_lshl_add_u32 v1, v0, 2, s9
	s_addk_i32 s8, 0xfe70
	v_add_u32_e32 v1, 0x780, v1
	s_mov_b32 s9, s1
.LBB30_83:                              ; =>This Loop Header: Depth=1
                                        ;     Child Loop BB30_84 Depth 2
	s_mul_i32 s10, s9, 24
	s_sub_i32 s11, s10, 24
	v_add_lshl_u32 v6, s10, v0, 2
	v_add_lshl_u32 v8, s11, v0, 2
	s_sub_i32 s11, s10, 48
	s_addk_i32 s10, 0xffb8
	v_add_lshl_u32 v9, s11, v0, 2
	v_add_lshl_u32 v10, s10, v0, 2
	ds_read_b32 v5, v6 offset:2304
	ds_read_b32 v4, v8 offset:2304
	;; [unrolled: 1-line block ×4, first 2 shown]
	s_cmp_le_i32 s1, s9
	v_mov_b32_e32 v7, v1
	s_mov_b32 s14, s8
	s_mov_b32 s15, s1
	s_cbranch_scc1 .LBB30_85
.LBB30_84:                              ;   Parent Loop BB30_83 Depth=1
                                        ; =>  This Inner Loop Header: Depth=2
	ds_read2_b32 v[12:13], v7 offset0:48 offset1:72
	v_mov_b32_e32 v11, s14
	ds_read2_b32 v[14:15], v7 offset1:24
	ds_read2_b32 v[16:17], v11 offset0:74 offset1:75
	ds_read2_b32 v[18:19], v11 offset0:72 offset1:73
	;; [unrolled: 1-line block ×7, first 2 shown]
	ds_read2_b32 v[30:31], v11 offset1:1
	s_add_i32 s15, s15, -4
	s_waitcnt lgkmcnt(7)
	v_fma_f32 v5, -v13, v17, v5
	s_waitcnt lgkmcnt(5)
	v_fma_f32 v4, -v13, v21, v4
	;; [unrolled: 2-line block ×4, first 2 shown]
	v_fma_f32 v5, -v12, v16, v5
	v_fma_f32 v4, -v12, v20, v4
	;; [unrolled: 1-line block ×4, first 2 shown]
	s_add_i32 s14, s14, -16
	v_fma_f32 v5, -v15, v19, v5
	v_fma_f32 v4, -v15, v23, v4
	;; [unrolled: 1-line block ×3, first 2 shown]
	s_waitcnt lgkmcnt(0)
	v_fma_f32 v2, -v15, v31, v2
	v_add_u32_e32 v7, 0xfffffe80, v7
	s_cmp_le_i32 s15, s9
	v_fma_f32 v5, -v14, v18, v5
	v_fma_f32 v4, -v14, v22, v4
	;; [unrolled: 1-line block ×4, first 2 shown]
	s_cbranch_scc0 .LBB30_84
.LBB30_85:                              ;   in Loop: Header=BB30_83 Depth=1
	s_add_i32 s11, s11, s9
	s_mul_i32 s19, s9, 0x64
	s_lshl_b32 s11, s11, 2
	s_add_i32 s14, s19, 0xffffff9c
	v_mov_b32_e32 v12, s11
	s_add_i32 s11, s19, 0xffffff38
	v_add_u32_e32 v7, 0x900, v6
	v_add_u32_e32 v6, 0x900, v10
	v_mov_b32_e32 v10, s19
	v_mov_b32_e32 v11, s14
	;; [unrolled: 1-line block ×3, first 2 shown]
	ds_read_b32 v14, v10
	ds_read2_b32 v[10:11], v11 offset1:1
	ds_read_b32 v15, v12
	ds_read2_b32 v[12:13], v13 offset1:1
	s_add_i32 s10, s9, s10
	s_waitcnt lgkmcnt(3)
	v_div_scale_f32 v16, s[14:15], v14, v14, v5
	v_rcp_f32_e32 v17, v16
	s_lshl_b32 s10, s10, 2
	s_add_i32 s10, s10, -4
	v_add_u32_e32 v8, 0x900, v8
	v_fma_f32 v18, -v16, v17, 1.0
	v_fmac_f32_e32 v17, v18, v17
	v_div_scale_f32 v18, vcc, v5, v14, v5
	v_mul_f32_e32 v19, v18, v17
	v_fma_f32 v20, -v16, v19, v18
	v_fmac_f32_e32 v19, v20, v17
	v_fma_f32 v16, -v16, v19, v18
	v_div_fmas_f32 v16, v16, v17, v19
	v_div_fixup_f32 v14, v16, v14, v5
	s_waitcnt lgkmcnt(2)
	v_fma_f32 v4, -v14, v11, v4
	v_div_scale_f32 v5, s[14:15], v10, v10, v4
	v_rcp_f32_e32 v11, v5
	s_waitcnt lgkmcnt(1)
	v_fma_f32 v3, -v14, v15, v3
	v_add_u32_e32 v9, 0x900, v9
	s_addk_i32 s8, 0xfe80
	v_fma_f32 v16, -v5, v11, 1.0
	v_fmac_f32_e32 v11, v16, v11
	v_div_scale_f32 v16, vcc, v4, v10, v4
	v_mul_f32_e32 v17, v16, v11
	v_fma_f32 v18, -v5, v17, v16
	v_fmac_f32_e32 v17, v18, v11
	v_fma_f32 v5, -v5, v17, v16
	v_div_fmas_f32 v5, v5, v11, v17
	v_div_fixup_f32 v16, v5, v10, v4
	s_waitcnt lgkmcnt(0)
	v_fma_f32 v3, -v16, v13, v3
	v_div_scale_f32 v4, s[14:15], v12, v12, v3
	v_rcp_f32_e32 v13, v4
	v_fma_f32 v5, -v4, v13, 1.0
	v_fmac_f32_e32 v13, v5, v13
	v_div_scale_f32 v5, vcc, v3, v12, v3
	v_mul_f32_e32 v15, v5, v13
	v_fma_f32 v10, -v4, v15, v5
	v_fmac_f32_e32 v15, v10, v13
	v_fma_f32 v17, -v4, v15, v5
	v_mov_b32_e32 v4, s10
	s_add_i32 s10, s19, 0xfffffed4
	v_mov_b32_e32 v10, s10
	ds_read2_b32 v[4:5], v4 offset1:1
	ds_read2_b32 v[10:11], v10 offset1:1
	v_div_fmas_f32 v13, v17, v13, v15
	v_div_fixup_f32 v3, v13, v12, v3
	ds_write_b32 v7, v14
	ds_write_b32 v8, v16
	ds_write_b32 v9, v3
	s_waitcnt lgkmcnt(4)
	v_fma_f32 v2, -v14, v5, v2
	v_fma_f32 v2, -v16, v4, v2
	s_waitcnt lgkmcnt(3)
	v_fma_f32 v2, -v3, v11, v2
	v_div_scale_f32 v4, s[10:11], v10, v10, v2
	v_rcp_f32_e32 v5, v4
	s_add_i32 s10, s9, -4
	s_cmp_lt_i32 s9, 7
	v_fma_f32 v3, -v4, v5, 1.0
	v_fmac_f32_e32 v5, v3, v5
	v_div_scale_f32 v3, vcc, v2, v10, v2
	v_mul_f32_e32 v7, v3, v5
	v_fma_f32 v8, -v4, v7, v3
	v_fmac_f32_e32 v7, v8, v5
	v_fma_f32 v3, -v4, v7, v3
	v_div_fmas_f32 v3, v3, v5, v7
	v_div_fixup_f32 v2, v3, v10, v2
	ds_write_b32 v6, v2
	s_cbranch_scc1 .LBB30_87
; %bb.86:                               ;   in Loop: Header=BB30_83 Depth=1
	s_mov_b32 s9, s10
	s_branch .LBB30_83
.LBB30_87:
	s_cmp_lt_i32 s10, 0
	s_cbranch_scc1 .LBB30_100
; %bb.88:
	s_bitcmp1_b32 s10, 0
	s_cselect_b64 s[8:9], -1, 0
	s_and_b64 vcc, exec, s[8:9]
	s_mov_b32 s8, s10
	s_cbranch_vccnz .LBB30_93
; %bb.89:
	s_mul_i32 s8, s10, 24
	v_add_lshl_u32 v2, s8, v0, 2
	ds_read_b32 v1, v2 offset:2304
	s_cmp_le_i32 s1, s10
	s_cbranch_scc1 .LBB30_92
; %bb.90:
	s_mul_i32 s8, s10, 0x60
	s_lshl_b32 s9, s26, 2
	s_add_i32 s8, s8, s9
	s_mul_i32 s9, s26, 0x60
	v_lshl_add_u32 v3, v0, 2, s9
	s_add_i32 s8, s8, -4
	v_add_u32_e32 v3, 0x8a0, v3
	s_mov_b32 s9, s1
.LBB30_91:                              ; =>This Inner Loop Header: Depth=1
	v_mov_b32_e32 v5, s8
	ds_read_b32 v4, v3
	ds_read_b32 v5, v5
	s_add_i32 s9, s9, -1
	s_add_i32 s8, s8, -4
	v_add_u32_e32 v3, 0xffffffa0, v3
	s_cmp_gt_i32 s9, s10
	s_waitcnt lgkmcnt(0)
	v_fma_f32 v1, -v4, v5, v1
	s_cbranch_scc1 .LBB30_91
.LBB30_92:
	s_mul_i32 s8, s10, 0x64
	v_mov_b32_e32 v3, s8
	ds_read_b32 v3, v3
	v_add_u32_e32 v2, 0x900, v2
	s_waitcnt lgkmcnt(0)
	v_div_scale_f32 v4, s[8:9], v3, v3, v1
	v_rcp_f32_e32 v5, v4
	v_div_scale_f32 v6, vcc, v1, v3, v1
	s_add_i32 s8, s10, -1
	v_fma_f32 v7, -v4, v5, 1.0
	v_fmac_f32_e32 v5, v7, v5
	v_mul_f32_e32 v7, v6, v5
	v_fma_f32 v8, -v4, v7, v6
	v_fmac_f32_e32 v7, v8, v5
	v_fma_f32 v4, -v4, v7, v6
	v_div_fmas_f32 v4, v4, v5, v7
	v_div_fixup_f32 v1, v4, v3, v1
	ds_write_b32 v2, v1
.LBB30_93:
	s_cmp_eq_u32 s10, 0
	s_cbranch_scc1 .LBB30_100
; %bb.94:
	s_mul_i32 s9, s8, 0x60
	s_lshl_b32 s10, s26, 2
	s_mul_i32 s11, s26, 0x60
	s_add_i32 s10, s9, s10
	v_lshl_add_u32 v1, v0, 2, s11
	s_add_i32 s9, s10, -4
	v_add_u32_e32 v1, 0x8a0, v1
	s_addk_i32 s10, 0xff9c
	s_branch .LBB30_96
.LBB30_95:                              ;   in Loop: Header=BB30_96 Depth=1
	s_addk_i32 s11, 0xff9c
	v_add_u32_e32 v3, 0x900, v4
	v_mov_b32_e32 v4, s11
	ds_read_b32 v4, v4
	s_add_i32 s11, s8, -2
	s_addk_i32 s9, 0xff40
	s_addk_i32 s10, 0xff40
	s_cmp_lt_i32 s8, 2
	s_waitcnt lgkmcnt(0)
	v_div_scale_f32 v5, s[14:15], v4, v4, v2
	v_rcp_f32_e32 v6, v5
	v_div_scale_f32 v7, vcc, v2, v4, v2
	s_mov_b32 s8, s11
	v_fma_f32 v8, -v5, v6, 1.0
	v_fmac_f32_e32 v6, v8, v6
	v_mul_f32_e32 v8, v7, v6
	v_fma_f32 v9, -v5, v8, v7
	v_fmac_f32_e32 v8, v9, v6
	v_fma_f32 v5, -v5, v8, v7
	v_div_fmas_f32 v5, v5, v6, v8
	v_div_fixup_f32 v2, v5, v4, v2
	ds_write_b32 v3, v2
	s_cbranch_scc1 .LBB30_100
.LBB30_96:                              ; =>This Loop Header: Depth=1
                                        ;     Child Loop BB30_97 Depth 2
                                        ;     Child Loop BB30_99 Depth 2
	s_mul_i32 s14, s8, 24
	v_add_lshl_u32 v2, s14, v0, 2
	ds_read_b32 v3, v2 offset:2304
	s_cmp_le_i32 s1, s8
	v_mov_b32_e32 v4, v1
	s_mov_b32 s11, s9
	s_mov_b32 s15, s1
	s_cbranch_scc1 .LBB30_98
.LBB30_97:                              ;   Parent Loop BB30_96 Depth=1
                                        ; =>  This Inner Loop Header: Depth=2
	v_mov_b32_e32 v6, s11
	ds_read_b32 v5, v4
	ds_read_b32 v6, v6
	s_add_i32 s15, s15, -1
	s_add_i32 s11, s11, -4
	v_add_u32_e32 v4, 0xffffffa0, v4
	s_cmp_le_i32 s15, s8
	s_waitcnt lgkmcnt(0)
	v_fma_f32 v3, -v5, v6, v3
	s_cbranch_scc0 .LBB30_97
.LBB30_98:                              ;   in Loop: Header=BB30_96 Depth=1
	s_mul_i32 s11, s8, 0x64
	v_add_u32_e32 v5, 0x900, v2
	v_mov_b32_e32 v2, s11
	ds_read_b32 v6, v2
	s_sub_i32 s14, s14, 24
	v_add_lshl_u32 v4, s14, v0, 2
	ds_read_b32 v2, v4 offset:2304
	s_cmp_le_i32 s26, s8
	s_waitcnt lgkmcnt(1)
	v_div_scale_f32 v7, s[14:15], v6, v6, v3
	v_rcp_f32_e32 v8, v7
	v_div_scale_f32 v9, vcc, v3, v6, v3
	s_mov_b32 s14, s10
	v_fma_f32 v10, -v7, v8, 1.0
	v_fmac_f32_e32 v8, v10, v8
	v_mul_f32_e32 v10, v9, v8
	v_fma_f32 v11, -v7, v10, v9
	v_fmac_f32_e32 v10, v11, v8
	v_fma_f32 v7, -v7, v10, v9
	v_div_fmas_f32 v7, v7, v8, v10
	v_div_fixup_f32 v3, v7, v6, v3
	ds_write_b32 v5, v3
	v_mov_b32_e32 v3, v1
	s_mov_b32 s15, s26
	s_cbranch_scc1 .LBB30_95
.LBB30_99:                              ;   Parent Loop BB30_96 Depth=1
                                        ; =>  This Inner Loop Header: Depth=2
	v_mov_b32_e32 v6, s14
	ds_read_b32 v5, v3
	ds_read_b32 v6, v6
	s_add_i32 s15, s15, -1
	s_add_i32 s14, s14, -4
	v_add_u32_e32 v3, 0xffffffa0, v3
	s_cmp_gt_i32 s15, s8
	s_waitcnt lgkmcnt(0)
	v_fma_f32 v2, -v5, v6, v2
	s_cbranch_scc1 .LBB30_99
	s_branch .LBB30_95
.LBB30_100:
	s_mov_b64 s[20:21], 0
.LBB30_101:
	s_andn2_b64 vcc, exec, s[20:21]
	s_cbranch_vccnz .LBB30_120
; %bb.102:
	s_cmp_lt_i32 s18, 4
	s_mov_b32 s9, 0
	s_cbranch_scc1 .LBB30_109
; %bb.103:
	v_mov_b32_e32 v1, 0x900
	v_lshl_or_b32 v1, v0, 2, v1
	s_mov_b32 s1, 0
	s_mov_b32 s8, 0
.LBB30_104:                             ; =>This Loop Header: Depth=1
                                        ;     Child Loop BB30_106 Depth 2
	s_mul_i32 s9, s8, 24
	v_add_lshl_u32 v6, s9, v0, 2
	s_add_i32 s11, s9, 24
	s_add_i32 s10, s9, 48
	s_addk_i32 s9, 0x48
	v_add_lshl_u32 v8, s11, v0, 2
	v_add_lshl_u32 v9, s10, v0, 2
	;; [unrolled: 1-line block ×3, first 2 shown]
	ds_read_b32 v5, v6 offset:2304
	ds_read_b32 v4, v8 offset:2304
	;; [unrolled: 1-line block ×4, first 2 shown]
	s_cmp_eq_u32 s8, 0
	s_cbranch_scc1 .LBB30_107
; %bb.105:                              ;   in Loop: Header=BB30_104 Depth=1
	s_mov_b32 s14, 0
	v_mov_b32_e32 v7, v1
	s_mov_b32 s15, s1
.LBB30_106:                             ;   Parent Loop BB30_104 Depth=1
                                        ; =>  This Inner Loop Header: Depth=2
	v_mov_b32_e32 v11, s15
	ds_read2_b32 v[28:29], v7 offset1:24
	ds_read2_b32 v[30:31], v7 offset0:48 offset1:72
	ds_read_b128 v[12:15], v11
	ds_read_b128 v[16:19], v11 offset:96
	ds_read_b128 v[20:23], v11 offset:192
	;; [unrolled: 1-line block ×3, first 2 shown]
	s_add_i32 s14, s14, 4
	s_add_i32 s15, s15, 16
	s_waitcnt lgkmcnt(3)
	v_fma_f32 v5, -v28, v12, v5
	s_waitcnt lgkmcnt(2)
	v_fma_f32 v4, -v28, v16, v4
	;; [unrolled: 2-line block ×4, first 2 shown]
	v_fma_f32 v5, -v29, v13, v5
	v_fma_f32 v4, -v29, v17, v4
	;; [unrolled: 1-line block ×8, first 2 shown]
	v_add_u32_e32 v7, 0x180, v7
	s_cmp_ge_u32 s14, s8
	v_fma_f32 v5, -v31, v15, v5
	v_fma_f32 v4, -v31, v19, v4
	;; [unrolled: 1-line block ×4, first 2 shown]
	s_cbranch_scc0 .LBB30_106
.LBB30_107:                             ;   in Loop: Header=BB30_104 Depth=1
	s_mul_i32 s14, s8, 0x64
	v_add_u32_e32 v7, 0x900, v6
	v_add_u32_e32 v6, 0x900, v10
	v_mov_b32_e32 v10, s14
	ds_read_b32 v15, v10
	s_add_i32 s11, s11, s8
	s_add_i32 s10, s10, s8
	s_lshl_b32 s11, s11, 2
	s_lshl_b32 s10, s10, 2
	v_mov_b32_e32 v11, s11
	v_mov_b32_e32 v12, s10
	s_waitcnt lgkmcnt(0)
	v_div_scale_f32 v16, s[10:11], v15, v15, v5
	v_rcp_f32_e32 v17, v16
	ds_read_b64 v[10:11], v11
	ds_read_b96 v[12:14], v12
	s_add_i32 s9, s9, s8
	s_lshl_b32 s9, s9, 2
	v_fma_f32 v18, -v16, v17, 1.0
	v_fmac_f32_e32 v17, v18, v17
	v_div_scale_f32 v18, vcc, v5, v15, v5
	v_mul_f32_e32 v19, v18, v17
	v_fma_f32 v20, -v16, v19, v18
	v_fmac_f32_e32 v19, v20, v17
	v_fma_f32 v16, -v16, v19, v18
	v_div_fmas_f32 v16, v16, v17, v19
	v_div_fixup_f32 v5, v16, v15, v5
	s_waitcnt lgkmcnt(1)
	v_fma_f32 v4, -v5, v10, v4
	v_div_scale_f32 v10, s[10:11], v11, v11, v4
	v_rcp_f32_e32 v15, v10
	s_waitcnt lgkmcnt(0)
	v_fma_f32 v3, -v5, v12, v3
	v_add_u32_e32 v8, 0x900, v8
	v_add_u32_e32 v9, 0x900, v9
	v_fma_f32 v16, -v10, v15, 1.0
	v_fmac_f32_e32 v15, v16, v15
	v_div_scale_f32 v16, vcc, v4, v11, v4
	v_mul_f32_e32 v17, v16, v15
	v_fma_f32 v18, -v10, v17, v16
	v_fmac_f32_e32 v17, v18, v15
	v_fma_f32 v10, -v10, v17, v16
	v_div_fmas_f32 v10, v10, v15, v17
	v_div_fixup_f32 v4, v10, v11, v4
	v_fma_f32 v3, -v4, v13, v3
	v_div_scale_f32 v15, s[10:11], v14, v14, v3
	v_rcp_f32_e32 v16, v15
	v_div_scale_f32 v17, vcc, v3, v14, v3
	s_addk_i32 s1, 0x180
	v_fma_f32 v10, -v15, v16, 1.0
	v_fmac_f32_e32 v16, v10, v16
	v_mul_f32_e32 v18, v17, v16
	v_fma_f32 v10, -v15, v18, v17
	v_fmac_f32_e32 v18, v10, v16
	v_mov_b32_e32 v10, s9
	ds_read_b128 v[10:13], v10
	v_fma_f32 v15, -v15, v18, v17
	v_div_fmas_f32 v15, v15, v16, v18
	v_div_fixup_f32 v3, v15, v14, v3
	ds_write_b32 v7, v5
	ds_write_b32 v8, v4
	ds_write_b32 v9, v3
	s_waitcnt lgkmcnt(3)
	v_fma_f32 v2, -v5, v10, v2
	v_fma_f32 v2, -v4, v11, v2
	;; [unrolled: 1-line block ×3, first 2 shown]
	v_div_scale_f32 v10, s[10:11], v13, v13, v2
	v_rcp_f32_e32 v11, v10
	s_add_i32 s9, s8, 4
	s_add_i32 s8, s8, 7
	s_cmp_ge_i32 s8, s26
	v_fma_f32 v3, -v10, v11, 1.0
	v_fmac_f32_e32 v11, v3, v11
	v_div_scale_f32 v3, vcc, v2, v13, v2
	v_mul_f32_e32 v4, v3, v11
	v_fma_f32 v5, -v10, v4, v3
	v_fmac_f32_e32 v4, v5, v11
	v_fma_f32 v3, -v10, v4, v3
	v_div_fmas_f32 v3, v3, v11, v4
	v_div_fixup_f32 v2, v3, v13, v2
	ds_write_b32 v6, v2
	s_cbranch_scc1 .LBB30_109
; %bb.108:                              ;   in Loop: Header=BB30_104 Depth=1
	s_mov_b32 s8, s9
	s_branch .LBB30_104
.LBB30_109:
	s_cmp_ge_i32 s9, s26
	s_cbranch_scc1 .LBB30_120
; %bb.110:
	v_mov_b32_e32 v1, 0x900
	s_add_i32 s1, s9, -1
	s_mul_i32 s8, s9, 0x60
	v_lshl_or_b32 v1, v0, 2, v1
	s_mov_b32 s10, 0
	s_mov_b32 s11, s9
	s_branch .LBB30_112
.LBB30_111:                             ;   in Loop: Header=BB30_112 Depth=1
	s_mul_i32 s14, s9, 0x64
	v_mov_b32_e32 v4, s14
	ds_read_b32 v4, v4
	v_add_u32_e32 v3, 0x900, v3
	s_add_i32 s9, s9, 1
	s_add_i32 s10, s10, 1
	s_addk_i32 s8, 0x60
	s_waitcnt lgkmcnt(0)
	v_div_scale_f32 v5, s[14:15], v4, v4, v2
	v_rcp_f32_e32 v6, v5
	v_div_scale_f32 v7, vcc, v2, v4, v2
	s_cmp_ge_i32 s9, s26
	v_fma_f32 v8, -v5, v6, 1.0
	v_fmac_f32_e32 v6, v8, v6
	v_mul_f32_e32 v8, v7, v6
	v_fma_f32 v9, -v5, v8, v7
	v_fmac_f32_e32 v8, v9, v6
	v_fma_f32 v5, -v5, v8, v7
	v_div_fmas_f32 v5, v5, v6, v8
	v_div_fixup_f32 v2, v5, v4, v2
	ds_write_b32 v3, v2
	v_add_u16_e64 v2, s11, 1
	v_readfirstlane_b32 s11, v2
	s_cbranch_scc1 .LBB30_120
.LBB30_112:                             ; =>This Loop Header: Depth=1
                                        ;     Child Loop BB30_115 Depth 2
                                        ;     Child Loop BB30_119 Depth 2
	s_mul_i32 s14, s9, 24
	v_add_lshl_u32 v3, s14, v0, 2
	ds_read_b32 v2, v3 offset:2304
	s_cmp_eq_u32 s9, 0
	s_cbranch_scc1 .LBB30_111
; %bb.113:                              ;   in Loop: Header=BB30_112 Depth=1
	s_add_i32 s14, s1, s10
	s_cmp_lt_u32 s14, 7
	s_cbranch_scc1 .LBB30_117
; %bb.114:                              ;   in Loop: Header=BB30_112 Depth=1
	s_and_b32 s14, s9, -8
	s_mov_b32 s15, 0
	v_mov_b32_e32 v4, v1
	s_mov_b32 s19, s8
.LBB30_115:                             ;   Parent Loop BB30_112 Depth=1
                                        ; =>  This Inner Loop Header: Depth=2
	v_mov_b32_e32 v5, s19
	ds_read2_b32 v[14:15], v4 offset1:24
	ds_read2_b32 v[16:17], v4 offset0:48 offset1:72
	ds_read2_b32 v[18:19], v4 offset0:96 offset1:120
	ds_read2_b32 v[20:21], v4 offset0:144 offset1:168
	ds_read_b128 v[6:9], v5
	ds_read_b128 v[10:13], v5 offset:16
	s_add_i32 s15, s15, 8
	s_add_i32 s19, s19, 32
	v_add_u32_e32 v4, 0x300, v4
	s_waitcnt lgkmcnt(1)
	v_fma_f32 v2, -v14, v6, v2
	v_fma_f32 v2, -v15, v7, v2
	;; [unrolled: 1-line block ×4, first 2 shown]
	s_waitcnt lgkmcnt(0)
	v_fma_f32 v2, -v18, v10, v2
	v_fma_f32 v2, -v19, v11, v2
	;; [unrolled: 1-line block ×3, first 2 shown]
	s_cmp_eq_u32 s14, s15
	v_fma_f32 v2, -v21, v13, v2
	s_cbranch_scc0 .LBB30_115
; %bb.116:                              ;   in Loop: Header=BB30_112 Depth=1
	s_and_b32 s15, s9, 7
	s_cmp_eq_u32 s15, 0
	s_cbranch_scc0 .LBB30_118
	s_branch .LBB30_111
.LBB30_117:                             ;   in Loop: Header=BB30_112 Depth=1
	s_mov_b32 s14, 0
	s_and_b32 s15, s9, 7
	s_cmp_eq_u32 s15, 0
	s_cbranch_scc1 .LBB30_111
.LBB30_118:                             ;   in Loop: Header=BB30_112 Depth=1
	s_lshl_b32 s19, s14, 2
	s_mulk_i32 s14, 0x60
	s_and_b32 s15, s11, 7
	v_add_u32_e32 v4, s14, v1
.LBB30_119:                             ;   Parent Loop BB30_112 Depth=1
                                        ; =>  This Inner Loop Header: Depth=2
	s_add_i32 s14, s8, s19
	v_mov_b32_e32 v6, s14
	ds_read_b32 v5, v4
	ds_read_b32 v6, v6
	s_add_i32 s19, s19, 4
	s_add_i32 s15, s15, -1
	v_add_u32_e32 v4, 0x60, v4
	s_cmp_lg_u32 s15, 0
	s_waitcnt lgkmcnt(0)
	v_fma_f32 v2, -v5, v6, v2
	s_cbranch_scc1 .LBB30_119
	s_branch .LBB30_111
.LBB30_120:
	s_and_saveexec_b64 s[8:9], s[4:5]
	s_cbranch_execz .LBB30_132
; %bb.121:
	s_cmp_lt_u32 s18, 2
	s_cselect_b64 s[4:5], -1, 0
	s_cmp_lg_u32 s0, 1
	s_cselect_b64 s[8:9], -1, 0
	s_or_b64 s[4:5], s[4:5], s[8:9]
	s_mov_b32 s1, 1
	s_and_b64 vcc, exec, s[4:5]
	s_cbranch_vccnz .LBB30_129
; %bb.122:
	s_add_i32 s4, s18, -2
	s_lshr_b32 s5, s4, 1
	s_add_i32 s5, s5, 1
	s_mov_b32 s8, 0
	s_cmp_lt_u32 s4, 14
	s_mov_b32 s4, s8
	s_cbranch_scc1 .LBB30_125
; %bb.123:
	s_mul_i32 s1, s13, s7
	s_mul_hi_u32 s4, s12, s7
	s_add_i32 s11, s4, s1
	s_mul_i32 s10, s12, s7
	s_and_b32 s9, s5, -8
	s_lshl_b64 s[10:11], s[10:11], 2
	s_add_u32 s1, s10, s6
	s_addc_u32 s4, s11, s22
	s_lshl_b64 s[10:11], s[16:17], 2
	s_add_u32 s1, s1, s10
	s_addc_u32 s4, s4, s11
	s_add_u32 s1, s2, s1
	v_lshlrev_b32_e32 v1, 2, v0
	s_addc_u32 s4, s3, s4
	v_mov_b32_e32 v2, s4
	v_add_co_u32_e32 v1, vcc, s1, v1
	v_addc_co_u32_e32 v3, vcc, 0, v2, vcc
	v_add_co_u32_e32 v2, vcc, 56, v1
	v_addc_co_u32_e32 v3, vcc, 0, v3, vcc
	s_mov_b32 s1, 1
	s_mov_b32 s4, 0
.LBB30_124:                             ; =>This Inner Loop Header: Depth=1
	s_mul_i32 s10, s1, 24
	s_mul_i32 s11, s8, 24
	v_add_lshl_u32 v1, s11, v0, 2
	v_add_lshl_u32 v5, s10, v0, 2
	s_add_i32 s14, s10, 48
	s_add_i32 s15, s11, 48
	;; [unrolled: 1-line block ×12, first 2 shown]
	s_addk_i32 s10, 0x150
	s_addk_i32 s11, 0x150
	v_add_lshl_u32 v6, s15, v0, 2
	v_add_lshl_u32 v7, s14, v0, 2
	;; [unrolled: 1-line block ×14, first 2 shown]
	ds_read_b32 v4, v1 offset:2304
	ds_read_b32 v5, v5 offset:2304
	ds_read_b32 v6, v6 offset:2304
	ds_read_b32 v7, v7 offset:2304
	ds_read_b32 v8, v8 offset:2304
	ds_read_b32 v9, v9 offset:2304
	ds_read_b32 v10, v10 offset:2304
	ds_read_b32 v11, v11 offset:2304
	ds_read_b32 v12, v12 offset:2304
	ds_read_b32 v13, v13 offset:2304
	ds_read_b32 v14, v14 offset:2304
	ds_read_b32 v15, v15 offset:2304
	ds_read_b32 v16, v16 offset:2304
	ds_read_b32 v17, v17 offset:2304
	ds_read_b32 v18, v18 offset:2304
	ds_read_b32 v19, v19 offset:2304
	s_add_i32 s4, s4, 16
	s_add_i32 s1, s1, 16
	;; [unrolled: 1-line block ×3, first 2 shown]
	s_add_i32 s9, s9, -8
	s_waitcnt lgkmcnt(12)
	global_store_dwordx4 v[2:3], v[4:7], off offset:-56
	s_waitcnt lgkmcnt(8)
	global_store_dwordx4 v[2:3], v[8:11], off offset:-40
	;; [unrolled: 2-line block ×4, first 2 shown]
	v_add_co_u32_e32 v2, vcc, 64, v2
	s_cmp_lg_u32 s9, 0
	v_addc_co_u32_e32 v3, vcc, 0, v3, vcc
	s_cbranch_scc1 .LBB30_124
.LBB30_125:
	s_and_b32 s9, s5, 7
	s_cmp_eq_u32 s9, 0
	s_mov_b32 s5, 0
	s_cbranch_scc1 .LBB30_128
; %bb.126:
	s_mul_i32 s10, s13, s7
	s_mul_hi_u32 s11, s12, s7
	s_add_i32 s11, s11, s10
	s_mul_i32 s10, s12, s7
	s_lshl_b64 s[10:11], s[10:11], 2
	s_add_u32 s14, s10, s6
	s_addc_u32 s15, s11, s22
	s_lshl_b64 s[10:11], s[16:17], 2
	s_add_u32 s10, s14, s10
	s_addc_u32 s11, s15, s11
	;; [unrolled: 3-line block ×3, first 2 shown]
	s_add_u32 s4, s4, s10
	v_lshlrev_b32_e32 v1, 2, v0
	s_addc_u32 s5, s5, s11
	v_mov_b32_e32 v3, s5
	v_add_co_u32_e32 v2, vcc, s4, v1
	v_addc_co_u32_e32 v3, vcc, 0, v3, vcc
.LBB30_127:                             ; =>This Inner Loop Header: Depth=1
	s_mul_i32 s4, s1, 24
	s_mul_i32 s5, s8, 24
	v_add_lshl_u32 v1, s5, v0, 2
	v_add_lshl_u32 v5, s4, v0, 2
	ds_read_b32 v4, v1 offset:2304
	ds_read_b32 v5, v5 offset:2304
	s_add_i32 s1, s1, 2
	s_add_i32 s8, s8, 2
	s_add_i32 s9, s9, -1
	s_cmp_lg_u32 s9, 0
	s_waitcnt lgkmcnt(0)
	global_store_dwordx2 v[2:3], v[4:5], off
	v_add_co_u32_e32 v2, vcc, 8, v2
	v_addc_co_u32_e32 v3, vcc, 0, v3, vcc
	s_cbranch_scc1 .LBB30_127
.LBB30_128:
	s_and_b32 s8, s18, 0x7ffffffe
	s_cmp_lg_u32 s8, s18
	s_cselect_b64 s[4:5], -1, 0
	s_and_b64 vcc, exec, s[4:5]
	s_cbranch_vccnz .LBB30_130
	s_branch .LBB30_132
.LBB30_129:
	s_mov_b32 s8, 0
	s_cbranch_execz .LBB30_132
.LBB30_130:
	s_mul_i32 s5, s8, 0x60
	v_lshl_add_u32 v1, v0, 2, s5
	s_mul_i32 s5, s13, s7
	s_mul_hi_u32 s9, s12, s7
	s_sub_i32 s4, s18, s8
	s_add_i32 s11, s9, s5
	s_mul_i32 s10, s12, s7
	s_mul_hi_i32 s9, s0, s8
	s_mul_i32 s8, s0, s8
	s_ashr_i32 s1, s0, 31
	s_lshl_b64 s[10:11], s[10:11], 2
	s_lshl_b64 s[8:9], s[8:9], 2
	s_add_u32 s5, s10, s8
	s_addc_u32 s7, s11, s9
	s_add_u32 s5, s5, s6
	s_addc_u32 s8, s7, s22
	s_lshl_b64 s[6:7], s[16:17], 2
	s_add_u32 s5, s5, s6
	s_addc_u32 s6, s8, s7
	s_add_u32 s2, s2, s5
	v_lshlrev_b32_e32 v0, 2, v0
	s_addc_u32 s3, s3, s6
	v_add_u32_e32 v2, 0x900, v1
	v_mov_b32_e32 v1, s3
	v_add_co_u32_e32 v0, vcc, s2, v0
	s_lshl_b64 s[0:1], s[0:1], 2
	v_addc_co_u32_e32 v1, vcc, 0, v1, vcc
	v_mov_b32_e32 v3, s1
.LBB30_131:                             ; =>This Inner Loop Header: Depth=1
	ds_read_b32 v4, v2
	s_add_i32 s4, s4, -1
	v_add_u32_e32 v2, 0x60, v2
	s_cmp_lg_u32 s4, 0
	s_waitcnt lgkmcnt(0)
	global_store_dword v[0:1], v4, off
	v_add_co_u32_e32 v0, vcc, s0, v0
	v_addc_co_u32_e32 v1, vcc, v1, v3, vcc
	s_cbranch_scc1 .LBB30_131
.LBB30_132:
	s_endpgm
	.section	.rodata,"a",@progbits
	.p2align	6, 0x0
	.amdhsa_kernel _ZL31rocblas_trsm_small_right_deviceIffPKfPfLi24EEv13rocblas_fill_18rocblas_operation_17rocblas_diagonal_iiT0_T1_lilT2_lili
		.amdhsa_group_segment_fixed_size 4608
		.amdhsa_private_segment_fixed_size 0
		.amdhsa_kernarg_size 352
		.amdhsa_user_sgpr_count 6
		.amdhsa_user_sgpr_private_segment_buffer 1
		.amdhsa_user_sgpr_dispatch_ptr 0
		.amdhsa_user_sgpr_queue_ptr 0
		.amdhsa_user_sgpr_kernarg_segment_ptr 1
		.amdhsa_user_sgpr_dispatch_id 0
		.amdhsa_user_sgpr_flat_scratch_init 0
		.amdhsa_user_sgpr_kernarg_preload_length 0
		.amdhsa_user_sgpr_kernarg_preload_offset 0
		.amdhsa_user_sgpr_private_segment_size 0
		.amdhsa_uses_dynamic_stack 0
		.amdhsa_system_sgpr_private_segment_wavefront_offset 0
		.amdhsa_system_sgpr_workgroup_id_x 1
		.amdhsa_system_sgpr_workgroup_id_y 0
		.amdhsa_system_sgpr_workgroup_id_z 1
		.amdhsa_system_sgpr_workgroup_info 0
		.amdhsa_system_vgpr_workitem_id 0
		.amdhsa_next_free_vgpr 60
		.amdhsa_next_free_sgpr 44
		.amdhsa_accum_offset 60
		.amdhsa_reserve_vcc 1
		.amdhsa_reserve_flat_scratch 0
		.amdhsa_float_round_mode_32 0
		.amdhsa_float_round_mode_16_64 0
		.amdhsa_float_denorm_mode_32 3
		.amdhsa_float_denorm_mode_16_64 3
		.amdhsa_dx10_clamp 1
		.amdhsa_ieee_mode 1
		.amdhsa_fp16_overflow 0
		.amdhsa_tg_split 0
		.amdhsa_exception_fp_ieee_invalid_op 0
		.amdhsa_exception_fp_denorm_src 0
		.amdhsa_exception_fp_ieee_div_zero 0
		.amdhsa_exception_fp_ieee_overflow 0
		.amdhsa_exception_fp_ieee_underflow 0
		.amdhsa_exception_fp_ieee_inexact 0
		.amdhsa_exception_int_div_zero 0
	.end_amdhsa_kernel
	.section	.text._ZL31rocblas_trsm_small_right_deviceIffPKfPfLi24EEv13rocblas_fill_18rocblas_operation_17rocblas_diagonal_iiT0_T1_lilT2_lili,"axG",@progbits,_ZL31rocblas_trsm_small_right_deviceIffPKfPfLi24EEv13rocblas_fill_18rocblas_operation_17rocblas_diagonal_iiT0_T1_lilT2_lili,comdat
.Lfunc_end30:
	.size	_ZL31rocblas_trsm_small_right_deviceIffPKfPfLi24EEv13rocblas_fill_18rocblas_operation_17rocblas_diagonal_iiT0_T1_lilT2_lili, .Lfunc_end30-_ZL31rocblas_trsm_small_right_deviceIffPKfPfLi24EEv13rocblas_fill_18rocblas_operation_17rocblas_diagonal_iiT0_T1_lilT2_lili
                                        ; -- End function
	.section	.AMDGPU.csdata,"",@progbits
; Kernel info:
; codeLenInByte = 10064
; NumSgprs: 48
; NumVgprs: 60
; NumAgprs: 0
; TotalNumVgprs: 60
; ScratchSize: 0
; MemoryBound: 0
; FloatMode: 240
; IeeeMode: 1
; LDSByteSize: 4608 bytes/workgroup (compile time only)
; SGPRBlocks: 5
; VGPRBlocks: 7
; NumSGPRsForWavesPerEU: 48
; NumVGPRsForWavesPerEU: 60
; AccumOffset: 60
; Occupancy: 4
; WaveLimiterHint : 0
; COMPUTE_PGM_RSRC2:SCRATCH_EN: 0
; COMPUTE_PGM_RSRC2:USER_SGPR: 6
; COMPUTE_PGM_RSRC2:TRAP_HANDLER: 0
; COMPUTE_PGM_RSRC2:TGID_X_EN: 1
; COMPUTE_PGM_RSRC2:TGID_Y_EN: 0
; COMPUTE_PGM_RSRC2:TGID_Z_EN: 1
; COMPUTE_PGM_RSRC2:TIDIG_COMP_CNT: 0
; COMPUTE_PGM_RSRC3_GFX90A:ACCUM_OFFSET: 14
; COMPUTE_PGM_RSRC3_GFX90A:TG_SPLIT: 0
	.section	.text._ZL38rocblas_trsm_small_left_device_sharedBILi28ELi28ELb0EffPKfPfEv13rocblas_fill_18rocblas_operation_17rocblas_diagonal_iiT3_T4_lilT5_lili,"axG",@progbits,_ZL38rocblas_trsm_small_left_device_sharedBILi28ELi28ELb0EffPKfPfEv13rocblas_fill_18rocblas_operation_17rocblas_diagonal_iiT3_T4_lilT5_lili,comdat
	.globl	_ZL38rocblas_trsm_small_left_device_sharedBILi28ELi28ELb0EffPKfPfEv13rocblas_fill_18rocblas_operation_17rocblas_diagonal_iiT3_T4_lilT5_lili ; -- Begin function _ZL38rocblas_trsm_small_left_device_sharedBILi28ELi28ELb0EffPKfPfEv13rocblas_fill_18rocblas_operation_17rocblas_diagonal_iiT3_T4_lilT5_lili
	.p2align	8
	.type	_ZL38rocblas_trsm_small_left_device_sharedBILi28ELi28ELb0EffPKfPfEv13rocblas_fill_18rocblas_operation_17rocblas_diagonal_iiT3_T4_lilT5_lili,@function
_ZL38rocblas_trsm_small_left_device_sharedBILi28ELi28ELb0EffPKfPfEv13rocblas_fill_18rocblas_operation_17rocblas_diagonal_iiT3_T4_lilT5_lili: ; @_ZL38rocblas_trsm_small_left_device_sharedBILi28ELi28ELb0EffPKfPfEv13rocblas_fill_18rocblas_operation_17rocblas_diagonal_iiT3_T4_lilT5_lili
; %bb.0:
	s_load_dwordx4 s[8:11], s[4:5], 0x4
	s_load_dword s18, s[4:5], 0x14
	s_load_dwordx4 s[0:3], s[4:5], 0x30
	s_load_dwordx2 s[16:17], s[4:5], 0x40
	s_mov_b32 s27, 0
	s_waitcnt lgkmcnt(0)
	s_min_i32 s26, s10, 28
	v_cmp_gt_i32_e32 vcc, s26, v0
	s_and_saveexec_b64 s[20:21], vcc
	s_cbranch_execz .LBB31_15
; %bb.1:
	s_load_dword s22, s[4:5], 0x28
	s_load_dwordx4 s[12:15], s[4:5], 0x18
	s_cmp_gt_u32 s26, 1
	s_cselect_b64 s[24:25], -1, 0
	s_mov_b32 s19, 1
	s_waitcnt lgkmcnt(0)
	s_cmp_eq_u32 s22, 1
	s_cselect_b64 s[28:29], -1, 0
	s_and_b64 s[28:29], s[24:25], s[28:29]
	s_mov_b64 s[24:25], -1
	s_and_b64 vcc, exec, s[28:29]
	s_cbranch_vccz .LBB31_9
; %bb.2:
	s_add_i32 s24, s26, -2
	s_lshr_b32 s25, s24, 1
	s_add_i32 s25, s25, 1
	s_mov_b32 s23, 0
	s_cmp_lt_u32 s24, 14
	s_mov_b32 s24, s23
	s_cbranch_scc1 .LBB31_5
; %bb.3:
	s_mul_i32 s19, s1, s7
	s_mul_hi_u32 s23, s0, s7
	s_add_i32 s29, s23, s19
	s_mul_i32 s28, s0, s7
	s_and_b32 s27, s25, -8
	s_lshl_b64 s[28:29], s[28:29], 2
	s_lshl_b64 s[30:31], s[14:15], 2
	s_add_u32 s19, s28, s30
	s_addc_u32 s23, s29, s31
	s_add_u32 s19, s12, s19
	v_lshlrev_b32_e32 v1, 2, v0
	s_addc_u32 s23, s13, s23
	v_mov_b32_e32 v2, s23
	v_add_co_u32_e32 v1, vcc, s19, v1
	v_addc_co_u32_e32 v3, vcc, 0, v2, vcc
	v_add_co_u32_e32 v2, vcc, 56, v1
	v_addc_co_u32_e32 v3, vcc, 0, v3, vcc
	s_mov_b32 s19, 1
	s_mov_b32 s24, 0
	;; [unrolled: 1-line block ×3, first 2 shown]
.LBB31_4:                               ; =>This Inner Loop Header: Depth=1
	global_load_dwordx4 v[4:7], v[2:3], off offset:-56
	global_load_dwordx4 v[8:11], v[2:3], off offset:-40
	;; [unrolled: 1-line block ×4, first 2 shown]
	s_mul_i32 s28, s19, 28
	s_mul_i32 s29, s23, 28
	s_add_i32 s24, s24, 16
	s_add_i32 s19, s19, 16
	;; [unrolled: 1-line block ×3, first 2 shown]
	s_add_i32 s27, s27, -8
	v_add_co_u32_e32 v2, vcc, 64, v2
	v_add_lshl_u32 v1, s29, v0, 2
	v_add_lshl_u32 v20, s28, v0, 2
	s_add_i32 s30, s28, 56
	s_add_i32 s31, s29, 56
	;; [unrolled: 1-line block ×12, first 2 shown]
	s_addk_i32 s28, 0x188
	s_addk_i32 s29, 0x188
	v_addc_co_u32_e32 v3, vcc, 0, v3, vcc
	s_cmp_lg_u32 s27, 0
	v_add_lshl_u32 v21, s31, v0, 2
	v_add_lshl_u32 v22, s30, v0, 2
	;; [unrolled: 1-line block ×14, first 2 shown]
	s_waitcnt vmcnt(3)
	ds_write_b32 v1, v4
	ds_write_b32 v20, v5
	ds_write_b32 v21, v6
	ds_write_b32 v22, v7
	s_waitcnt vmcnt(2)
	ds_write_b32 v23, v8
	ds_write_b32 v24, v9
	ds_write_b32 v25, v10
	ds_write_b32 v26, v11
	;; [unrolled: 5-line block ×4, first 2 shown]
	s_cbranch_scc1 .LBB31_4
.LBB31_5:
	s_and_b32 s27, s25, 7
	s_cmp_eq_u32 s27, 0
	s_mov_b32 s25, 0
	s_cbranch_scc1 .LBB31_8
; %bb.6:
	s_mul_i32 s28, s1, s7
	s_mul_hi_u32 s29, s0, s7
	s_add_i32 s29, s29, s28
	s_mul_i32 s28, s0, s7
	s_lshl_b64 s[28:29], s[28:29], 2
	s_lshl_b64 s[30:31], s[14:15], 2
	s_add_u32 s28, s28, s30
	s_addc_u32 s29, s29, s31
	s_lshl_b64 s[24:25], s[24:25], 2
	s_add_u32 s24, s12, s24
	s_addc_u32 s25, s13, s25
	s_add_u32 s24, s24, s28
	v_lshlrev_b32_e32 v1, 2, v0
	s_addc_u32 s25, s25, s29
	v_mov_b32_e32 v3, s25
	v_add_co_u32_e32 v2, vcc, s24, v1
	v_addc_co_u32_e32 v3, vcc, 0, v3, vcc
	s_lshl_b32 s24, s27, 3
.LBB31_7:                               ; =>This Inner Loop Header: Depth=1
	global_load_dwordx2 v[4:5], v[2:3], off
	s_mul_i32 s25, s19, 28
	s_mul_i32 s27, s23, 28
	s_add_i32 s19, s19, 2
	s_add_i32 s23, s23, 2
	v_add_co_u32_e32 v2, vcc, 8, v2
	s_add_i32 s24, s24, -8
	v_addc_co_u32_e32 v3, vcc, 0, v3, vcc
	v_add_lshl_u32 v1, s27, v0, 2
	s_cmp_lg_u32 s24, 0
	v_add_lshl_u32 v6, s25, v0, 2
	s_waitcnt vmcnt(0)
	ds_write_b32 v1, v4
	ds_write_b32 v6, v5
	s_cbranch_scc1 .LBB31_7
.LBB31_8:
	s_and_b32 s27, s26, -2
	s_cmp_lg_u32 s26, s27
	s_cselect_b64 s[24:25], -1, 0
.LBB31_9:
	s_and_b64 vcc, exec, s[24:25]
	s_cbranch_vccz .LBB31_12
; %bb.10:
	s_ashr_i32 s23, s22, 31
	s_mul_i32 s1, s1, s7
	s_mul_hi_u32 s19, s0, s7
	s_add_i32 s1, s19, s1
	s_mul_hi_u32 s19, s22, s27
	s_mul_i32 s24, s23, s27
	s_mul_i32 s0, s0, s7
	s_add_i32 s25, s19, s24
	s_mul_i32 s24, s22, s27
	s_lshl_b64 s[0:1], s[0:1], 2
	s_lshl_b64 s[24:25], s[24:25], 2
	s_add_u32 s19, s0, s24
	s_addc_u32 s24, s1, s25
	s_lshl_b64 s[0:1], s[14:15], 2
	s_add_u32 s0, s19, s0
	s_addc_u32 s1, s24, s1
	s_add_u32 s0, s12, s0
	v_lshlrev_b32_e32 v1, 2, v0
	s_addc_u32 s1, s13, s1
	v_mov_b32_e32 v3, s1
	v_add_co_u32_e32 v2, vcc, s0, v1
	s_lshl_b64 s[0:1], s[22:23], 2
	s_mul_i32 s13, s27, 0x70
	v_addc_co_u32_e32 v3, vcc, 0, v3, vcc
	s_sub_i32 s12, s26, s27
	v_lshl_add_u32 v1, v0, 2, s13
	v_mov_b32_e32 v4, s1
.LBB31_11:                              ; =>This Inner Loop Header: Depth=1
	global_load_dword v5, v[2:3], off
	v_add_co_u32_e32 v2, vcc, s0, v2
	s_add_i32 s12, s12, -1
	v_addc_co_u32_e32 v3, vcc, v3, v4, vcc
	s_cmp_eq_u32 s12, 0
	s_waitcnt vmcnt(0)
	ds_write_b32 v1, v5
	v_add_u32_e32 v1, 0x70, v1
	s_cbranch_scc0 .LBB31_11
.LBB31_12:
	v_mul_u32_u24_e32 v1, 29, v0
	s_cmpk_lg_i32 s9, 0x84
	v_lshlrev_b32_e32 v1, 2, v1
	v_mov_b32_e32 v2, 1.0
	s_cbranch_scc0 .LBB31_14
; %bb.13:
	ds_read_b32 v2, v1
	s_waitcnt lgkmcnt(0)
	v_div_scale_f32 v3, s[0:1], v2, v2, 1.0
	v_rcp_f32_e32 v4, v3
	v_div_scale_f32 v5, vcc, 1.0, v2, 1.0
	v_fma_f32 v6, -v3, v4, 1.0
	v_fmac_f32_e32 v4, v6, v4
	v_mul_f32_e32 v6, v5, v4
	v_fma_f32 v7, -v3, v6, v5
	v_fmac_f32_e32 v6, v7, v4
	v_fma_f32 v3, -v3, v6, v5
	v_div_fmas_f32 v3, v3, v4, v6
	v_div_fixup_f32 v2, v3, v2, 1.0
.LBB31_14:
	ds_write_b32 v1, v2
.LBB31_15:
	s_or_b64 exec, exec, s[20:21]
	s_load_dword s9, s[4:5], 0x60
	s_load_dword s22, s[4:5], 0x48
	s_load_dwordx2 s[0:1], s[4:5], 0x50
	s_mul_i32 s4, s6, 0xffffffe4
	s_add_i32 s4, s4, s11
	s_waitcnt lgkmcnt(0)
	s_add_i32 s9, s9, -1
	s_ashr_i32 s11, s22, 31
	s_cmp_ge_u32 s6, s9
	s_cselect_b32 s9, s4, 28
	s_mul_i32 s4, s6, 28
	s_ashr_i32 s5, s4, 31
	s_cmp_gt_i32 s10, 0
	v_cmp_gt_i32_e32 vcc, s9, v0
	s_cselect_b64 s[12:13], -1, 0
	s_mov_b32 s9, 0
	s_and_b64 s[12:13], vcc, s[12:13]
	s_and_saveexec_b64 s[14:15], s[12:13]
	s_cbranch_execz .LBB31_27
; %bb.16:
	s_cmp_lt_i32 s10, 2
	s_mov_b64 s[20:21], -1
	s_cbranch_scc1 .LBB31_24
; %bb.17:
	s_add_i32 s20, s26, -2
	s_lshr_b32 s21, s20, 1
	s_add_i32 s21, s21, 1
	s_mov_b32 s19, s18
	s_mov_b32 s6, 1
	s_cmp_lt_u32 s20, 14
	s_mov_b32 s20, s9
	s_cbranch_scc1 .LBB31_20
; %bb.18:
	s_mul_i32 s9, s1, s7
	s_mul_hi_u32 s20, s0, s7
	s_add_i32 s25, s20, s9
	s_mul_i32 s24, s0, s7
	s_lshl_b64 s[28:29], s[4:5], 2
	v_lshlrev_b32_e32 v1, 2, v0
	s_and_b32 s23, s21, -8
	s_lshl_b64 s[24:25], s[24:25], 2
	v_mov_b32_e32 v2, s29
	v_add_co_u32_e32 v1, vcc, s28, v1
	s_lshl_b64 s[28:29], s[16:17], 2
	s_add_u32 s9, s2, s28
	s_addc_u32 s20, s3, s29
	s_add_u32 s24, s9, s24
	s_addc_u32 s25, s20, s25
	v_addc_co_u32_e32 v4, vcc, 0, v2, vcc
	v_pk_mov_b32 v[2:3], s[24:25], s[24:25] op_sel:[0,1]
	v_mad_u64_u32 v[2:3], s[24:25], v1, s22, v[2:3]
	v_mul_lo_u32 v1, v1, s11
	v_mul_lo_u32 v4, v4, s22
	v_add3_u32 v1, v4, v3, v1
	v_add_co_u32_e32 v2, vcc, 56, v2
	v_addc_co_u32_e32 v3, vcc, 0, v1, vcc
	s_mov_b32 s20, 0
	s_mov_b32 s9, 0
.LBB31_19:                              ; =>This Inner Loop Header: Depth=1
	global_load_dwordx4 v[4:7], v[2:3], off offset:-56
	global_load_dwordx4 v[8:11], v[2:3], off offset:-40
	;; [unrolled: 1-line block ×4, first 2 shown]
	s_mul_i32 s24, s6, 28
	s_mul_i32 s25, s9, 28
	s_add_i32 s20, s20, 16
	s_add_i32 s6, s6, 16
	;; [unrolled: 1-line block ×3, first 2 shown]
	s_add_i32 s23, s23, -8
	v_add_co_u32_e32 v2, vcc, 64, v2
	v_add_lshl_u32 v1, s25, v0, 2
	v_add_lshl_u32 v20, s24, v0, 2
	s_add_i32 s27, s24, 56
	s_add_i32 s28, s25, 56
	;; [unrolled: 1-line block ×12, first 2 shown]
	s_addk_i32 s24, 0x188
	s_addk_i32 s25, 0x188
	v_addc_co_u32_e32 v3, vcc, 0, v3, vcc
	s_cmp_lg_u32 s23, 0
	v_add_lshl_u32 v21, s28, v0, 2
	v_add_lshl_u32 v22, s27, v0, 2
	;; [unrolled: 1-line block ×14, first 2 shown]
	s_waitcnt vmcnt(3)
	v_pk_mul_f32 v[4:5], v[4:5], s[18:19]
	v_pk_mul_f32 v[6:7], v[6:7], s[18:19]
	s_waitcnt vmcnt(2)
	v_pk_mul_f32 v[8:9], v[8:9], s[18:19]
	v_pk_mul_f32 v[10:11], v[10:11], s[18:19]
	;; [unrolled: 3-line block ×4, first 2 shown]
	ds_write_b32 v1, v4 offset:3136
	ds_write_b32 v20, v5 offset:3136
	;; [unrolled: 1-line block ×16, first 2 shown]
	s_cbranch_scc1 .LBB31_19
.LBB31_20:
	s_and_b32 s23, s21, 7
	s_cmp_eq_u32 s23, 0
	s_mov_b32 s21, 0
	s_cbranch_scc1 .LBB31_23
; %bb.21:
	s_mul_i32 s24, s1, s7
	s_mul_hi_u32 s25, s0, s7
	s_add_i32 s25, s25, s24
	s_mul_i32 s24, s0, s7
	s_lshl_b64 s[28:29], s[4:5], 2
	v_lshlrev_b32_e32 v1, 2, v0
	s_lshl_b64 s[24:25], s[24:25], 2
	v_mov_b32_e32 v2, s29
	v_add_co_u32_e32 v1, vcc, s28, v1
	s_lshl_b64 s[28:29], s[16:17], 2
	s_lshl_b64 s[20:21], s[20:21], 2
	s_add_u32 s20, s2, s20
	s_addc_u32 s21, s3, s21
	s_add_u32 s20, s20, s28
	s_addc_u32 s21, s21, s29
	;; [unrolled: 2-line block ×3, first 2 shown]
	v_addc_co_u32_e32 v4, vcc, 0, v2, vcc
	v_pk_mov_b32 v[2:3], s[20:21], s[20:21] op_sel:[0,1]
	v_mad_u64_u32 v[2:3], s[20:21], v1, s22, v[2:3]
	v_mul_lo_u32 v1, v1, s11
	v_mul_lo_u32 v4, v4, s22
	v_add3_u32 v3, v4, v3, v1
	s_lshl_b32 s20, s23, 3
.LBB31_22:                              ; =>This Inner Loop Header: Depth=1
	global_load_dwordx2 v[4:5], v[2:3], off
	s_mul_i32 s21, s6, 28
	s_mul_i32 s23, s9, 28
	s_add_i32 s6, s6, 2
	s_add_i32 s9, s9, 2
	v_add_co_u32_e32 v2, vcc, 8, v2
	s_add_i32 s20, s20, -8
	v_addc_co_u32_e32 v3, vcc, 0, v3, vcc
	v_add_lshl_u32 v1, s23, v0, 2
	s_cmp_lg_u32 s20, 0
	v_add_lshl_u32 v6, s21, v0, 2
	s_waitcnt vmcnt(0)
	v_pk_mul_f32 v[4:5], v[4:5], s[18:19]
	ds_write_b32 v1, v4 offset:3136
	ds_write_b32 v6, v5 offset:3136
	s_cbranch_scc1 .LBB31_22
.LBB31_23:
	s_and_b32 s9, s26, 30
	s_cmp_lg_u32 s26, s9
	s_cselect_b64 s[20:21], -1, 0
.LBB31_24:
	s_and_b64 vcc, exec, s[20:21]
	s_cbranch_vccz .LBB31_27
; %bb.25:
	s_mul_i32 s19, s9, 0x70
	v_lshl_add_u32 v1, v0, 2, s19
	s_mul_i32 s19, s1, s7
	s_mul_hi_u32 s20, s0, s7
	s_add_i32 s21, s20, s19
	s_mul_i32 s20, s0, s7
	s_lshl_b64 s[24:25], s[4:5], 2
	v_lshlrev_b32_e32 v2, 2, v0
	s_sub_i32 s6, s26, s9
	s_lshl_b64 s[20:21], s[20:21], 2
	v_mov_b32_e32 v3, s25
	v_add_co_u32_e32 v4, vcc, s24, v2
	s_lshl_b64 s[24:25], s[16:17], 2
	s_lshl_b32 s9, s9, 2
	s_add_u32 s9, s2, s9
	s_addc_u32 s19, s3, 0
	s_add_u32 s9, s9, s24
	s_addc_u32 s19, s19, s25
	;; [unrolled: 2-line block ×3, first 2 shown]
	v_addc_co_u32_e32 v5, vcc, 0, v3, vcc
	v_pk_mov_b32 v[2:3], s[20:21], s[20:21] op_sel:[0,1]
	v_mad_u64_u32 v[2:3], s[20:21], v4, s22, v[2:3]
	v_mul_lo_u32 v4, v4, s11
	v_mul_lo_u32 v5, v5, s22
	v_add_u32_e32 v1, 0xc40, v1
	v_add3_u32 v3, v5, v3, v4
.LBB31_26:                              ; =>This Inner Loop Header: Depth=1
	global_load_dword v4, v[2:3], off
	s_add_i32 s6, s6, -1
	v_add_co_u32_e32 v2, vcc, 4, v2
	v_addc_co_u32_e32 v3, vcc, 0, v3, vcc
	s_cmp_lg_u32 s6, 0
	s_waitcnt vmcnt(0)
	v_mul_f32_e32 v4, s18, v4
	ds_write_b32 v1, v4
	v_add_u32_e32 v1, 0x70, v1
	s_cbranch_scc1 .LBB31_26
.LBB31_27:
	s_or_b64 exec, exec, s[14:15]
	s_cmpk_eq_i32 s8, 0x6f
	s_mov_b64 s[8:9], -1
	s_waitcnt lgkmcnt(0)
	; wave barrier
	s_waitcnt lgkmcnt(0)
	s_cbranch_scc1 .LBB31_48
; %bb.28:
	s_cmp_gt_i32 s10, 27
	s_cselect_b64 s[8:9], -1, 0
	s_mov_b32 s6, 0
	s_and_b64 vcc, exec, s[8:9]
	s_cbranch_vccz .LBB31_30
; %bb.29:
	v_lshlrev_b32_e32 v1, 2, v0
	v_add_u32_e32 v40, 0xc00, v1
	v_add_u32_e32 v41, 0xe00, v1
	;; [unrolled: 1-line block ×4, first 2 shown]
	v_mov_b32_e32 v16, 0
	ds_read2_b32 v[18:19], v40 offset0:16 offset1:44
	ds_read2_b32 v[20:21], v40 offset0:72 offset1:100
	;; [unrolled: 1-line block ×13, first 2 shown]
	ds_read_b32 v17, v16
	ds_read_b64 v[24:25], v16 offset:112
	v_add_u32_e32 v1, 0x1600, v1
	ds_read2_b32 v[2:3], v1 offset0:104 offset1:132
	ds_read_b96 v[28:30], v16 offset:224
	s_mov_b32 s6, 28
	s_waitcnt lgkmcnt(3)
	v_mul_f32_e32 v17, v17, v18
	s_waitcnt lgkmcnt(2)
	v_fma_f32 v18, -v17, v24, v19
	v_mul_f32_e32 v18, v25, v18
	ds_read_b128 v[24:27], v16 offset:336
	s_waitcnt lgkmcnt(1)
	v_fma_f32 v19, -v17, v28, v20
	v_fma_f32 v19, -v18, v29, v19
	v_mul_f32_e32 v19, v30, v19
	ds_read_b128 v[28:31], v16 offset:448
	s_waitcnt lgkmcnt(1)
	v_fma_f32 v20, -v17, v24, v21
	v_fma_f32 v20, -v18, v25, v20
	;; [unrolled: 1-line block ×3, first 2 shown]
	v_mul_f32_e32 v20, v27, v20
	ds_write2_b32 v40, v17, v18 offset0:16 offset1:44
	ds_write2_b32 v40, v19, v20 offset0:72 offset1:100
	ds_read_b32 v23, v16 offset:464
	ds_read_b128 v[24:27], v16 offset:560
	s_waitcnt lgkmcnt(4)
	v_fma_f32 v21, -v17, v28, v32
	v_fma_f32 v21, -v18, v29, v21
	;; [unrolled: 1-line block ×4, first 2 shown]
	s_waitcnt lgkmcnt(1)
	v_mul_f32_e32 v21, v23, v21
	s_waitcnt lgkmcnt(0)
	v_fma_f32 v23, -v17, v24, v33
	ds_read_b64 v[32:33], v16 offset:576
	ds_read_b128 v[28:31], v16 offset:672
	v_fma_f32 v23, -v18, v25, v23
	v_fma_f32 v23, -v19, v26, v23
	;; [unrolled: 1-line block ×3, first 2 shown]
	s_waitcnt lgkmcnt(1)
	v_fma_f32 v23, -v21, v32, v23
	v_mul_f32_e32 v23, v33, v23
	s_waitcnt lgkmcnt(0)
	v_fma_f32 v24, -v17, v28, v34
	ds_read_b96 v[32:34], v16 offset:688
	v_fma_f32 v24, -v18, v29, v24
	ds_read_b128 v[26:29], v16 offset:784
	v_fma_f32 v24, -v19, v30, v24
	v_fma_f32 v24, -v20, v31, v24
	s_waitcnt lgkmcnt(1)
	v_fma_f32 v24, -v21, v32, v24
	v_fma_f32 v24, -v23, v33, v24
	ds_read_b128 v[30:33], v16 offset:800
	s_waitcnt lgkmcnt(1)
	v_fma_f32 v25, -v17, v26, v35
	v_fma_f32 v25, -v18, v27, v25
	;; [unrolled: 1-line block ×4, first 2 shown]
	ds_read_b128 v[26:29], v16 offset:896
	s_waitcnt lgkmcnt(1)
	v_fma_f32 v25, -v21, v30, v25
	v_mul_f32_e32 v24, v34, v24
	v_fma_f32 v25, -v23, v31, v25
	v_fma_f32 v25, -v24, v32, v25
	v_mul_f32_e32 v25, v33, v25
	ds_write2_b32 v40, v21, v23 offset0:128 offset1:156
	ds_write2_b32 v40, v24, v25 offset0:184 offset1:212
	ds_read_b128 v[30:33], v16 offset:912
	ds_read_b32 v34, v16 offset:928
	s_waitcnt lgkmcnt(4)
	v_fma_f32 v26, -v17, v26, v36
	v_fma_f32 v26, -v18, v27, v26
	;; [unrolled: 1-line block ×4, first 2 shown]
	s_waitcnt lgkmcnt(1)
	v_fma_f32 v26, -v21, v30, v26
	v_fma_f32 v26, -v23, v31, v26
	ds_read_b128 v[28:31], v16 offset:1008
	v_fma_f32 v26, -v24, v32, v26
	v_fma_f32 v26, -v25, v33, v26
	s_waitcnt lgkmcnt(1)
	v_mul_f32_e32 v26, v34, v26
	ds_read_b128 v[32:35], v16 offset:1024
	s_waitcnt lgkmcnt(1)
	v_fma_f32 v27, -v17, v28, v37
	v_fma_f32 v27, -v18, v29, v27
	;; [unrolled: 1-line block ×4, first 2 shown]
	ds_read_b64 v[36:37], v16 offset:1040
	ds_read_b128 v[28:31], v16 offset:1120
	s_waitcnt lgkmcnt(2)
	v_fma_f32 v27, -v21, v32, v27
	v_fma_f32 v27, -v23, v33, v27
	;; [unrolled: 1-line block ×4, first 2 shown]
	ds_read_b128 v[32:35], v16 offset:1136
	s_waitcnt lgkmcnt(1)
	v_fma_f32 v28, -v17, v28, v38
	v_fma_f32 v28, -v18, v29, v28
	;; [unrolled: 1-line block ×4, first 2 shown]
	v_mul_f32_e32 v27, v37, v27
	ds_read_b96 v[36:38], v16 offset:1152
	v_fma_f32 v28, -v20, v31, v28
	s_waitcnt lgkmcnt(1)
	v_fma_f32 v28, -v21, v32, v28
	v_fma_f32 v28, -v23, v33, v28
	ds_read_b128 v[30:33], v16 offset:1232
	v_fma_f32 v28, -v24, v34, v28
	v_fma_f32 v28, -v25, v35, v28
	s_waitcnt lgkmcnt(1)
	v_fma_f32 v28, -v26, v36, v28
	v_fma_f32 v28, -v27, v37, v28
	ds_read_b128 v[34:37], v16 offset:1248
	s_waitcnt lgkmcnt(1)
	v_fma_f32 v29, -v17, v30, v39
	v_fma_f32 v29, -v18, v31, v29
	;; [unrolled: 1-line block ×4, first 2 shown]
	ds_read_b128 v[30:33], v16 offset:1264
	s_waitcnt lgkmcnt(1)
	v_fma_f32 v29, -v21, v34, v29
	v_fma_f32 v29, -v23, v35, v29
	;; [unrolled: 1-line block ×4, first 2 shown]
	ds_read_b128 v[34:37], v16 offset:1344
	s_waitcnt lgkmcnt(1)
	v_fma_f32 v29, -v26, v30, v29
	v_mul_f32_e32 v28, v38, v28
	v_fma_f32 v29, -v27, v31, v29
	v_fma_f32 v29, -v28, v32, v29
	v_mul_f32_e32 v29, v33, v29
	ds_write2_b32 v41, v26, v27 offset0:112 offset1:140
	ds_write2_b32 v44, v28, v29 offset0:40 offset1:68
	ds_read_b128 v[30:33], v16 offset:1360
	ds_read_b128 v[38:41], v16 offset:1376
	s_waitcnt lgkmcnt(4)
	v_fma_f32 v34, -v17, v34, v42
	v_fma_f32 v34, -v18, v35, v34
	;; [unrolled: 1-line block ×4, first 2 shown]
	s_waitcnt lgkmcnt(1)
	v_fma_f32 v30, -v21, v30, v34
	v_fma_f32 v30, -v23, v31, v30
	;; [unrolled: 1-line block ×4, first 2 shown]
	ds_read_b32 v31, v16 offset:1392
	ds_read_b128 v[32:35], v16 offset:1456
	s_waitcnt lgkmcnt(2)
	v_fma_f32 v30, -v26, v38, v30
	v_fma_f32 v30, -v27, v39, v30
	;; [unrolled: 1-line block ×4, first 2 shown]
	ds_read_b128 v[36:39], v16 offset:1472
	s_waitcnt lgkmcnt(2)
	v_mul_f32_e32 v30, v31, v30
	s_waitcnt lgkmcnt(1)
	v_fma_f32 v31, -v17, v32, v43
	v_fma_f32 v31, -v18, v33, v31
	;; [unrolled: 1-line block ×4, first 2 shown]
	ds_read_b128 v[32:35], v16 offset:1488
	s_waitcnt lgkmcnt(1)
	v_fma_f32 v31, -v21, v36, v31
	v_fma_f32 v31, -v23, v37, v31
	;; [unrolled: 1-line block ×4, first 2 shown]
	ds_read_b64 v[40:41], v16 offset:1504
	ds_read_b128 v[36:39], v16 offset:1568
	s_waitcnt lgkmcnt(2)
	v_fma_f32 v31, -v26, v32, v31
	v_fma_f32 v31, -v27, v33, v31
	v_fma_f32 v31, -v28, v34, v31
	v_fma_f32 v31, -v29, v35, v31
	ds_read_b128 v[32:35], v16 offset:1584
	s_waitcnt lgkmcnt(1)
	v_fma_f32 v14, -v17, v36, v14
	v_fma_f32 v14, -v18, v37, v14
	v_fma_f32 v14, -v19, v38, v14
	v_fma_f32 v14, -v20, v39, v14
	;; [unrolled: 6-line block ×3, first 2 shown]
	v_mul_f32_e32 v31, v41, v31
	v_fma_f32 v14, -v25, v35, v14
	ds_read_b96 v[40:42], v16 offset:1616
	ds_read_b128 v[32:35], v16 offset:1680
	s_waitcnt lgkmcnt(2)
	v_fma_f32 v14, -v26, v36, v14
	v_fma_f32 v14, -v27, v37, v14
	v_fma_f32 v14, -v28, v38, v14
	v_fma_f32 v14, -v29, v39, v14
	ds_read_b128 v[36:39], v16 offset:1696
	s_waitcnt lgkmcnt(1)
	v_fma_f32 v15, -v17, v32, v15
	v_fma_f32 v15, -v18, v33, v15
	v_fma_f32 v15, -v19, v34, v15
	v_fma_f32 v15, -v20, v35, v15
	ds_read_b128 v[32:35], v16 offset:1712
	s_waitcnt lgkmcnt(1)
	v_fma_f32 v15, -v21, v36, v15
	v_fma_f32 v15, -v23, v37, v15
	v_fma_f32 v15, -v24, v38, v15
	v_fma_f32 v15, -v25, v39, v15
	ds_read_b128 v[36:39], v16 offset:1728
	s_waitcnt lgkmcnt(1)
	v_fma_f32 v15, -v26, v32, v15
	v_fma_f32 v15, -v27, v33, v15
	v_fma_f32 v15, -v28, v34, v15
	v_fma_f32 v14, -v30, v40, v14
	v_fma_f32 v15, -v29, v35, v15
	ds_read_b128 v[32:35], v16 offset:1792
	v_fma_f32 v14, -v31, v41, v14
	s_waitcnt lgkmcnt(1)
	v_fma_f32 v15, -v30, v36, v15
	v_mul_f32_e32 v14, v42, v14
	v_fma_f32 v15, -v31, v37, v15
	v_fma_f32 v15, -v14, v38, v15
	v_mul_f32_e32 v15, v39, v15
	ds_write2_b32 v44, v30, v31 offset0:96 offset1:124
	ds_write2_b32 v44, v14, v15 offset0:152 offset1:180
	ds_read_b128 v[36:39], v16 offset:1808
	ds_read_b128 v[40:43], v16 offset:1824
	s_waitcnt lgkmcnt(4)
	v_fma_f32 v12, -v17, v32, v12
	v_fma_f32 v12, -v18, v33, v12
	;; [unrolled: 1-line block ×4, first 2 shown]
	s_waitcnt lgkmcnt(1)
	v_fma_f32 v12, -v21, v36, v12
	v_fma_f32 v12, -v23, v37, v12
	;; [unrolled: 1-line block ×4, first 2 shown]
	ds_read_b128 v[32:35], v16 offset:1840
	s_waitcnt lgkmcnt(1)
	v_fma_f32 v12, -v26, v40, v12
	ds_read_b32 v40, v16 offset:1856
	v_fma_f32 v12, -v27, v41, v12
	v_fma_f32 v12, -v28, v42, v12
	;; [unrolled: 1-line block ×3, first 2 shown]
	ds_read_b128 v[36:39], v16 offset:1904
	s_waitcnt lgkmcnt(2)
	v_fma_f32 v12, -v30, v32, v12
	v_fma_f32 v12, -v31, v33, v12
	;; [unrolled: 1-line block ×4, first 2 shown]
	ds_read_b128 v[32:35], v16 offset:1920
	s_waitcnt lgkmcnt(2)
	v_mul_f32_e32 v48, v40, v12
	s_waitcnt lgkmcnt(1)
	v_fma_f32 v12, -v17, v36, v13
	v_fma_f32 v12, -v18, v37, v12
	;; [unrolled: 1-line block ×4, first 2 shown]
	ds_read_b128 v[36:39], v16 offset:1936
	s_waitcnt lgkmcnt(1)
	v_fma_f32 v12, -v21, v32, v12
	v_fma_f32 v12, -v23, v33, v12
	;; [unrolled: 1-line block ×4, first 2 shown]
	ds_read_b128 v[32:35], v16 offset:1952
	s_waitcnt lgkmcnt(1)
	v_fma_f32 v12, -v26, v36, v12
	v_fma_f32 v12, -v27, v37, v12
	;; [unrolled: 1-line block ×4, first 2 shown]
	s_waitcnt lgkmcnt(0)
	v_fma_f32 v32, -v30, v32, v12
	ds_read_b64 v[12:13], v16 offset:1968
	ds_read_b128 v[36:39], v16 offset:2016
	v_fma_f32 v32, -v31, v33, v32
	v_fma_f32 v32, -v14, v34, v32
	;; [unrolled: 1-line block ×3, first 2 shown]
	s_waitcnt lgkmcnt(1)
	v_fma_f32 v12, -v48, v12, v32
	ds_read_b128 v[32:35], v16 offset:2032
	s_waitcnt lgkmcnt(1)
	v_fma_f32 v10, -v17, v36, v10
	v_fma_f32 v10, -v18, v37, v10
	v_fma_f32 v10, -v19, v38, v10
	v_fma_f32 v10, -v20, v39, v10
	ds_read_b128 v[36:39], v16 offset:2048
	s_waitcnt lgkmcnt(1)
	v_fma_f32 v10, -v21, v32, v10
	v_fma_f32 v10, -v23, v33, v10
	v_fma_f32 v10, -v24, v34, v10
	;; [unrolled: 6-line block ×3, first 2 shown]
	ds_read_b96 v[36:38], v16 offset:2080
	v_fma_f32 v10, -v29, v39, v10
	s_waitcnt lgkmcnt(1)
	v_fma_f32 v10, -v30, v32, v10
	v_fma_f32 v10, -v31, v33, v10
	;; [unrolled: 1-line block ×4, first 2 shown]
	ds_read_b128 v[32:35], v16 offset:2128
	v_mul_f32_e32 v49, v13, v12
	s_waitcnt lgkmcnt(1)
	v_fma_f32 v10, -v48, v36, v10
	v_fma_f32 v10, -v49, v37, v10
	ds_write2_b32 v44, v48, v49 offset0:208 offset1:236
	v_mul_f32_e32 v50, v38, v10
	s_waitcnt lgkmcnt(1)
	v_fma_f32 v10, -v17, v32, v11
	ds_read_b128 v[36:39], v16 offset:2144
	ds_read_b128 v[40:43], v16 offset:2160
	;; [unrolled: 1-line block ×3, first 2 shown]
	v_fma_f32 v10, -v18, v33, v10
	v_fma_f32 v10, -v19, v34, v10
	v_fma_f32 v10, -v20, v35, v10
	s_waitcnt lgkmcnt(2)
	v_fma_f32 v10, -v21, v36, v10
	v_fma_f32 v10, -v23, v37, v10
	v_fma_f32 v10, -v24, v38, v10
	v_fma_f32 v10, -v25, v39, v10
	s_waitcnt lgkmcnt(1)
	v_fma_f32 v10, -v26, v40, v10
	;; [unrolled: 5-line block ×3, first 2 shown]
	ds_read_b128 v[10:13], v16 offset:2192
	v_fma_f32 v32, -v31, v45, v32
	v_fma_f32 v32, -v14, v46, v32
	;; [unrolled: 1-line block ×3, first 2 shown]
	ds_read_b128 v[32:35], v16 offset:2240
	s_waitcnt lgkmcnt(1)
	v_fma_f32 v10, -v48, v10, v36
	v_fma_f32 v10, -v49, v11, v10
	;; [unrolled: 1-line block ×3, first 2 shown]
	v_mul_f32_e32 v40, v13, v10
	ds_read_b128 v[10:13], v16 offset:2256
	s_waitcnt lgkmcnt(1)
	v_fma_f32 v8, -v17, v32, v8
	v_fma_f32 v8, -v18, v33, v8
	v_fma_f32 v8, -v19, v34, v8
	v_fma_f32 v8, -v20, v35, v8
	ds_read_b128 v[32:35], v16 offset:2272
	s_waitcnt lgkmcnt(1)
	v_fma_f32 v8, -v21, v10, v8
	v_fma_f32 v8, -v23, v11, v8
	v_fma_f32 v8, -v24, v12, v8
	v_fma_f32 v8, -v25, v13, v8
	;; [unrolled: 6-line block ×3, first 2 shown]
	ds_read_b128 v[32:35], v16 offset:2304
	s_waitcnt lgkmcnt(1)
	v_fma_f32 v8, -v30, v10, v8
	v_fma_f32 v8, -v31, v11, v8
	;; [unrolled: 1-line block ×3, first 2 shown]
	ds_write2_b32 v22, v50, v40 offset0:8 offset1:36
	v_fma_f32 v8, -v15, v13, v8
	s_waitcnt lgkmcnt(1)
	v_fma_f32 v8, -v48, v32, v8
	ds_read_b32 v32, v16 offset:2320
	ds_read_b128 v[10:13], v16 offset:2352
	v_fma_f32 v8, -v49, v33, v8
	v_fma_f32 v8, -v50, v34, v8
	;; [unrolled: 1-line block ×3, first 2 shown]
	s_waitcnt lgkmcnt(1)
	v_mul_f32_e32 v41, v32, v8
	ds_read_b128 v[32:35], v16 offset:2368
	s_waitcnt lgkmcnt(1)
	v_fma_f32 v8, -v17, v10, v9
	v_fma_f32 v8, -v18, v11, v8
	v_fma_f32 v8, -v19, v12, v8
	v_fma_f32 v12, -v20, v13, v8
	ds_read_b128 v[8:11], v16 offset:2384
	s_waitcnt lgkmcnt(1)
	v_fma_f32 v12, -v21, v32, v12
	v_fma_f32 v12, -v23, v33, v12
	v_fma_f32 v12, -v24, v34, v12
	v_fma_f32 v12, -v25, v35, v12
	;; [unrolled: 6-line block ×4, first 2 shown]
	s_waitcnt lgkmcnt(0)
	v_fma_f32 v8, -v48, v8, v12
	ds_read_b64 v[12:13], v16 offset:2432
	v_fma_f32 v8, -v49, v9, v8
	v_fma_f32 v8, -v50, v10, v8
	;; [unrolled: 1-line block ×3, first 2 shown]
	ds_read_b128 v[8:11], v16 offset:2464
	s_waitcnt lgkmcnt(1)
	v_fma_f32 v12, -v41, v12, v32
	v_mul_f32_e32 v42, v13, v12
	ds_write2_b32 v22, v41, v42 offset0:64 offset1:92
	ds_read_b128 v[32:35], v16 offset:2480
	ds_read_b128 v[36:39], v16 offset:2496
	s_waitcnt lgkmcnt(3)
	v_fma_f32 v6, -v17, v8, v6
	v_fma_f32 v6, -v18, v9, v6
	v_fma_f32 v6, -v19, v10, v6
	v_fma_f32 v6, -v20, v11, v6
	s_waitcnt lgkmcnt(1)
	v_fma_f32 v6, -v21, v32, v6
	v_fma_f32 v6, -v23, v33, v6
	;; [unrolled: 1-line block ×4, first 2 shown]
	ds_read_b128 v[8:11], v16 offset:2512
	ds_read_b128 v[32:35], v16 offset:2528
	s_waitcnt lgkmcnt(2)
	v_fma_f32 v6, -v26, v36, v6
	v_fma_f32 v6, -v27, v37, v6
	;; [unrolled: 1-line block ×4, first 2 shown]
	s_waitcnt lgkmcnt(1)
	v_fma_f32 v6, -v30, v8, v6
	v_fma_f32 v6, -v31, v9, v6
	;; [unrolled: 1-line block ×4, first 2 shown]
	ds_read_b96 v[36:38], v16 offset:2544
	ds_read_b128 v[8:11], v16 offset:2576
	s_waitcnt lgkmcnt(2)
	v_fma_f32 v6, -v48, v32, v6
	v_fma_f32 v6, -v49, v33, v6
	;; [unrolled: 1-line block ×4, first 2 shown]
	s_waitcnt lgkmcnt(1)
	v_fma_f32 v6, -v41, v36, v6
	v_fma_f32 v6, -v42, v37, v6
	v_mul_f32_e32 v43, v38, v6
	ds_read_b128 v[32:35], v16 offset:2592
	ds_read_b128 v[36:39], v16 offset:2608
	s_waitcnt lgkmcnt(2)
	v_fma_f32 v6, -v17, v8, v7
	v_fma_f32 v6, -v18, v9, v6
	v_fma_f32 v6, -v19, v10, v6
	v_fma_f32 v6, -v20, v11, v6
	s_waitcnt lgkmcnt(1)
	v_fma_f32 v6, -v21, v32, v6
	v_fma_f32 v6, -v23, v33, v6
	;; [unrolled: 1-line block ×4, first 2 shown]
	s_waitcnt lgkmcnt(0)
	v_fma_f32 v10, -v26, v36, v6
	ds_read_b128 v[6:9], v16 offset:2624
	v_fma_f32 v10, -v27, v37, v10
	v_fma_f32 v10, -v28, v38, v10
	;; [unrolled: 1-line block ×3, first 2 shown]
	ds_read_b128 v[10:13], v16 offset:2640
	s_waitcnt lgkmcnt(1)
	v_fma_f32 v6, -v30, v6, v32
	v_fma_f32 v6, -v31, v7, v6
	v_fma_f32 v6, -v14, v8, v6
	v_fma_f32 v6, -v15, v9, v6
	s_waitcnt lgkmcnt(0)
	v_fma_f32 v10, -v48, v10, v6
	ds_read_b128 v[6:9], v16 offset:2656
	v_fma_f32 v10, -v49, v11, v10
	v_fma_f32 v10, -v50, v12, v10
	v_fma_f32 v32, -v40, v13, v10
	ds_read_b128 v[10:13], v16 offset:2688
	s_waitcnt lgkmcnt(1)
	v_fma_f32 v6, -v41, v6, v32
	v_fma_f32 v6, -v42, v7, v6
	;; [unrolled: 1-line block ×3, first 2 shown]
	v_mul_f32_e32 v44, v9, v6
	ds_write2_b32 v22, v43, v44 offset0:120 offset1:148
	ds_read_b128 v[6:9], v16 offset:2704
	ds_read_b128 v[32:35], v16 offset:2720
	s_waitcnt lgkmcnt(3)
	v_fma_f32 v4, -v17, v10, v4
	v_fma_f32 v4, -v18, v11, v4
	;; [unrolled: 1-line block ×4, first 2 shown]
	s_waitcnt lgkmcnt(1)
	v_fma_f32 v4, -v21, v6, v4
	v_fma_f32 v4, -v23, v7, v4
	v_fma_f32 v4, -v24, v8, v4
	v_fma_f32 v4, -v25, v9, v4
	ds_read_b128 v[6:9], v16 offset:2736
	ds_read_b128 v[10:13], v16 offset:2752
	s_waitcnt lgkmcnt(2)
	v_fma_f32 v4, -v26, v32, v4
	v_fma_f32 v4, -v27, v33, v4
	;; [unrolled: 1-line block ×4, first 2 shown]
	s_waitcnt lgkmcnt(1)
	v_fma_f32 v4, -v30, v6, v4
	v_fma_f32 v4, -v31, v7, v4
	;; [unrolled: 1-line block ×4, first 2 shown]
	ds_read_b128 v[6:9], v16 offset:2768
	s_waitcnt lgkmcnt(1)
	v_fma_f32 v4, -v48, v10, v4
	ds_read_b32 v10, v16 offset:2784
	v_fma_f32 v4, -v49, v11, v4
	v_fma_f32 v4, -v50, v12, v4
	v_fma_f32 v4, -v40, v13, v4
	s_waitcnt lgkmcnt(1)
	v_fma_f32 v4, -v41, v6, v4
	v_fma_f32 v4, -v42, v7, v4
	;; [unrolled: 1-line block ×4, first 2 shown]
	ds_read_b128 v[6:9], v16 offset:2800
	s_waitcnt lgkmcnt(1)
	v_mul_f32_e32 v45, v10, v4
	ds_read_b128 v[10:13], v16 offset:2816
	ds_read_b128 v[32:35], v16 offset:2832
	;; [unrolled: 1-line block ×3, first 2 shown]
	s_waitcnt lgkmcnt(3)
	v_fma_f32 v4, -v17, v6, v5
	v_fma_f32 v4, -v18, v7, v4
	v_fma_f32 v4, -v19, v8, v4
	v_fma_f32 v4, -v20, v9, v4
	s_waitcnt lgkmcnt(2)
	v_fma_f32 v4, -v21, v10, v4
	v_fma_f32 v4, -v23, v11, v4
	v_fma_f32 v4, -v24, v12, v4
	v_fma_f32 v4, -v25, v13, v4
	;; [unrolled: 5-line block ×3, first 2 shown]
	s_waitcnt lgkmcnt(0)
	v_fma_f32 v8, -v30, v36, v4
	ds_read_b128 v[4:7], v16 offset:2864
	v_fma_f32 v8, -v31, v37, v8
	v_fma_f32 v8, -v14, v38, v8
	;; [unrolled: 1-line block ×3, first 2 shown]
	ds_read_b128 v[8:11], v16 offset:2880
	s_waitcnt lgkmcnt(1)
	v_fma_f32 v4, -v48, v4, v12
	v_fma_f32 v4, -v49, v5, v4
	;; [unrolled: 1-line block ×4, first 2 shown]
	s_waitcnt lgkmcnt(0)
	v_fma_f32 v4, -v41, v8, v4
	ds_read_b64 v[12:13], v16 offset:2896
	v_fma_f32 v4, -v42, v9, v4
	v_fma_f32 v4, -v43, v10, v4
	;; [unrolled: 1-line block ×3, first 2 shown]
	ds_read_b128 v[4:7], v16 offset:2912
	s_waitcnt lgkmcnt(1)
	v_fma_f32 v8, -v45, v12, v8
	v_mul_f32_e32 v12, v13, v8
	ds_write2_b32 v22, v45, v12 offset0:176 offset1:204
	ds_read_b128 v[8:11], v16 offset:2928
	ds_read_b128 v[32:35], v16 offset:2944
	s_waitcnt lgkmcnt(3)
	v_fma_f32 v2, -v17, v4, v2
	v_fma_f32 v2, -v18, v5, v2
	;; [unrolled: 1-line block ×4, first 2 shown]
	s_waitcnt lgkmcnt(1)
	v_fma_f32 v2, -v21, v8, v2
	v_fma_f32 v2, -v23, v9, v2
	;; [unrolled: 1-line block ×4, first 2 shown]
	ds_read_b128 v[4:7], v16 offset:2960
	ds_read_b128 v[8:11], v16 offset:2976
	s_waitcnt lgkmcnt(2)
	v_fma_f32 v2, -v26, v32, v2
	v_fma_f32 v2, -v27, v33, v2
	;; [unrolled: 1-line block ×4, first 2 shown]
	s_waitcnt lgkmcnt(1)
	v_fma_f32 v2, -v30, v4, v2
	v_fma_f32 v2, -v31, v5, v2
	;; [unrolled: 1-line block ×4, first 2 shown]
	ds_read_b128 v[4:7], v16 offset:2992
	s_waitcnt lgkmcnt(1)
	v_fma_f32 v2, -v48, v8, v2
	v_fma_f32 v2, -v49, v9, v2
	;; [unrolled: 1-line block ×3, first 2 shown]
	ds_read_b96 v[8:10], v16 offset:3008
	v_fma_f32 v2, -v40, v11, v2
	s_waitcnt lgkmcnt(1)
	v_fma_f32 v2, -v41, v4, v2
	v_fma_f32 v2, -v42, v5, v2
	;; [unrolled: 1-line block ×4, first 2 shown]
	ds_read_b128 v[4:7], v16 offset:3024
	s_waitcnt lgkmcnt(1)
	v_fma_f32 v2, -v45, v8, v2
	v_fma_f32 v2, -v12, v9, v2
	v_mul_f32_e32 v13, v10, v2
	ds_read_b128 v[8:11], v16 offset:3040
	ds_read_b128 v[32:35], v16 offset:3056
	ds_read_b128 v[36:39], v16 offset:3072
	s_waitcnt lgkmcnt(3)
	v_fma_f32 v2, -v17, v4, v3
	v_fma_f32 v2, -v18, v5, v2
	v_fma_f32 v2, -v19, v6, v2
	v_fma_f32 v2, -v20, v7, v2
	s_waitcnt lgkmcnt(2)
	v_fma_f32 v2, -v21, v8, v2
	v_fma_f32 v2, -v23, v9, v2
	v_fma_f32 v2, -v24, v10, v2
	v_fma_f32 v2, -v25, v11, v2
	;; [unrolled: 5-line block ×3, first 2 shown]
	s_waitcnt lgkmcnt(0)
	v_fma_f32 v6, -v30, v36, v2
	ds_read_b128 v[2:5], v16 offset:3088
	v_fma_f32 v6, -v31, v37, v6
	v_fma_f32 v6, -v14, v38, v6
	;; [unrolled: 1-line block ×3, first 2 shown]
	ds_read_b128 v[6:9], v16 offset:3104
	s_waitcnt lgkmcnt(1)
	v_fma_f32 v2, -v48, v2, v10
	v_fma_f32 v2, -v49, v3, v2
	;; [unrolled: 1-line block ×4, first 2 shown]
	ds_read_b128 v[2:5], v16 offset:3120
	s_waitcnt lgkmcnt(1)
	v_fma_f32 v6, -v41, v6, v10
	v_fma_f32 v6, -v42, v7, v6
	;; [unrolled: 1-line block ×4, first 2 shown]
	s_waitcnt lgkmcnt(0)
	v_fma_f32 v2, -v45, v2, v6
	v_fma_f32 v2, -v12, v3, v2
	v_fma_f32 v2, -v13, v4, v2
	v_mul_f32_e32 v2, v5, v2
	ds_write2_b32 v1, v13, v2 offset0:104 offset1:132
.LBB31_30:
	s_cmp_lt_i32 s6, s26
	s_cbranch_scc0 .LBB31_47
; %bb.31:
	s_add_i32 s14, s6, 23
	s_cmp_ge_u32 s14, s26
	s_cbranch_scc1 .LBB31_36
; %bb.32:
	s_mul_i32 s15, s6, 28
	v_add_lshl_u32 v2, s15, v0, 2
	v_add_u32_e32 v1, 0xc00, v2
	ds_read2_b32 v[4:5], v1 offset0:16 offset1:44
	ds_read2_b32 v[24:25], v1 offset0:72 offset1:100
	;; [unrolled: 1-line block ×4, first 2 shown]
	v_add_u32_e32 v1, 0xe00, v2
	ds_read2_b32 v[18:19], v1 offset0:112 offset1:140
	v_add_u32_e32 v1, 0x1000, v2
	ds_read2_b32 v[16:17], v1 offset0:40 offset1:68
	ds_read2_b32 v[14:15], v1 offset0:96 offset1:124
	ds_read2_b32 v[12:13], v1 offset0:152 offset1:180
	ds_read2_b32 v[10:11], v1 offset0:208 offset1:236
	v_add_u32_e32 v1, 0x1400, v2
	s_add_i32 s18, s15, 0x284
	ds_read2_b32 v[8:9], v1 offset0:8 offset1:36
	ds_read2_b32 v[6:7], v1 offset0:64 offset1:92
	v_add_lshl_u32 v1, s18, v0, 2
	ds_read_b32 v30, v2 offset:5600
	ds_read_b32 v1, v1 offset:3136
	s_andn2_b64 vcc, exec, s[8:9]
	s_cbranch_vccnz .LBB31_35
; %bb.33:
	v_mov_b32_e32 v3, 0xc40
	s_mul_i32 s8, s6, 0x70
	v_lshl_add_u32 v3, v0, 2, v3
	s_mov_b32 s9, 0
.LBB31_34:                              ; =>This Inner Loop Header: Depth=1
	v_mov_b32_e32 v38, s8
	v_add_u32_e32 v44, 0x400, v38
	v_add_u32_e32 v46, 0x600, v38
	;; [unrolled: 1-line block ×3, first 2 shown]
	ds_read_b32 v31, v3
	ds_read2_b32 v[26:27], v38 offset1:28
	ds_read2_b32 v[28:29], v38 offset0:56 offset1:84
	ds_read2_b32 v[32:33], v38 offset0:112 offset1:140
	;; [unrolled: 1-line block ×11, first 2 shown]
	s_add_i32 s9, s9, 1
	s_add_i32 s8, s8, 4
	v_add_u32_e32 v3, 0x70, v3
	s_cmp_lt_u32 s9, s6
	s_waitcnt lgkmcnt(11)
	v_fma_f32 v4, -v31, v26, v4
	v_fma_f32 v5, -v31, v27, v5
	s_waitcnt lgkmcnt(10)
	v_fma_f32 v24, -v31, v28, v24
	v_fma_f32 v25, -v31, v29, v25
	s_waitcnt lgkmcnt(9)
	v_fma_f32 v22, -v31, v32, v22
	v_fma_f32 v23, -v31, v33, v23
	s_waitcnt lgkmcnt(8)
	v_fma_f32 v20, -v31, v34, v20
	v_fma_f32 v21, -v31, v35, v21
	s_waitcnt lgkmcnt(7)
	v_fma_f32 v18, -v31, v36, v18
	v_fma_f32 v19, -v31, v37, v19
	s_waitcnt lgkmcnt(6)
	v_fma_f32 v16, -v31, v38, v16
	v_fma_f32 v17, -v31, v39, v17
	s_waitcnt lgkmcnt(5)
	v_fma_f32 v14, -v31, v40, v14
	v_fma_f32 v15, -v31, v41, v15
	s_waitcnt lgkmcnt(4)
	v_fma_f32 v12, -v31, v42, v12
	v_fma_f32 v13, -v31, v43, v13
	s_waitcnt lgkmcnt(3)
	v_fma_f32 v10, -v31, v44, v10
	v_fma_f32 v11, -v31, v45, v11
	s_waitcnt lgkmcnt(2)
	v_fma_f32 v8, -v31, v46, v8
	v_fma_f32 v9, -v31, v47, v9
	s_waitcnt lgkmcnt(1)
	v_fma_f32 v6, -v31, v48, v6
	v_fma_f32 v7, -v31, v49, v7
	s_waitcnt lgkmcnt(0)
	v_fma_f32 v30, -v31, v50, v30
	v_fma_f32 v1, -v31, v51, v1
	s_cbranch_scc1 .LBB31_34
.LBB31_35:
	s_mul_i32 s8, s6, 0x74
	v_mov_b32_e32 v31, s8
	ds_read2_b32 v[26:27], v31 offset1:116
	s_add_i32 s9, s15, 28
	s_add_i32 s18, s9, s6
	v_add_u32_e32 v2, 0xc40, v2
	s_lshl_b32 s18, s18, 2
	s_waitcnt lgkmcnt(0)
	v_mul_f32_e32 v26, v26, v4
	ds_write_b32 v2, v26
	v_mov_b32_e32 v2, s18
	s_add_i32 s18, s15, 56
	s_add_i32 s19, s18, s6
	ds_read_b64 v[28:29], v2
	s_lshl_b32 s19, s19, 2
	v_mov_b32_e32 v2, s19
	ds_read_b96 v[2:4], v2
	ds_read_b32 v36, v31 offset:2320
	s_add_i32 s8, s6, 24
	s_waitcnt lgkmcnt(2)
	v_fma_f32 v5, -v26, v28, v5
	v_mul_f32_e32 v37, v29, v5
	s_waitcnt lgkmcnt(1)
	v_fma_f32 v2, -v26, v2, v24
	v_add_lshl_u32 v5, s9, v0, 2
	v_fma_f32 v2, -v37, v3, v2
	s_add_i32 s9, s15, 0x54
	v_mul_f32_e32 v38, v4, v2
	v_add_lshl_u32 v2, s18, v0, 2
	s_add_i32 s18, s9, s6
	s_lshl_b32 s18, s18, 2
	ds_write_b32 v2, v38 offset:3136
	v_mov_b32_e32 v2, s18
	ds_write_b32 v5, v37 offset:3136
	s_add_i32 s18, s15, 0x70
	ds_read_b128 v[2:5], v2
	s_add_i32 s19, s18, s6
	s_lshl_b32 s19, s19, 2
	v_mov_b32_e32 v24, s19
	ds_read_b128 v[32:35], v24
	s_waitcnt lgkmcnt(1)
	v_fma_f32 v2, -v26, v2, v25
	v_fma_f32 v2, -v37, v3, v2
	v_fma_f32 v2, -v38, v4, v2
	v_mul_f32_e32 v39, v5, v2
	v_add_lshl_u32 v2, s9, v0, 2
	s_add_i32 s9, s15, 0x8c
	ds_write_b32 v2, v39 offset:3136
	s_waitcnt lgkmcnt(1)
	v_fma_f32 v2, -v26, v32, v22
	s_add_i32 s19, s9, s6
	v_fma_f32 v2, -v37, v33, v2
	s_lshl_b32 s19, s19, 2
	v_fma_f32 v2, -v38, v34, v2
	v_mov_b32_e32 v24, s19
	v_fma_f32 v22, -v39, v35, v2
	ds_read_b128 v[2:5], v24
	ds_read_b64 v[24:25], v24 offset:16
	v_mul_f32_e32 v27, v27, v22
	v_add_lshl_u32 v22, s18, v0, 2
	s_add_i32 s18, s15, 0xa8
	s_waitcnt lgkmcnt(1)
	v_fma_f32 v2, -v26, v2, v23
	v_fma_f32 v2, -v37, v3, v2
	s_add_i32 s19, s18, s6
	v_fma_f32 v2, -v38, v4, v2
	s_lshl_b32 s19, s19, 2
	v_fma_f32 v2, -v39, v5, v2
	v_mov_b32_e32 v23, s19
	ds_write_b32 v22, v27 offset:3136
	s_waitcnt lgkmcnt(1)
	v_fma_f32 v22, -v27, v24, v2
	ds_read_b128 v[2:5], v23
	v_mul_f32_e32 v32, v25, v22
	v_add_lshl_u32 v22, s9, v0, 2
	ds_write_b32 v22, v32 offset:3136
	ds_read_b64 v[22:23], v23 offset:16
	s_waitcnt lgkmcnt(2)
	v_fma_f32 v2, -v26, v2, v20
	v_fma_f32 v2, -v37, v3, v2
	s_add_i32 s9, s15, 0xc4
	v_fma_f32 v2, -v38, v4, v2
	s_add_i32 s19, s9, s6
	v_fma_f32 v2, -v39, v5, v2
	s_lshl_b32 s19, s19, 2
	s_waitcnt lgkmcnt(0)
	v_fma_f32 v2, -v27, v22, v2
	ds_read2_b32 v[24:25], v31 offset0:174 offset1:203
	v_mov_b32_e32 v22, s19
	v_fma_f32 v20, -v32, v23, v2
	ds_read_b128 v[2:5], v22
	s_waitcnt lgkmcnt(1)
	v_mul_f32_e32 v33, v24, v20
	ds_read_b96 v[22:24], v22 offset:16
	v_add_lshl_u32 v20, s18, v0, 2
	s_waitcnt lgkmcnt(1)
	v_fma_f32 v2, -v26, v2, v21
	v_fma_f32 v2, -v37, v3, v2
	;; [unrolled: 1-line block ×3, first 2 shown]
	s_add_i32 s18, s15, 0xe0
	v_fma_f32 v2, -v39, v5, v2
	s_add_i32 s19, s18, s6
	s_waitcnt lgkmcnt(0)
	v_fma_f32 v2, -v27, v22, v2
	s_lshl_b32 s19, s19, 2
	v_fma_f32 v2, -v32, v23, v2
	v_mov_b32_e32 v21, s19
	ds_write_b32 v20, v33 offset:3136
	v_fma_f32 v20, -v33, v24, v2
	ds_read_b128 v[2:5], v21
	v_mul_f32_e32 v34, v25, v20
	v_add_lshl_u32 v20, s9, v0, 2
	ds_write_b32 v20, v34 offset:3136
	ds_read_b128 v[20:23], v21 offset:16
	s_waitcnt lgkmcnt(2)
	v_fma_f32 v2, -v26, v2, v18
	v_fma_f32 v2, -v37, v3, v2
	;; [unrolled: 1-line block ×4, first 2 shown]
	s_waitcnt lgkmcnt(0)
	v_fma_f32 v2, -v27, v20, v2
	s_add_i32 s9, s15, 0xfc
	v_fma_f32 v2, -v32, v21, v2
	s_add_i32 s19, s9, s6
	v_fma_f32 v2, -v33, v22, v2
	s_lshl_b32 s19, s19, 2
	v_fma_f32 v18, -v34, v23, v2
	v_add_u32_e32 v2, 0x200, v31
	v_mov_b32_e32 v28, s19
	ds_read2_b32 v[24:25], v2 offset0:104 offset1:133
	ds_read_b128 v[2:5], v28
	ds_read_b128 v[20:23], v28 offset:16
	s_waitcnt lgkmcnt(2)
	v_mul_f32_e32 v35, v24, v18
	s_waitcnt lgkmcnt(1)
	v_fma_f32 v2, -v26, v2, v19
	v_fma_f32 v2, -v37, v3, v2
	;; [unrolled: 1-line block ×3, first 2 shown]
	v_add_lshl_u32 v18, s18, v0, 2
	v_fma_f32 v2, -v39, v5, v2
	s_add_i32 s18, s15, 0x118
	s_waitcnt lgkmcnt(0)
	v_fma_f32 v2, -v27, v20, v2
	ds_read_b32 v19, v28 offset:32
	s_add_i32 s19, s18, s6
	v_fma_f32 v2, -v32, v21, v2
	s_lshl_b32 s19, s19, 2
	v_fma_f32 v2, -v33, v22, v2
	v_mov_b32_e32 v22, s19
	ds_write_b32 v18, v35 offset:3136
	v_fma_f32 v18, -v34, v23, v2
	ds_read_b128 v[2:5], v22
	s_waitcnt lgkmcnt(2)
	v_fma_f32 v18, -v35, v19, v18
	v_mul_f32_e32 v40, v25, v18
	v_add_lshl_u32 v18, s9, v0, 2
	ds_write_b32 v18, v40 offset:3136
	ds_read_b128 v[18:21], v22 offset:16
	ds_read_b64 v[22:23], v22 offset:32
	s_waitcnt lgkmcnt(3)
	v_fma_f32 v2, -v26, v2, v16
	v_fma_f32 v2, -v37, v3, v2
	;; [unrolled: 1-line block ×4, first 2 shown]
	s_waitcnt lgkmcnt(1)
	v_fma_f32 v2, -v27, v18, v2
	v_fma_f32 v2, -v32, v19, v2
	s_add_i32 s9, s15, 0x134
	v_fma_f32 v2, -v33, v20, v2
	s_add_i32 s19, s9, s6
	v_fma_f32 v2, -v34, v21, v2
	s_lshl_b32 s19, s19, 2
	s_waitcnt lgkmcnt(0)
	v_fma_f32 v2, -v35, v22, v2
	v_mov_b32_e32 v25, s19
	v_fma_f32 v16, -v40, v23, v2
	ds_read_b128 v[2:5], v25
	ds_read_b128 v[18:21], v25 offset:16
	v_add_u32_e32 v24, 0x400, v31
	ds_read2_b32 v[22:23], v24 offset0:34 offset1:63
	s_waitcnt lgkmcnt(2)
	v_fma_f32 v2, -v26, v2, v17
	v_fma_f32 v2, -v37, v3, v2
	;; [unrolled: 1-line block ×3, first 2 shown]
	s_waitcnt lgkmcnt(0)
	v_mul_f32_e32 v31, v22, v16
	v_add_lshl_u32 v16, s18, v0, 2
	v_fma_f32 v2, -v39, v5, v2
	ds_write_b32 v16, v31 offset:3136
	v_fma_f32 v2, -v27, v18, v2
	ds_read_b96 v[16:18], v25 offset:32
	s_add_i32 s18, s15, 0x150
	v_fma_f32 v2, -v32, v19, v2
	s_add_i32 s19, s18, s6
	v_fma_f32 v2, -v33, v20, v2
	s_lshl_b32 s19, s19, 2
	v_fma_f32 v19, -v34, v21, v2
	v_mov_b32_e32 v20, s19
	ds_read_b128 v[2:5], v20
	s_waitcnt lgkmcnt(1)
	v_fma_f32 v16, -v35, v16, v19
	v_fma_f32 v16, -v40, v17, v16
	;; [unrolled: 1-line block ×3, first 2 shown]
	v_mul_f32_e32 v41, v23, v16
	v_add_lshl_u32 v16, s9, v0, 2
	ds_write_b32 v16, v41 offset:3136
	ds_read_b128 v[16:19], v20 offset:16
	ds_read_b128 v[20:23], v20 offset:32
	s_waitcnt lgkmcnt(3)
	v_fma_f32 v2, -v26, v2, v14
	v_fma_f32 v2, -v37, v3, v2
	;; [unrolled: 1-line block ×4, first 2 shown]
	s_waitcnt lgkmcnt(1)
	v_fma_f32 v2, -v27, v16, v2
	v_fma_f32 v2, -v32, v17, v2
	;; [unrolled: 1-line block ×4, first 2 shown]
	ds_read2_b32 v[28:29], v24 offset0:92 offset1:208
	s_waitcnt lgkmcnt(1)
	v_fma_f32 v2, -v35, v20, v2
	s_add_i32 s9, s15, 0x16c
	v_fma_f32 v2, -v40, v21, v2
	v_add_lshl_u32 v14, s18, v0, 2
	s_add_i32 s18, s9, s6
	v_fma_f32 v2, -v31, v22, v2
	s_lshl_b32 s18, s18, 2
	v_fma_f32 v2, -v41, v23, v2
	v_mov_b32_e32 v24, s18
	s_waitcnt lgkmcnt(0)
	v_mul_f32_e32 v28, v28, v2
	ds_read_b128 v[2:5], v24
	ds_write_b32 v14, v28 offset:3136
	ds_read_b128 v[16:19], v24 offset:16
	ds_read_b128 v[20:23], v24 offset:32
	ds_read_b64 v[24:25], v24 offset:48
	v_add_lshl_u32 v14, s9, v0, 2
	s_add_i32 s9, s15, 0x188
	s_waitcnt lgkmcnt(4)
	v_fma_f32 v2, -v26, v2, v15
	v_fma_f32 v2, -v37, v3, v2
	;; [unrolled: 1-line block ×4, first 2 shown]
	s_waitcnt lgkmcnt(2)
	v_fma_f32 v2, -v27, v16, v2
	v_fma_f32 v2, -v32, v17, v2
	;; [unrolled: 1-line block ×4, first 2 shown]
	s_waitcnt lgkmcnt(1)
	v_fma_f32 v2, -v35, v20, v2
	v_fma_f32 v2, -v40, v21, v2
	;; [unrolled: 1-line block ×3, first 2 shown]
	s_add_i32 s18, s9, s6
	v_fma_f32 v2, -v41, v23, v2
	s_lshl_b32 s18, s18, 2
	s_waitcnt lgkmcnt(0)
	v_fma_f32 v2, -v28, v24, v2
	v_mov_b32_e32 v22, s18
	v_mul_f32_e32 v42, v25, v2
	ds_read_b128 v[2:5], v22
	ds_write_b32 v14, v42 offset:3136
	ds_read_b128 v[14:17], v22 offset:16
	ds_read_b128 v[18:21], v22 offset:32
	ds_read_b96 v[22:24], v22 offset:48
	s_waitcnt lgkmcnt(4)
	v_fma_f32 v2, -v26, v2, v12
	v_fma_f32 v2, -v37, v3, v2
	;; [unrolled: 1-line block ×4, first 2 shown]
	s_waitcnt lgkmcnt(2)
	v_fma_f32 v2, -v27, v14, v2
	v_fma_f32 v2, -v32, v15, v2
	;; [unrolled: 1-line block ×4, first 2 shown]
	s_waitcnt lgkmcnt(1)
	v_fma_f32 v2, -v35, v18, v2
	v_fma_f32 v2, -v40, v19, v2
	;; [unrolled: 1-line block ×3, first 2 shown]
	v_add_lshl_u32 v12, s9, v0, 2
	s_add_i32 s9, s15, 0x1a4
	v_fma_f32 v2, -v41, v21, v2
	s_add_i32 s18, s9, s6
	s_waitcnt lgkmcnt(0)
	v_fma_f32 v2, -v28, v22, v2
	s_lshl_b32 s18, s18, 2
	v_fma_f32 v2, -v42, v23, v2
	v_mov_b32_e32 v22, s18
	v_mul_f32_e32 v43, v24, v2
	ds_read_b128 v[2:5], v22
	ds_write_b32 v12, v43 offset:3136
	ds_read_b128 v[14:17], v22 offset:16
	ds_read_b128 v[18:21], v22 offset:32
	;; [unrolled: 1-line block ×3, first 2 shown]
	v_add_lshl_u32 v12, s9, v0, 2
	s_add_i32 s9, s15, 0x1c0
	s_waitcnt lgkmcnt(4)
	v_fma_f32 v2, -v26, v2, v13
	v_fma_f32 v2, -v37, v3, v2
	v_fma_f32 v2, -v38, v4, v2
	v_fma_f32 v2, -v39, v5, v2
	s_waitcnt lgkmcnt(2)
	v_fma_f32 v2, -v27, v14, v2
	v_fma_f32 v2, -v32, v15, v2
	v_fma_f32 v2, -v33, v16, v2
	v_fma_f32 v2, -v34, v17, v2
	;; [unrolled: 5-line block ×3, first 2 shown]
	s_waitcnt lgkmcnt(0)
	v_fma_f32 v2, -v28, v22, v2
	s_add_i32 s18, s9, s6
	v_fma_f32 v2, -v42, v23, v2
	s_lshl_b32 s18, s18, 2
	v_fma_f32 v2, -v43, v24, v2
	v_mov_b32_e32 v20, s18
	v_mul_f32_e32 v24, v25, v2
	ds_read_b128 v[2:5], v20
	ds_write_b32 v12, v24 offset:3136
	ds_read_b128 v[12:15], v20 offset:16
	ds_read_b128 v[16:19], v20 offset:32
	;; [unrolled: 1-line block ×3, first 2 shown]
	s_waitcnt lgkmcnt(4)
	v_fma_f32 v2, -v26, v2, v10
	v_fma_f32 v2, -v37, v3, v2
	v_fma_f32 v2, -v38, v4, v2
	v_fma_f32 v2, -v39, v5, v2
	s_waitcnt lgkmcnt(2)
	v_fma_f32 v2, -v27, v12, v2
	v_fma_f32 v2, -v32, v13, v2
	v_fma_f32 v2, -v33, v14, v2
	v_fma_f32 v2, -v34, v15, v2
	;; [unrolled: 5-line block ×3, first 2 shown]
	s_waitcnt lgkmcnt(0)
	v_fma_f32 v2, -v28, v20, v2
	v_fma_f32 v2, -v42, v21, v2
	v_add_lshl_u32 v10, s9, v0, 2
	s_add_i32 s9, s15, 0x1dc
	v_fma_f32 v2, -v43, v22, v2
	s_add_i32 s18, s9, s6
	v_fma_f32 v2, -v24, v23, v2
	s_lshl_b32 s18, s18, 2
	v_mul_f32_e32 v25, v29, v2
	v_mov_b32_e32 v29, s18
	ds_read_b128 v[2:5], v29
	ds_write_b32 v10, v25 offset:3136
	ds_read_b128 v[12:15], v29 offset:16
	ds_read_b128 v[16:19], v29 offset:32
	;; [unrolled: 1-line block ×3, first 2 shown]
	s_add_i32 s18, s15, 0x1f8
	s_add_i32 s19, s18, s6
	s_waitcnt lgkmcnt(4)
	v_fma_f32 v2, -v26, v2, v11
	v_fma_f32 v2, -v37, v3, v2
	v_fma_f32 v2, -v38, v4, v2
	v_fma_f32 v2, -v39, v5, v2
	s_waitcnt lgkmcnt(2)
	v_fma_f32 v2, -v27, v12, v2
	v_fma_f32 v2, -v32, v13, v2
	v_fma_f32 v2, -v33, v14, v2
	v_fma_f32 v2, -v34, v15, v2
	s_waitcnt lgkmcnt(1)
	v_fma_f32 v2, -v35, v16, v2
	v_fma_f32 v2, -v40, v17, v2
	v_fma_f32 v2, -v31, v18, v2
	v_fma_f32 v2, -v41, v19, v2
	s_waitcnt lgkmcnt(0)
	v_fma_f32 v2, -v28, v20, v2
	ds_read_b64 v[10:11], v29 offset:64
	v_fma_f32 v2, -v42, v21, v2
	s_lshl_b32 s19, s19, 2
	v_fma_f32 v2, -v43, v22, v2
	v_mov_b32_e32 v18, s19
	v_fma_f32 v12, -v24, v23, v2
	ds_read_b128 v[2:5], v18
	s_waitcnt lgkmcnt(1)
	v_fma_f32 v10, -v25, v10, v12
	v_mul_f32_e32 v22, v11, v10
	v_add_lshl_u32 v10, s9, v0, 2
	ds_write_b32 v10, v22 offset:3136
	ds_read_b128 v[10:13], v18 offset:16
	ds_read_b128 v[14:17], v18 offset:32
	s_waitcnt lgkmcnt(3)
	v_fma_f32 v2, -v26, v2, v8
	v_fma_f32 v2, -v37, v3, v2
	v_fma_f32 v2, -v38, v4, v2
	v_fma_f32 v2, -v39, v5, v2
	s_waitcnt lgkmcnt(1)
	v_fma_f32 v2, -v27, v10, v2
	v_fma_f32 v2, -v32, v11, v2
	v_fma_f32 v2, -v33, v12, v2
	v_fma_f32 v2, -v34, v13, v2
	s_waitcnt lgkmcnt(0)
	v_fma_f32 v8, -v35, v14, v2
	ds_read_b128 v[2:5], v18 offset:48
	ds_read_b96 v[10:12], v18 offset:64
	v_fma_f32 v8, -v40, v15, v8
	v_fma_f32 v8, -v31, v16, v8
	;; [unrolled: 1-line block ×3, first 2 shown]
	s_waitcnt lgkmcnt(1)
	v_fma_f32 v2, -v28, v2, v8
	v_fma_f32 v2, -v42, v3, v2
	;; [unrolled: 1-line block ×3, first 2 shown]
	s_add_i32 s9, s15, 0x214
	v_fma_f32 v2, -v24, v5, v2
	v_add_lshl_u32 v8, s18, v0, 2
	s_add_i32 s18, s9, s6
	s_waitcnt lgkmcnt(0)
	v_fma_f32 v2, -v25, v10, v2
	s_lshl_b32 s18, s18, 2
	v_fma_f32 v2, -v22, v11, v2
	v_mov_b32_e32 v29, s18
	v_mul_f32_e32 v23, v12, v2
	ds_read_b128 v[2:5], v29
	ds_write_b32 v8, v23 offset:3136
	ds_read_b128 v[10:13], v29 offset:16
	ds_read_b128 v[14:17], v29 offset:32
	;; [unrolled: 1-line block ×3, first 2 shown]
	s_add_i32 s18, s15, 0x230
	s_add_i32 s19, s18, s6
	s_waitcnt lgkmcnt(4)
	v_fma_f32 v2, -v26, v2, v9
	v_fma_f32 v2, -v37, v3, v2
	v_fma_f32 v2, -v38, v4, v2
	v_fma_f32 v2, -v39, v5, v2
	s_waitcnt lgkmcnt(2)
	v_fma_f32 v2, -v27, v10, v2
	v_fma_f32 v2, -v32, v11, v2
	v_fma_f32 v2, -v33, v12, v2
	v_fma_f32 v2, -v34, v13, v2
	s_waitcnt lgkmcnt(1)
	v_fma_f32 v2, -v35, v14, v2
	v_fma_f32 v2, -v40, v15, v2
	v_fma_f32 v2, -v31, v16, v2
	v_fma_f32 v2, -v41, v17, v2
	s_waitcnt lgkmcnt(0)
	v_fma_f32 v2, -v28, v18, v2
	v_fma_f32 v2, -v42, v19, v2
	v_fma_f32 v2, -v43, v20, v2
	v_fma_f32 v12, -v24, v21, v2
	ds_read_b128 v[2:5], v29 offset:64
	s_lshl_b32 s19, s19, 2
	v_mov_b32_e32 v16, s19
	ds_read_b128 v[8:11], v16
	s_waitcnt lgkmcnt(1)
	v_fma_f32 v2, -v25, v2, v12
	v_fma_f32 v2, -v22, v3, v2
	;; [unrolled: 1-line block ×3, first 2 shown]
	v_mul_f32_e32 v20, v5, v2
	v_add_lshl_u32 v2, s9, v0, 2
	ds_write_b32 v2, v20 offset:3136
	ds_read_b128 v[2:5], v16 offset:16
	ds_read_b128 v[12:15], v16 offset:32
	s_waitcnt lgkmcnt(3)
	v_fma_f32 v6, -v26, v8, v6
	v_fma_f32 v6, -v37, v9, v6
	;; [unrolled: 1-line block ×4, first 2 shown]
	s_waitcnt lgkmcnt(1)
	v_fma_f32 v2, -v27, v2, v6
	v_fma_f32 v2, -v32, v3, v2
	;; [unrolled: 1-line block ×4, first 2 shown]
	s_waitcnt lgkmcnt(0)
	v_fma_f32 v6, -v35, v12, v2
	ds_read_b128 v[2:5], v16 offset:48
	ds_read_b128 v[8:11], v16 offset:64
	v_fma_f32 v6, -v40, v13, v6
	v_fma_f32 v6, -v31, v14, v6
	;; [unrolled: 1-line block ×3, first 2 shown]
	s_waitcnt lgkmcnt(1)
	v_fma_f32 v2, -v28, v2, v6
	v_fma_f32 v2, -v42, v3, v2
	;; [unrolled: 1-line block ×4, first 2 shown]
	s_waitcnt lgkmcnt(0)
	v_fma_f32 v2, -v25, v8, v2
	s_add_i32 s9, s15, 0x24c
	v_fma_f32 v2, -v22, v9, v2
	v_add_lshl_u32 v6, s18, v0, 2
	s_add_i32 s18, s9, s6
	v_fma_f32 v2, -v23, v10, v2
	s_lshl_b32 s18, s18, 2
	v_fma_f32 v2, -v20, v11, v2
	v_mov_b32_e32 v29, s18
	v_mul_f32_e32 v21, v36, v2
	ds_read_b128 v[2:5], v29
	ds_write_b32 v6, v21 offset:3136
	ds_read_b128 v[8:11], v29 offset:16
	ds_read_b128 v[12:15], v29 offset:32
	;; [unrolled: 1-line block ×3, first 2 shown]
	s_waitcnt lgkmcnt(4)
	v_fma_f32 v2, -v26, v2, v7
	v_fma_f32 v2, -v37, v3, v2
	v_fma_f32 v2, -v38, v4, v2
	v_fma_f32 v2, -v39, v5, v2
	s_waitcnt lgkmcnt(2)
	v_fma_f32 v2, -v27, v8, v2
	v_fma_f32 v2, -v32, v9, v2
	v_fma_f32 v2, -v33, v10, v2
	v_fma_f32 v2, -v34, v11, v2
	s_waitcnt lgkmcnt(1)
	v_fma_f32 v2, -v35, v12, v2
	v_fma_f32 v2, -v40, v13, v2
	v_fma_f32 v2, -v31, v14, v2
	v_fma_f32 v2, -v41, v15, v2
	s_waitcnt lgkmcnt(0)
	v_fma_f32 v6, -v28, v16, v2
	ds_read_b128 v[2:5], v29 offset:64
	v_fma_f32 v6, -v42, v17, v6
	v_fma_f32 v6, -v43, v18, v6
	;; [unrolled: 1-line block ×3, first 2 shown]
	ds_read_b64 v[6:7], v29 offset:80
	s_waitcnt lgkmcnt(1)
	v_fma_f32 v2, -v25, v2, v8
	v_fma_f32 v2, -v22, v3, v2
	;; [unrolled: 1-line block ×4, first 2 shown]
	s_waitcnt lgkmcnt(0)
	v_fma_f32 v2, -v21, v6, v2
	v_add_lshl_u32 v6, s9, v0, 2
	s_add_i32 s9, s15, 0x268
	s_add_i32 s15, s9, s6
	s_lshl_b32 s15, s15, 2
	v_mov_b32_e32 v19, s15
	v_mul_f32_e32 v18, v7, v2
	ds_read_b128 v[2:5], v19
	ds_write_b32 v6, v18 offset:3136
	ds_read_b128 v[6:9], v19 offset:16
	ds_read_b128 v[10:13], v19 offset:32
	;; [unrolled: 1-line block ×3, first 2 shown]
	s_waitcnt lgkmcnt(4)
	v_fma_f32 v2, -v26, v2, v30
	v_fma_f32 v2, -v37, v3, v2
	v_fma_f32 v2, -v38, v4, v2
	v_fma_f32 v2, -v39, v5, v2
	s_waitcnt lgkmcnt(2)
	v_fma_f32 v2, -v27, v6, v2
	v_fma_f32 v2, -v32, v7, v2
	v_fma_f32 v2, -v33, v8, v2
	v_fma_f32 v2, -v34, v9, v2
	;; [unrolled: 5-line block ×3, first 2 shown]
	s_waitcnt lgkmcnt(0)
	v_fma_f32 v6, -v28, v14, v2
	ds_read_b128 v[2:5], v19 offset:64
	v_fma_f32 v6, -v42, v15, v6
	v_fma_f32 v6, -v43, v16, v6
	v_fma_f32 v9, -v24, v17, v6
	ds_read_b96 v[6:8], v19 offset:80
	s_waitcnt lgkmcnt(1)
	v_fma_f32 v2, -v25, v2, v9
	v_fma_f32 v2, -v22, v3, v2
	;; [unrolled: 1-line block ×4, first 2 shown]
	s_waitcnt lgkmcnt(0)
	v_fma_f32 v2, -v21, v6, v2
	v_add_lshl_u32 v6, s9, v0, 2
	s_mul_i32 s9, s14, 28
	s_add_i32 s6, s9, s6
	s_lshl_b32 s6, s6, 2
	v_fma_f32 v2, -v18, v7, v2
	v_mov_b32_e32 v29, s6
	v_mul_f32_e32 v19, v8, v2
	ds_read_b128 v[2:5], v29
	ds_write_b32 v6, v19 offset:3136
	ds_read_b128 v[6:9], v29 offset:16
	ds_read_b128 v[10:13], v29 offset:32
	ds_read_b128 v[14:17], v29 offset:48
	s_mov_b32 s6, s8
	s_waitcnt lgkmcnt(4)
	v_fma_f32 v1, -v26, v2, v1
	v_fma_f32 v1, -v37, v3, v1
	v_fma_f32 v1, -v38, v4, v1
	v_fma_f32 v1, -v39, v5, v1
	s_waitcnt lgkmcnt(2)
	v_fma_f32 v1, -v27, v6, v1
	v_fma_f32 v1, -v32, v7, v1
	v_fma_f32 v1, -v33, v8, v1
	v_fma_f32 v1, -v34, v9, v1
	;; [unrolled: 5-line block ×3, first 2 shown]
	ds_read_b128 v[2:5], v29 offset:64
	ds_read_b128 v[6:9], v29 offset:80
	s_waitcnt lgkmcnt(2)
	v_fma_f32 v1, -v28, v14, v1
	v_fma_f32 v1, -v42, v15, v1
	;; [unrolled: 1-line block ×4, first 2 shown]
	s_waitcnt lgkmcnt(1)
	v_fma_f32 v1, -v25, v2, v1
	v_fma_f32 v1, -v22, v3, v1
	;; [unrolled: 1-line block ×4, first 2 shown]
	s_waitcnt lgkmcnt(0)
	v_fma_f32 v1, -v21, v6, v1
	v_fma_f32 v1, -v18, v7, v1
	v_fma_f32 v1, -v19, v8, v1
	v_mul_f32_e32 v1, v9, v1
	v_add_lshl_u32 v2, s9, v0, 2
	ds_write_b32 v2, v1 offset:3136
.LBB31_36:
	s_cmp_ge_i32 s6, s26
	s_cbranch_scc1 .LBB31_47
; %bb.37:
	v_mov_b32_e32 v1, 0xc40
	s_add_i32 s8, s6, -1
	s_mul_i32 s9, s6, 0x70
	v_lshl_add_u32 v1, v0, 2, v1
	s_mov_b32 s14, 0
	s_mov_b32 s15, s6
	s_branch .LBB31_39
.LBB31_38:                              ;   in Loop: Header=BB31_39 Depth=1
	s_mul_i32 s18, s6, 0x74
	v_mov_b32_e32 v4, s18
	ds_read_b32 v4, v4
	s_add_i32 s6, s6, 1
	s_add_i32 s14, s14, 1
	s_addk_i32 s9, 0x70
	v_add_u16_e64 v5, s15, 1
	v_add_u32_e32 v3, 0xc40, v3
	s_waitcnt lgkmcnt(0)
	v_mul_f32_e32 v2, v4, v2
	s_cmp_ge_i32 s6, s26
	v_readfirstlane_b32 s15, v5
	ds_write_b32 v3, v2
	s_cbranch_scc1 .LBB31_47
.LBB31_39:                              ; =>This Loop Header: Depth=1
                                        ;     Child Loop BB31_42 Depth 2
                                        ;     Child Loop BB31_46 Depth 2
	s_mul_i32 s18, s6, 28
	v_add_lshl_u32 v3, s18, v0, 2
	ds_read_b32 v2, v3 offset:3136
	s_cmp_eq_u32 s6, 0
	s_cbranch_scc1 .LBB31_38
; %bb.40:                               ;   in Loop: Header=BB31_39 Depth=1
	s_add_i32 s18, s8, s14
	s_cmp_lt_u32 s18, 7
	s_cbranch_scc1 .LBB31_44
; %bb.41:                               ;   in Loop: Header=BB31_39 Depth=1
	s_and_b32 s18, s6, -8
	s_mov_b32 s19, 0
	v_mov_b32_e32 v4, v1
	s_mov_b32 s20, s9
.LBB31_42:                              ;   Parent Loop BB31_39 Depth=1
                                        ; =>  This Inner Loop Header: Depth=2
	v_mov_b32_e32 v5, s20
	ds_read2_b32 v[14:15], v4 offset1:28
	ds_read2_b32 v[16:17], v4 offset0:56 offset1:84
	ds_read2_b32 v[18:19], v4 offset0:112 offset1:140
	;; [unrolled: 1-line block ×3, first 2 shown]
	ds_read_b128 v[6:9], v5
	ds_read_b128 v[10:13], v5 offset:16
	s_add_i32 s19, s19, 8
	s_add_i32 s20, s20, 32
	v_add_u32_e32 v4, 0x380, v4
	s_waitcnt lgkmcnt(1)
	v_fma_f32 v2, -v14, v6, v2
	v_fma_f32 v2, -v15, v7, v2
	;; [unrolled: 1-line block ×4, first 2 shown]
	s_waitcnt lgkmcnt(0)
	v_fma_f32 v2, -v18, v10, v2
	v_fma_f32 v2, -v19, v11, v2
	;; [unrolled: 1-line block ×3, first 2 shown]
	s_cmp_lg_u32 s18, s19
	v_fma_f32 v2, -v21, v13, v2
	s_cbranch_scc1 .LBB31_42
; %bb.43:                               ;   in Loop: Header=BB31_39 Depth=1
	s_and_b32 s19, s6, 7
	s_cmp_eq_u32 s19, 0
	s_cbranch_scc0 .LBB31_45
	s_branch .LBB31_38
.LBB31_44:                              ;   in Loop: Header=BB31_39 Depth=1
	s_mov_b32 s18, 0
	s_and_b32 s19, s6, 7
	s_cmp_eq_u32 s19, 0
	s_cbranch_scc1 .LBB31_38
.LBB31_45:                              ;   in Loop: Header=BB31_39 Depth=1
	s_lshl_b32 s20, s18, 2
	s_mulk_i32 s18, 0x70
	s_and_b32 s19, s15, 7
	v_add_u32_e32 v4, s18, v1
.LBB31_46:                              ;   Parent Loop BB31_39 Depth=1
                                        ; =>  This Inner Loop Header: Depth=2
	s_add_i32 s18, s9, s20
	v_mov_b32_e32 v6, s18
	ds_read_b32 v5, v4
	ds_read_b32 v6, v6
	s_add_i32 s20, s20, 4
	s_add_i32 s19, s19, -1
	v_add_u32_e32 v4, 0x70, v4
	s_cmp_lg_u32 s19, 0
	s_waitcnt lgkmcnt(0)
	v_fma_f32 v2, -v5, v6, v2
	s_cbranch_scc1 .LBB31_46
	s_branch .LBB31_38
.LBB31_47:
	s_mov_b64 s[8:9], 0
.LBB31_48:
	s_and_b64 vcc, exec, s[8:9]
	s_cbranch_vccz .LBB31_70
; %bb.49:
	s_add_i32 s6, s26, -1
	s_cmp_gt_i32 s10, 27
	s_mov_b32 s8, s6
	s_cbranch_scc0 .LBB31_51
; %bb.50:
	s_mul_i32 s8, s6, 28
	s_mul_i32 s43, s26, 28
	v_add_lshl_u32 v1, s8, v0, 2
	s_sub_i32 s42, s43, 56
	s_add_i32 s41, s43, 0xffffffac
	s_add_i32 s40, s43, 0xffffff90
	;; [unrolled: 1-line block ×26, first 2 shown]
	s_sub_i32 s43, s43, 28
	v_add_lshl_u32 v8, s42, v0, 2
	v_add_lshl_u32 v15, s41, v0, 2
	v_add_lshl_u32 v17, s40, v0, 2
	v_add_lshl_u32 v24, s39, v0, 2
	v_add_lshl_u32 v45, s38, v0, 2
	v_add_lshl_u32 v56, s37, v0, 2
	v_add_lshl_u32 v57, s36, v0, 2
	ds_read_b32 v4, v1 offset:3136
	ds_read_b32 v5, v8 offset:3136
	;; [unrolled: 1-line block ×8, first 2 shown]
	v_add_lshl_u32 v1, s44, v0, 2
	s_add_i32 s44, s26, s43
	s_lshl_b32 s44, s44, 2
	s_add_i32 s44, s44, -8
	v_add_lshl_u32 v61, s35, v0, 2
	v_add_lshl_u32 v33, s25, v0, 2
	;; [unrolled: 1-line block ×3, first 2 shown]
	v_mov_b32_e32 v6, s44
	s_mul_i32 s44, s6, 0x74
	v_add_lshl_u32 v62, s34, v0, 2
	v_add_lshl_u32 v68, s33, v0, 2
	;; [unrolled: 1-line block ×7, first 2 shown]
	ds_read_b32 v63, v61 offset:3136
	ds_read_b32 v64, v62 offset:3136
	;; [unrolled: 1-line block ×8, first 2 shown]
	v_add_lshl_u32 v39, s24, v0, 2
	v_add_lshl_u32 v36, s23, v0, 2
	;; [unrolled: 1-line block ×7, first 2 shown]
	ds_read_b32 v42, v33 offset:3136
	ds_read_b32 v40, v39 offset:3136
	;; [unrolled: 1-line block ×8, first 2 shown]
	v_add_lshl_u32 v13, s9, v0, 2
	v_add_lshl_u32 v2, s8, v0, 2
	ds_read_b32 v22, v14 offset:3136
	ds_read_b32 v16, v13 offset:3136
	;; [unrolled: 1-line block ×4, first 2 shown]
	ds_read2_b32 v[6:7], v6 offset1:1
	s_add_i32 s45, s44, 0xffffff8c
	v_mov_b32_e32 v9, s45
	ds_read_b32 v9, v9
	s_add_i32 s45, s26, -4
	s_add_i32 s46, s45, s43
	s_waitcnt lgkmcnt(1)
	v_mul_f32_e32 v4, v7, v4
	s_lshl_b32 s46, s46, 2
	v_fma_f32 v5, -v4, v6, v5
	v_mov_b32_e32 v6, s46
	s_add_i32 s46, s45, s42
	s_add_i32 s45, s45, s41
	v_add_lshl_u32 v7, s43, v0, 2
	s_waitcnt lgkmcnt(0)
	v_mul_f32_e32 v5, v9, v5
	s_lshl_b32 s45, s45, 2
	ds_write_b32 v7, v4 offset:3136
	ds_write_b32 v8, v5 offset:3136
	s_lshl_b32 s46, s46, 2
	v_mov_b32_e32 v18, s45
	v_mov_b32_e32 v7, s46
	s_add_i32 s45, s44, 0xfffffea4
	ds_read2_b32 v[8:9], v6 offset1:1
	ds_read2_b32 v[10:11], v7 offset1:1
	;; [unrolled: 1-line block ×3, first 2 shown]
	v_mov_b32_e32 v6, s45
	ds_read_b32 v7, v6
	s_waitcnt lgkmcnt(3)
	v_fma_f32 v6, -v4, v9, v46
	s_waitcnt lgkmcnt(2)
	v_fma_f32 v6, -v5, v11, v6
	v_fma_f32 v8, -v4, v8, v47
	s_add_i32 s45, s26, -6
	s_waitcnt lgkmcnt(1)
	v_mul_f32_e32 v6, v19, v6
	v_fma_f32 v8, -v5, v10, v8
	s_add_i32 s46, s45, s43
	v_fma_f32 v8, -v6, v18, v8
	s_lshl_b32 s46, s46, 2
	s_waitcnt lgkmcnt(0)
	v_mul_f32_e32 v7, v7, v8
	v_mov_b32_e32 v8, s46
	s_add_i32 s46, s45, s42
	s_lshl_b32 s46, s46, 2
	v_mov_b32_e32 v9, s46
	s_add_i32 s46, s45, s41
	s_lshl_b32 s46, s46, 2
	ds_write_b32 v15, v6 offset:3136
	v_mov_b32_e32 v15, s46
	s_add_i32 s46, s45, s40
	s_lshl_b32 s46, s46, 2
	v_mov_b32_e32 v48, s46
	s_add_i32 s45, s45, s39
	ds_read2_b32 v[10:11], v8 offset1:1
	ds_read2_b32 v[18:19], v9 offset1:1
	;; [unrolled: 1-line block ×4, first 2 shown]
	s_lshl_b32 s45, s45, 2
	v_mov_b32_e32 v9, s45
	s_add_i32 s45, s44, 0xfffffdbc
	s_waitcnt lgkmcnt(3)
	v_fma_f32 v8, -v4, v11, v50
	v_mov_b32_e32 v11, s45
	s_add_i32 s45, s26, -8
	s_add_i32 s46, s45, s43
	s_lshl_b32 s46, s46, 2
	v_mov_b32_e32 v15, s46
	s_add_i32 s46, s45, s42
	s_lshl_b32 s46, s46, 2
	ds_read2_b32 v[50:51], v9 offset1:1
	ds_write_b32 v17, v7 offset:3136
	v_mov_b32_e32 v9, s46
	s_waitcnt lgkmcnt(4)
	v_fma_f32 v8, -v5, v19, v8
	ds_read_b32 v11, v11
	ds_read2_b32 v[52:53], v15 offset1:1
	ds_read2_b32 v[54:55], v9 offset1:1
	v_fma_f32 v9, -v4, v10, v58
	s_waitcnt lgkmcnt(6)
	v_fma_f32 v8, -v6, v47, v8
	v_fma_f32 v9, -v5, v18, v9
	s_waitcnt lgkmcnt(5)
	v_fma_f32 v8, -v7, v49, v8
	v_fma_f32 v9, -v6, v46, v9
	s_waitcnt lgkmcnt(4)
	v_mul_f32_e32 v8, v51, v8
	v_fma_f32 v9, -v7, v48, v9
	s_add_i32 s46, s45, s41
	v_fma_f32 v9, -v8, v50, v9
	s_lshl_b32 s46, s46, 2
	s_waitcnt lgkmcnt(2)
	v_mul_f32_e32 v9, v11, v9
	v_mov_b32_e32 v11, s46
	s_add_i32 s46, s45, s40
	s_lshl_b32 s46, s46, 2
	v_mov_b32_e32 v15, s46
	s_add_i32 s46, s45, s39
	s_lshl_b32 s46, s46, 2
	;; [unrolled: 3-line block ×3, first 2 shown]
	ds_write_b32 v24, v8 offset:3136
	ds_write_b32 v45, v9 offset:3136
	v_mov_b32_e32 v24, s46
	s_add_i32 s46, s44, 0xfffffd48
	s_waitcnt lgkmcnt(3)
	v_fma_f32 v10, -v4, v53, v59
	ds_read2_b32 v[18:19], v11 offset1:1
	ds_read2_b32 v[46:47], v15 offset1:1
	;; [unrolled: 1-line block ×4, first 2 shown]
	v_mov_b32_e32 v11, s46
	s_waitcnt lgkmcnt(6)
	v_fma_f32 v10, -v5, v55, v10
	ds_read_b32 v11, v11
	s_waitcnt lgkmcnt(4)
	v_fma_f32 v10, -v6, v19, v10
	s_waitcnt lgkmcnt(3)
	v_fma_f32 v10, -v7, v47, v10
	;; [unrolled: 2-line block ×3, first 2 shown]
	s_add_i32 s45, s45, s37
	s_waitcnt lgkmcnt(1)
	v_fma_f32 v10, -v9, v51, v10
	s_lshl_b32 s45, s45, 2
	s_waitcnt lgkmcnt(0)
	v_mul_f32_e32 v10, v11, v10
	v_fma_f32 v11, -v4, v52, v60
	v_mov_b32_e32 v15, s45
	v_fma_f32 v11, -v5, v54, v11
	ds_read_b32 v15, v15
	s_add_i32 s45, s44, 0xfffffcd4
	v_fma_f32 v11, -v6, v18, v11
	v_mov_b32_e32 v17, s45
	ds_read_b32 v17, v17
	v_fma_f32 v11, -v7, v46, v11
	s_add_i32 s45, s26, -10
	v_fma_f32 v11, -v8, v48, v11
	s_add_i32 s46, s45, s43
	v_fma_f32 v11, -v9, v50, v11
	s_lshl_b32 s46, s46, 2
	s_waitcnt lgkmcnt(1)
	v_fma_f32 v11, -v10, v15, v11
	v_mov_b32_e32 v15, s46
	s_add_i32 s46, s45, s42
	s_lshl_b32 s46, s46, 2
	s_waitcnt lgkmcnt(0)
	v_mul_f32_e32 v11, v17, v11
	v_mov_b32_e32 v17, s46
	s_add_i32 s46, s45, s41
	s_lshl_b32 s46, s46, 2
	v_mov_b32_e32 v24, s46
	s_add_i32 s46, s45, s40
	s_lshl_b32 s46, s46, 2
	v_mov_b32_e32 v45, s46
	s_add_i32 s46, s45, s39
	ds_write_b32 v56, v10 offset:3136
	s_lshl_b32 s46, s46, 2
	ds_read2_b32 v[18:19], v15 offset1:1
	ds_read2_b32 v[46:47], v17 offset1:1
	;; [unrolled: 1-line block ×4, first 2 shown]
	v_mov_b32_e32 v17, s46
	s_add_i32 s46, s45, s38
	s_lshl_b32 s46, s46, 2
	s_waitcnt lgkmcnt(3)
	v_fma_f32 v15, -v4, v19, v63
	v_mov_b32_e32 v19, s46
	s_add_i32 s46, s45, s37
	s_lshl_b32 s46, s46, 2
	v_mov_b32_e32 v24, s46
	s_add_i32 s46, s45, s36
	s_lshl_b32 s46, s46, 2
	ds_write_b32 v57, v11 offset:3136
	s_waitcnt lgkmcnt(3)
	v_fma_f32 v15, -v5, v47, v15
	v_mov_b32_e32 v45, s46
	s_add_i32 s46, s44, 0xfffffc60
	s_waitcnt lgkmcnt(2)
	v_fma_f32 v15, -v6, v49, v15
	ds_read2_b32 v[52:53], v17 offset1:1
	ds_read2_b32 v[54:55], v19 offset1:1
	ds_read2_b32 v[56:57], v24 offset1:1
	ds_read2_b32 v[58:59], v45 offset1:1
	v_mov_b32_e32 v17, s46
	s_waitcnt lgkmcnt(5)
	v_fma_f32 v15, -v7, v51, v15
	ds_read_b32 v17, v17
	s_waitcnt lgkmcnt(4)
	v_fma_f32 v15, -v8, v53, v15
	s_waitcnt lgkmcnt(3)
	v_fma_f32 v15, -v9, v55, v15
	;; [unrolled: 2-line block ×4, first 2 shown]
	s_waitcnt lgkmcnt(0)
	v_mul_f32_e32 v15, v17, v15
	v_fma_f32 v17, -v4, v18, v64
	s_add_i32 s45, s45, s35
	v_fma_f32 v17, -v5, v46, v17
	s_lshl_b32 s45, s45, 2
	v_fma_f32 v17, -v6, v48, v17
	v_mov_b32_e32 v18, s45
	v_fma_f32 v17, -v7, v50, v17
	ds_read_b32 v18, v18
	s_addk_i32 s44, 0xfbec
	v_fma_f32 v17, -v8, v52, v17
	v_mov_b32_e32 v19, s44
	ds_read_b32 v19, v19
	v_fma_f32 v17, -v9, v54, v17
	s_add_i32 s44, s26, -12
	v_fma_f32 v17, -v10, v56, v17
	s_add_i32 s45, s44, s43
	v_fma_f32 v17, -v11, v58, v17
	s_lshl_b32 s45, s45, 2
	s_waitcnt lgkmcnt(1)
	v_fma_f32 v17, -v15, v18, v17
	v_mov_b32_e32 v18, s45
	s_add_i32 s45, s44, s42
	s_lshl_b32 s45, s45, 2
	s_waitcnt lgkmcnt(0)
	v_mul_f32_e32 v17, v19, v17
	v_mov_b32_e32 v19, s45
	s_add_i32 s45, s44, s41
	s_lshl_b32 s45, s45, 2
	v_mov_b32_e32 v24, s45
	s_add_i32 s45, s44, s40
	ds_write_b32 v61, v15 offset:3136
	ds_write_b32 v62, v17 offset:3136
	s_lshl_b32 s45, s45, 2
	ds_read2_b32 v[46:47], v18 offset1:1
	ds_read2_b32 v[48:49], v19 offset1:1
	;; [unrolled: 1-line block ×3, first 2 shown]
	v_mov_b32_e32 v18, s45
	s_add_i32 s45, s44, s39
	s_lshl_b32 s45, s45, 2
	v_mov_b32_e32 v19, s45
	s_add_i32 s45, s44, s38
	s_lshl_b32 s45, s45, 2
	v_mov_b32_e32 v24, s45
	s_add_i32 s45, s44, s37
	s_lshl_b32 s45, s45, 2
	v_mov_b32_e32 v45, s45
	s_add_i32 s45, s44, s36
	s_lshl_b32 s45, s45, 2
	ds_read2_b32 v[52:53], v18 offset1:1
	s_waitcnt lgkmcnt(3)
	v_fma_f32 v18, -v4, v47, v65
	v_mov_b32_e32 v47, s45
	s_add_i32 s45, s44, s35
	s_lshl_b32 s45, s45, 2
	ds_read2_b32 v[54:55], v19 offset1:1
	ds_read2_b32 v[56:57], v24 offset1:1
	;; [unrolled: 1-line block ×4, first 2 shown]
	v_mov_b32_e32 v19, s45
	s_add_i32 s45, s44, s34
	s_lshl_b32 s45, s45, 2
	s_add_i32 s44, s44, s33
	v_mov_b32_e32 v24, s45
	s_lshl_b32 s44, s44, 2
	s_waitcnt lgkmcnt(6)
	v_fma_f32 v18, -v5, v49, v18
	v_mov_b32_e32 v45, s44
	ds_read2_b32 v[62:63], v19 offset1:1
	ds_read2_b32 v[64:65], v24 offset1:1
	;; [unrolled: 1-line block ×3, first 2 shown]
	v_fma_f32 v24, -v4, v46, v70
	s_waitcnt lgkmcnt(8)
	v_fma_f32 v18, -v6, v51, v18
	v_fma_f32 v24, -v5, v48, v24
	s_waitcnt lgkmcnt(7)
	v_fma_f32 v18, -v7, v53, v18
	;; [unrolled: 3-line block ×3, first 2 shown]
	s_mul_i32 s44, s26, 0x74
	v_fma_f32 v24, -v7, v52, v24
	s_waitcnt lgkmcnt(5)
	v_fma_f32 v18, -v9, v57, v18
	s_add_i32 s45, s44, 0xfffffa90
	v_fma_f32 v24, -v8, v54, v24
	s_waitcnt lgkmcnt(4)
	v_fma_f32 v18, -v10, v59, v18
	v_mov_b32_e32 v19, s45
	v_fma_f32 v24, -v9, v56, v24
	s_waitcnt lgkmcnt(3)
	v_fma_f32 v18, -v11, v61, v18
	ds_read_b32 v19, v19
	v_fma_f32 v24, -v10, v58, v24
	s_waitcnt lgkmcnt(3)
	v_fma_f32 v18, -v15, v63, v18
	v_fma_f32 v24, -v11, v60, v24
	s_waitcnt lgkmcnt(2)
	v_fma_f32 v18, -v17, v65, v18
	v_fma_f32 v24, -v15, v62, v24
	s_add_i32 s45, s26, -14
	s_waitcnt lgkmcnt(1)
	v_mul_f32_e32 v18, v67, v18
	v_fma_f32 v24, -v17, v64, v24
	s_add_i32 s46, s45, s43
	v_fma_f32 v24, -v18, v66, v24
	s_lshl_b32 s46, s46, 2
	s_waitcnt lgkmcnt(0)
	v_mul_f32_e32 v19, v19, v24
	v_mov_b32_e32 v24, s46
	s_add_i32 s46, s45, s42
	s_lshl_b32 s46, s46, 2
	v_mov_b32_e32 v45, s46
	s_add_i32 s46, s45, s41
	s_lshl_b32 s46, s46, 2
	;; [unrolled: 3-line block ×3, first 2 shown]
	v_mov_b32_e32 v52, s46
	s_add_i32 s46, s45, s39
	ds_write_b32 v68, v18 offset:3136
	s_lshl_b32 s46, s46, 2
	ds_read2_b32 v[46:47], v24 offset1:1
	ds_read2_b32 v[48:49], v45 offset1:1
	;; [unrolled: 1-line block ×4, first 2 shown]
	v_mov_b32_e32 v45, s46
	s_add_i32 s46, s45, s38
	s_lshl_b32 s46, s46, 2
	s_waitcnt lgkmcnt(3)
	v_fma_f32 v24, -v4, v47, v71
	v_mov_b32_e32 v47, s46
	s_add_i32 s46, s45, s37
	s_lshl_b32 s46, s46, 2
	s_waitcnt lgkmcnt(2)
	v_fma_f32 v24, -v5, v49, v24
	v_mov_b32_e32 v49, s46
	s_add_i32 s46, s45, s36
	ds_write_b32 v69, v19 offset:3136
	s_lshl_b32 s46, s46, 2
	ds_read2_b32 v[54:55], v45 offset1:1
	ds_read2_b32 v[56:57], v47 offset1:1
	;; [unrolled: 1-line block ×3, first 2 shown]
	v_mov_b32_e32 v45, s46
	s_add_i32 s46, s45, s35
	s_lshl_b32 s46, s46, 2
	ds_read2_b32 v[60:61], v45 offset1:1
	v_mov_b32_e32 v45, s46
	s_add_i32 s46, s45, s34
	s_lshl_b32 s46, s46, 2
	s_waitcnt lgkmcnt(6)
	v_fma_f32 v24, -v6, v51, v24
	v_mov_b32_e32 v47, s46
	s_add_i32 s46, s45, s33
	s_waitcnt lgkmcnt(5)
	v_fma_f32 v24, -v7, v53, v24
	s_lshl_b32 s46, s46, 2
	s_waitcnt lgkmcnt(3)
	v_fma_f32 v24, -v8, v55, v24
	v_mov_b32_e32 v49, s46
	s_add_i32 s46, s45, s31
	s_add_i32 s45, s45, s30
	s_waitcnt lgkmcnt(2)
	v_fma_f32 v24, -v9, v57, v24
	s_lshl_b32 s46, s46, 2
	s_lshl_b32 s45, s45, 2
	s_waitcnt lgkmcnt(1)
	v_fma_f32 v24, -v10, v59, v24
	v_mov_b32_e32 v51, s46
	ds_read2_b32 v[62:63], v45 offset1:1
	ds_read2_b32 v[64:65], v47 offset1:1
	;; [unrolled: 1-line block ×4, first 2 shown]
	v_mov_b32_e32 v45, s45
	s_waitcnt lgkmcnt(4)
	v_fma_f32 v24, -v11, v61, v24
	s_add_i32 s45, s44, 0xfffff9a8
	ds_read2_b32 v[70:71], v45 offset1:1
	s_waitcnt lgkmcnt(4)
	v_fma_f32 v24, -v15, v63, v24
	v_mov_b32_e32 v47, s45
	s_add_i32 s45, s26, -16
	s_waitcnt lgkmcnt(3)
	v_fma_f32 v24, -v17, v65, v24
	s_add_i32 s46, s45, s43
	s_waitcnt lgkmcnt(2)
	v_fma_f32 v24, -v18, v67, v24
	s_lshl_b32 s46, s46, 2
	s_waitcnt lgkmcnt(1)
	v_fma_f32 v24, -v19, v69, v24
	v_mov_b32_e32 v49, s46
	s_add_i32 s46, s45, s42
	s_lshl_b32 s46, s46, 2
	s_waitcnt lgkmcnt(0)
	v_mul_f32_e32 v24, v71, v24
	v_mov_b32_e32 v45, s46
	ds_read_b32 v47, v47
	ds_read2_b32 v[72:73], v49 offset1:1
	ds_read2_b32 v[74:75], v45 offset1:1
	ds_write_b32 v25, v24 offset:3136
	v_fma_f32 v25, -v4, v46, v44
	v_fma_f32 v25, -v5, v48, v25
	;; [unrolled: 1-line block ×13, first 2 shown]
	s_add_i32 s46, s45, s41
	s_waitcnt lgkmcnt(3)
	v_mul_f32_e32 v25, v47, v25
	s_lshl_b32 s46, s46, 2
	ds_write_b32 v27, v25 offset:3136
	s_waitcnt lgkmcnt(3)
	v_fma_f32 v27, -v4, v73, v43
	v_mov_b32_e32 v43, s46
	s_add_i32 s46, s45, s40
	s_lshl_b32 s46, s46, 2
	v_mov_b32_e32 v46, s46
	s_add_i32 s46, s45, s39
	s_lshl_b32 s46, s46, 2
	;; [unrolled: 3-line block ×4, first 2 shown]
	ds_read2_b32 v[44:45], v43 offset1:1
	ds_read2_b32 v[46:47], v46 offset1:1
	;; [unrolled: 1-line block ×4, first 2 shown]
	v_mov_b32_e32 v43, s46
	s_add_i32 s46, s45, s36
	s_waitcnt lgkmcnt(6)
	v_fma_f32 v27, -v5, v75, v27
	s_lshl_b32 s46, s46, 2
	s_waitcnt lgkmcnt(3)
	v_fma_f32 v27, -v6, v45, v27
	v_mov_b32_e32 v45, s46
	s_add_i32 s46, s45, s35
	s_lshl_b32 s46, s46, 2
	s_waitcnt lgkmcnt(2)
	v_fma_f32 v27, -v7, v47, v27
	v_mov_b32_e32 v47, s46
	s_add_i32 s46, s45, s34
	s_lshl_b32 s46, s46, 2
	ds_read2_b32 v[52:53], v43 offset1:1
	ds_read2_b32 v[54:55], v45 offset1:1
	;; [unrolled: 1-line block ×3, first 2 shown]
	v_mov_b32_e32 v43, s46
	s_add_i32 s46, s45, s33
	s_lshl_b32 s46, s46, 2
	ds_read2_b32 v[58:59], v43 offset1:1
	v_mov_b32_e32 v43, s46
	s_add_i32 s46, s45, s31
	s_lshl_b32 s46, s46, 2
	s_waitcnt lgkmcnt(5)
	v_fma_f32 v27, -v8, v49, v27
	v_mov_b32_e32 v45, s46
	s_add_i32 s46, s45, s30
	s_waitcnt lgkmcnt(4)
	v_fma_f32 v27, -v9, v51, v27
	s_lshl_b32 s46, s46, 2
	s_waitcnt lgkmcnt(3)
	v_fma_f32 v27, -v10, v53, v27
	v_mov_b32_e32 v47, s46
	s_add_i32 s46, s45, s29
	s_add_i32 s45, s45, s28
	s_waitcnt lgkmcnt(2)
	v_fma_f32 v27, -v11, v55, v27
	s_lshl_b32 s46, s46, 2
	s_lshl_b32 s45, s45, 2
	s_waitcnt lgkmcnt(1)
	v_fma_f32 v27, -v15, v57, v27
	v_mov_b32_e32 v49, s46
	ds_read2_b32 v[60:61], v43 offset1:1
	ds_read2_b32 v[62:63], v45 offset1:1
	;; [unrolled: 1-line block ×4, first 2 shown]
	v_mov_b32_e32 v43, s45
	s_waitcnt lgkmcnt(4)
	v_fma_f32 v27, -v17, v59, v27
	s_add_i32 s45, s44, 0xfffff8c0
	ds_read2_b32 v[68:69], v43 offset1:1
	s_waitcnt lgkmcnt(4)
	v_fma_f32 v27, -v18, v61, v27
	v_mov_b32_e32 v45, s45
	s_sub_i32 s45, s26, 18
	s_waitcnt lgkmcnt(3)
	v_fma_f32 v27, -v19, v63, v27
	s_add_i32 s46, s45, s43
	s_waitcnt lgkmcnt(2)
	v_fma_f32 v27, -v24, v65, v27
	s_lshl_b32 s46, s46, 2
	s_waitcnt lgkmcnt(1)
	v_fma_f32 v27, -v25, v67, v27
	v_mov_b32_e32 v47, s46
	s_add_i32 s46, s45, s42
	s_lshl_b32 s46, s46, 2
	s_waitcnt lgkmcnt(0)
	v_mul_f32_e32 v27, v69, v27
	v_mov_b32_e32 v43, s46
	ds_read_b32 v45, v45
	ds_read2_b32 v[70:71], v47 offset1:1
	ds_read2_b32 v[76:77], v43 offset1:1
	ds_write_b32 v29, v27 offset:3136
	v_fma_f32 v29, -v4, v72, v41
	v_fma_f32 v29, -v5, v74, v29
	v_fma_f32 v29, -v6, v44, v29
	v_fma_f32 v29, -v7, v46, v29
	v_fma_f32 v29, -v8, v48, v29
	v_fma_f32 v29, -v9, v50, v29
	v_fma_f32 v29, -v10, v52, v29
	v_fma_f32 v29, -v11, v54, v29
	s_add_i32 s46, s45, s41
	v_fma_f32 v29, -v15, v56, v29
	s_lshl_b32 s46, s46, 2
	v_fma_f32 v29, -v17, v58, v29
	v_mov_b32_e32 v41, s46
	s_add_i32 s46, s45, s40
	v_fma_f32 v29, -v18, v60, v29
	s_lshl_b32 s46, s46, 2
	v_fma_f32 v29, -v19, v62, v29
	v_mov_b32_e32 v44, s46
	;; [unrolled: 5-line block ×3, first 2 shown]
	s_add_i32 s46, s45, s38
	v_fma_f32 v29, -v27, v68, v29
	s_lshl_b32 s46, s46, 2
	s_waitcnt lgkmcnt(3)
	v_mul_f32_e32 v29, v45, v29
	v_mov_b32_e32 v48, s46
	s_add_i32 s46, s45, s37
	ds_write_b32 v32, v29 offset:3136
	s_lshl_b32 s46, s46, 2
	s_waitcnt lgkmcnt(3)
	v_fma_f32 v32, -v4, v71, v42
	ds_read2_b32 v[42:43], v41 offset1:1
	ds_read2_b32 v[44:45], v44 offset1:1
	;; [unrolled: 1-line block ×4, first 2 shown]
	v_mov_b32_e32 v41, s46
	s_add_i32 s46, s45, s36
	s_waitcnt lgkmcnt(6)
	v_fma_f32 v32, -v5, v77, v32
	s_lshl_b32 s46, s46, 2
	s_waitcnt lgkmcnt(3)
	v_fma_f32 v32, -v6, v43, v32
	v_mov_b32_e32 v43, s46
	s_add_i32 s46, s45, s35
	s_lshl_b32 s46, s46, 2
	s_waitcnt lgkmcnt(2)
	v_fma_f32 v32, -v7, v45, v32
	v_mov_b32_e32 v45, s46
	s_add_i32 s46, s45, s34
	s_lshl_b32 s46, s46, 2
	ds_read2_b32 v[50:51], v41 offset1:1
	ds_read2_b32 v[52:53], v43 offset1:1
	;; [unrolled: 1-line block ×3, first 2 shown]
	v_mov_b32_e32 v41, s46
	s_add_i32 s46, s45, s33
	s_lshl_b32 s46, s46, 2
	ds_read2_b32 v[56:57], v41 offset1:1
	v_mov_b32_e32 v41, s46
	s_add_i32 s46, s45, s31
	s_lshl_b32 s46, s46, 2
	v_mov_b32_e32 v43, s46
	s_add_i32 s46, s45, s30
	s_waitcnt lgkmcnt(5)
	v_fma_f32 v32, -v8, v47, v32
	s_lshl_b32 s46, s46, 2
	s_waitcnt lgkmcnt(4)
	v_fma_f32 v32, -v9, v49, v32
	v_mov_b32_e32 v45, s46
	s_add_i32 s46, s45, s29
	s_waitcnt lgkmcnt(3)
	v_fma_f32 v32, -v10, v51, v32
	s_lshl_b32 s46, s46, 2
	s_waitcnt lgkmcnt(2)
	v_fma_f32 v32, -v11, v53, v32
	v_mov_b32_e32 v47, s46
	s_add_i32 s46, s45, s28
	s_waitcnt lgkmcnt(1)
	v_fma_f32 v32, -v15, v55, v32
	ds_read2_b32 v[58:59], v41 offset1:1
	ds_read2_b32 v[60:61], v43 offset1:1
	;; [unrolled: 1-line block ×4, first 2 shown]
	s_lshl_b32 s46, s46, 2
	s_waitcnt lgkmcnt(4)
	v_fma_f32 v32, -v17, v57, v32
	v_mov_b32_e32 v41, s46
	s_add_i32 s46, s45, s27
	s_add_i32 s45, s45, s25
	s_waitcnt lgkmcnt(3)
	v_fma_f32 v32, -v18, v59, v32
	s_lshl_b32 s46, s46, 2
	s_lshl_b32 s45, s45, 2
	s_waitcnt lgkmcnt(2)
	v_fma_f32 v32, -v19, v61, v32
	v_mov_b32_e32 v43, s46
	v_mov_b32_e32 v45, s45
	ds_read2_b32 v[66:67], v41 offset1:1
	ds_read2_b32 v[68:69], v43 offset1:1
	;; [unrolled: 1-line block ×3, first 2 shown]
	s_waitcnt lgkmcnt(4)
	v_fma_f32 v32, -v24, v63, v32
	s_waitcnt lgkmcnt(3)
	v_fma_f32 v32, -v25, v65, v32
	;; [unrolled: 2-line block ×4, first 2 shown]
	s_waitcnt lgkmcnt(0)
	v_mul_f32_e32 v32, v73, v32
	ds_write_b32 v33, v32 offset:3136
	v_fma_f32 v33, -v4, v70, v40
	v_fma_f32 v33, -v5, v76, v33
	;; [unrolled: 1-line block ×10, first 2 shown]
	s_add_i32 s45, s44, 0xfffff7d8
	v_fma_f32 v33, -v18, v58, v33
	v_mov_b32_e32 v41, s45
	v_fma_f32 v33, -v19, v60, v33
	ds_read_b32 v41, v41
	v_fma_f32 v33, -v24, v62, v33
	v_fma_f32 v33, -v25, v64, v33
	;; [unrolled: 1-line block ×4, first 2 shown]
	s_sub_i32 s45, s26, 20
	v_fma_f32 v33, -v32, v72, v33
	s_add_i32 s46, s45, s43
	s_waitcnt lgkmcnt(0)
	v_mul_f32_e32 v33, v41, v33
	s_lshl_b32 s46, s46, 2
	ds_write_b32 v39, v33 offset:3136
	v_mov_b32_e32 v39, s46
	s_add_i32 s46, s45, s42
	s_lshl_b32 s46, s46, 2
	v_mov_b32_e32 v42, s46
	s_add_i32 s46, s45, s41
	s_lshl_b32 s46, s46, 2
	;; [unrolled: 3-line block ×3, first 2 shown]
	ds_read2_b32 v[40:41], v39 offset1:1
	ds_read2_b32 v[42:43], v42 offset1:1
	;; [unrolled: 1-line block ×3, first 2 shown]
	v_mov_b32_e32 v39, s46
	s_add_i32 s46, s45, s39
	s_lshl_b32 s46, s46, 2
	ds_read2_b32 v[46:47], v39 offset1:1
	v_mov_b32_e32 v39, s46
	s_add_i32 s46, s45, s38
	s_lshl_b32 s46, s46, 2
	s_waitcnt lgkmcnt(3)
	v_fma_f32 v38, -v4, v41, v38
	v_mov_b32_e32 v41, s46
	s_add_i32 s46, s45, s37
	s_lshl_b32 s46, s46, 2
	s_waitcnt lgkmcnt(2)
	v_fma_f32 v38, -v5, v43, v38
	;; [unrolled: 5-line block ×3, first 2 shown]
	v_mov_b32_e32 v45, s46
	s_add_i32 s46, s45, s35
	s_lshl_b32 s46, s46, 2
	ds_read2_b32 v[48:49], v39 offset1:1
	ds_read2_b32 v[50:51], v41 offset1:1
	;; [unrolled: 1-line block ×4, first 2 shown]
	v_mov_b32_e32 v39, s46
	s_add_i32 s46, s45, s34
	s_lshl_b32 s46, s46, 2
	v_mov_b32_e32 v41, s46
	s_add_i32 s46, s45, s33
	s_lshl_b32 s46, s46, 2
	;; [unrolled: 3-line block ×3, first 2 shown]
	ds_read2_b32 v[56:57], v39 offset1:1
	ds_read2_b32 v[58:59], v41 offset1:1
	;; [unrolled: 1-line block ×3, first 2 shown]
	v_mov_b32_e32 v39, s46
	s_add_i32 s46, s45, s30
	s_lshl_b32 s46, s46, 2
	s_waitcnt lgkmcnt(7)
	v_fma_f32 v38, -v7, v47, v38
	ds_read2_b32 v[62:63], v39 offset1:1
	v_mov_b32_e32 v39, s46
	s_add_i32 s46, s45, s29
	s_waitcnt lgkmcnt(7)
	v_fma_f32 v38, -v8, v49, v38
	s_lshl_b32 s46, s46, 2
	s_waitcnt lgkmcnt(6)
	v_fma_f32 v38, -v9, v51, v38
	v_mov_b32_e32 v41, s46
	s_add_i32 s46, s45, s28
	s_waitcnt lgkmcnt(5)
	v_fma_f32 v38, -v10, v53, v38
	s_lshl_b32 s46, s46, 2
	s_waitcnt lgkmcnt(4)
	v_fma_f32 v38, -v11, v55, v38
	;; [unrolled: 7-line block ×3, first 2 shown]
	v_mov_b32_e32 v45, s46
	s_add_i32 s46, s45, s25
	s_waitcnt lgkmcnt(1)
	v_fma_f32 v38, -v18, v61, v38
	ds_read2_b32 v[64:65], v39 offset1:1
	ds_read2_b32 v[66:67], v41 offset1:1
	;; [unrolled: 1-line block ×4, first 2 shown]
	s_lshl_b32 s46, s46, 2
	s_waitcnt lgkmcnt(4)
	v_fma_f32 v38, -v19, v63, v38
	v_mov_b32_e32 v39, s46
	s_add_i32 s46, s45, s24
	s_add_i32 s45, s45, s23
	s_waitcnt lgkmcnt(3)
	v_fma_f32 v38, -v24, v65, v38
	s_lshl_b32 s46, s46, 2
	s_lshl_b32 s45, s45, 2
	s_waitcnt lgkmcnt(2)
	v_fma_f32 v38, -v25, v67, v38
	v_mov_b32_e32 v41, s46
	v_mov_b32_e32 v43, s45
	ds_read2_b32 v[72:73], v39 offset1:1
	ds_read2_b32 v[74:75], v41 offset1:1
	;; [unrolled: 1-line block ×3, first 2 shown]
	s_waitcnt lgkmcnt(4)
	v_fma_f32 v38, -v27, v69, v38
	s_waitcnt lgkmcnt(3)
	v_fma_f32 v38, -v29, v71, v38
	;; [unrolled: 2-line block ×4, first 2 shown]
	s_waitcnt lgkmcnt(0)
	v_mul_f32_e32 v38, v77, v38
	ds_write_b32 v36, v38 offset:3136
	v_fma_f32 v36, -v4, v40, v37
	v_fma_f32 v36, -v5, v42, v36
	;; [unrolled: 1-line block ×12, first 2 shown]
	s_add_i32 s45, s44, 0xfffff6f0
	v_fma_f32 v36, -v24, v64, v36
	v_mov_b32_e32 v39, s45
	v_fma_f32 v36, -v25, v66, v36
	ds_read_b32 v39, v39
	v_fma_f32 v36, -v27, v68, v36
	s_sub_i32 s45, s26, 22
	v_fma_f32 v36, -v29, v70, v36
	s_add_i32 s46, s45, s43
	v_fma_f32 v36, -v32, v72, v36
	s_lshl_b32 s46, s46, 2
	v_fma_f32 v36, -v33, v74, v36
	v_mov_b32_e32 v37, s46
	s_add_i32 s46, s45, s42
	v_fma_f32 v36, -v38, v76, v36
	s_lshl_b32 s46, s46, 2
	s_waitcnt lgkmcnt(0)
	v_mul_f32_e32 v36, v39, v36
	v_mov_b32_e32 v39, s46
	s_add_i32 s46, s45, s41
	s_lshl_b32 s46, s46, 2
	v_mov_b32_e32 v44, s46
	s_add_i32 s46, s45, s40
	s_lshl_b32 s46, s46, 2
	v_mov_b32_e32 v46, s46
	ds_read2_b32 v[40:41], v37 offset1:1
	ds_read2_b32 v[42:43], v39 offset1:1
	;; [unrolled: 1-line block ×4, first 2 shown]
	s_add_i32 s46, s45, s39
	s_lshl_b32 s46, s46, 2
	ds_write_b32 v34, v36 offset:3136
	s_waitcnt lgkmcnt(4)
	v_fma_f32 v34, -v4, v41, v35
	v_mov_b32_e32 v35, s46
	s_add_i32 s46, s45, s38
	s_lshl_b32 s46, s46, 2
	v_mov_b32_e32 v37, s46
	s_add_i32 s46, s45, s37
	s_lshl_b32 s46, s46, 2
	;; [unrolled: 3-line block ×3, first 2 shown]
	ds_read2_b32 v[48:49], v35 offset1:1
	ds_read2_b32 v[50:51], v37 offset1:1
	;; [unrolled: 1-line block ×3, first 2 shown]
	v_mov_b32_e32 v35, s46
	s_add_i32 s46, s45, s35
	s_lshl_b32 s46, s46, 2
	ds_read2_b32 v[54:55], v35 offset1:1
	v_mov_b32_e32 v35, s46
	s_add_i32 s46, s45, s34
	s_lshl_b32 s46, s46, 2
	v_mov_b32_e32 v37, s46
	s_add_i32 s46, s45, s33
	s_lshl_b32 s46, s46, 2
	;; [unrolled: 3-line block ×4, first 2 shown]
	ds_read2_b32 v[56:57], v35 offset1:1
	ds_read2_b32 v[58:59], v37 offset1:1
	;; [unrolled: 1-line block ×4, first 2 shown]
	v_mov_b32_e32 v35, s46
	s_add_i32 s46, s45, s29
	s_waitcnt lgkmcnt(11)
	v_fma_f32 v34, -v5, v43, v34
	s_lshl_b32 s46, s46, 2
	s_waitcnt lgkmcnt(10)
	v_fma_f32 v34, -v6, v45, v34
	v_mov_b32_e32 v37, s46
	s_add_i32 s46, s45, s28
	s_waitcnt lgkmcnt(9)
	v_fma_f32 v34, -v7, v47, v34
	s_lshl_b32 s46, s46, 2
	s_waitcnt lgkmcnt(7)
	v_fma_f32 v34, -v8, v49, v34
	;; [unrolled: 7-line block ×3, first 2 shown]
	ds_read2_b32 v[64:65], v35 offset1:1
	ds_read2_b32 v[66:67], v37 offset1:1
	;; [unrolled: 1-line block ×3, first 2 shown]
	v_mov_b32_e32 v35, s46
	s_add_i32 s46, s45, s25
	s_waitcnt lgkmcnt(7)
	v_fma_f32 v34, -v11, v55, v34
	s_lshl_b32 s46, s46, 2
	s_waitcnt lgkmcnt(6)
	v_fma_f32 v34, -v15, v57, v34
	ds_read2_b32 v[70:71], v35 offset1:1
	v_mov_b32_e32 v35, s46
	s_add_i32 s46, s45, s24
	s_waitcnt lgkmcnt(6)
	v_fma_f32 v34, -v17, v59, v34
	s_lshl_b32 s46, s46, 2
	s_waitcnt lgkmcnt(5)
	v_fma_f32 v34, -v18, v61, v34
	v_mov_b32_e32 v37, s46
	s_add_i32 s46, s45, s23
	s_waitcnt lgkmcnt(4)
	v_fma_f32 v34, -v19, v63, v34
	s_lshl_b32 s46, s46, 2
	s_waitcnt lgkmcnt(3)
	v_fma_f32 v34, -v24, v65, v34
	v_mov_b32_e32 v39, s46
	s_add_i32 s46, s45, s21
	s_add_i32 s45, s45, s20
	s_waitcnt lgkmcnt(2)
	v_fma_f32 v34, -v25, v67, v34
	s_lshl_b32 s46, s46, 2
	s_lshl_b32 s45, s45, 2
	s_waitcnt lgkmcnt(1)
	v_fma_f32 v34, -v27, v69, v34
	v_mov_b32_e32 v41, s46
	ds_read2_b32 v[72:73], v35 offset1:1
	ds_read2_b32 v[74:75], v37 offset1:1
	;; [unrolled: 1-line block ×4, first 2 shown]
	v_mov_b32_e32 v35, s45
	s_waitcnt lgkmcnt(4)
	v_fma_f32 v34, -v29, v71, v34
	s_add_i32 s45, s44, 0xfffff608
	ds_read2_b32 v[80:81], v35 offset1:1
	s_waitcnt lgkmcnt(4)
	v_fma_f32 v34, -v32, v73, v34
	v_mov_b32_e32 v37, s45
	s_sub_i32 s45, s26, 24
	s_waitcnt lgkmcnt(3)
	v_fma_f32 v34, -v33, v75, v34
	s_add_i32 s46, s45, s43
	s_waitcnt lgkmcnt(2)
	v_fma_f32 v34, -v38, v77, v34
	s_lshl_b32 s46, s46, 2
	s_waitcnt lgkmcnt(1)
	v_fma_f32 v34, -v36, v79, v34
	v_mov_b32_e32 v39, s46
	s_add_i32 s46, s45, s42
	s_lshl_b32 s46, s46, 2
	s_waitcnt lgkmcnt(0)
	v_mul_f32_e32 v34, v81, v34
	v_mov_b32_e32 v35, s46
	ds_read_b32 v37, v37
	ds_read2_b32 v[82:83], v39 offset1:1
	ds_read2_b32 v[84:85], v35 offset1:1
	ds_write_b32 v30, v34 offset:3136
	v_fma_f32 v30, -v4, v40, v31
	v_fma_f32 v30, -v5, v42, v30
	;; [unrolled: 1-line block ×21, first 2 shown]
	s_add_i32 s46, s45, s41
	s_waitcnt lgkmcnt(3)
	v_mul_f32_e32 v30, v37, v30
	s_lshl_b32 s46, s46, 2
	ds_write_b32 v26, v30 offset:3136
	s_waitcnt lgkmcnt(3)
	v_fma_f32 v26, -v4, v83, v28
	v_mov_b32_e32 v28, s46
	s_add_i32 s46, s45, s40
	s_lshl_b32 s46, s46, 2
	v_mov_b32_e32 v31, s46
	s_add_i32 s46, s45, s39
	s_lshl_b32 s46, s46, 2
	;; [unrolled: 3-line block ×4, first 2 shown]
	ds_read2_b32 v[40:41], v28 offset1:1
	ds_read2_b32 v[42:43], v31 offset1:1
	;; [unrolled: 1-line block ×4, first 2 shown]
	v_mov_b32_e32 v28, s46
	s_add_i32 s46, s45, s36
	s_lshl_b32 s46, s46, 2
	v_mov_b32_e32 v31, s46
	s_add_i32 s46, s45, s35
	s_lshl_b32 s46, s46, 2
	v_mov_b32_e32 v35, s46
	s_add_i32 s46, s45, s34
	s_lshl_b32 s46, s46, 2
	ds_read2_b32 v[48:49], v28 offset1:1
	ds_read2_b32 v[50:51], v31 offset1:1
	;; [unrolled: 1-line block ×3, first 2 shown]
	v_mov_b32_e32 v28, s46
	s_add_i32 s46, s45, s33
	s_lshl_b32 s46, s46, 2
	ds_read2_b32 v[54:55], v28 offset1:1
	v_mov_b32_e32 v28, s46
	s_add_i32 s46, s45, s31
	s_lshl_b32 s46, s46, 2
	v_mov_b32_e32 v31, s46
	s_add_i32 s46, s45, s30
	s_lshl_b32 s46, s46, 2
	;; [unrolled: 3-line block ×3, first 2 shown]
	v_mov_b32_e32 v37, s46
	s_add_i32 s46, s45, s28
	s_waitcnt lgkmcnt(10)
	v_fma_f32 v26, -v5, v85, v26
	s_lshl_b32 s46, s46, 2
	s_waitcnt lgkmcnt(7)
	v_fma_f32 v26, -v6, v41, v26
	ds_read2_b32 v[56:57], v28 offset1:1
	ds_read2_b32 v[58:59], v31 offset1:1
	;; [unrolled: 1-line block ×4, first 2 shown]
	v_mov_b32_e32 v28, s46
	s_add_i32 s46, s45, s27
	s_waitcnt lgkmcnt(10)
	v_fma_f32 v26, -v7, v43, v26
	s_lshl_b32 s46, s46, 2
	s_waitcnt lgkmcnt(9)
	v_fma_f32 v26, -v8, v45, v26
	v_mov_b32_e32 v31, s46
	s_add_i32 s46, s45, s25
	s_waitcnt lgkmcnt(8)
	v_fma_f32 v26, -v9, v47, v26
	s_lshl_b32 s46, s46, 2
	s_waitcnt lgkmcnt(7)
	v_fma_f32 v26, -v10, v49, v26
	;; [unrolled: 7-line block ×3, first 2 shown]
	ds_read2_b32 v[64:65], v28 offset1:1
	ds_read2_b32 v[66:67], v31 offset1:1
	;; [unrolled: 1-line block ×3, first 2 shown]
	v_mov_b32_e32 v28, s46
	s_add_i32 s46, s45, s23
	s_waitcnt lgkmcnt(7)
	v_fma_f32 v26, -v17, v55, v26
	s_lshl_b32 s46, s46, 2
	s_waitcnt lgkmcnt(6)
	v_fma_f32 v26, -v18, v57, v26
	ds_read2_b32 v[70:71], v28 offset1:1
	v_mov_b32_e32 v28, s46
	s_add_i32 s46, s45, s21
	s_waitcnt lgkmcnt(6)
	v_fma_f32 v26, -v19, v59, v26
	s_lshl_b32 s46, s46, 2
	s_waitcnt lgkmcnt(5)
	v_fma_f32 v26, -v24, v61, v26
	v_mov_b32_e32 v31, s46
	s_add_i32 s46, s45, s20
	s_waitcnt lgkmcnt(4)
	v_fma_f32 v26, -v25, v63, v26
	s_lshl_b32 s46, s46, 2
	s_waitcnt lgkmcnt(3)
	v_fma_f32 v26, -v27, v65, v26
	v_mov_b32_e32 v35, s46
	s_add_i32 s46, s45, s19
	s_add_i32 s45, s45, s18
	s_waitcnt lgkmcnt(2)
	v_fma_f32 v26, -v29, v67, v26
	s_lshl_b32 s46, s46, 2
	s_lshl_b32 s45, s45, 2
	s_waitcnt lgkmcnt(1)
	v_fma_f32 v26, -v32, v69, v26
	v_mov_b32_e32 v37, s46
	ds_read2_b32 v[72:73], v28 offset1:1
	ds_read2_b32 v[74:75], v31 offset1:1
	;; [unrolled: 1-line block ×4, first 2 shown]
	v_mov_b32_e32 v28, s45
	s_waitcnt lgkmcnt(4)
	v_fma_f32 v26, -v33, v71, v26
	s_add_i32 s45, s44, 0xfffff520
	ds_read2_b32 v[80:81], v28 offset1:1
	s_waitcnt lgkmcnt(4)
	v_fma_f32 v26, -v38, v73, v26
	v_mov_b32_e32 v31, s45
	s_sub_i32 s45, s26, 26
	s_waitcnt lgkmcnt(3)
	v_fma_f32 v26, -v36, v75, v26
	s_add_i32 s46, s45, s43
	s_waitcnt lgkmcnt(2)
	v_fma_f32 v26, -v34, v77, v26
	s_lshl_b32 s46, s46, 2
	s_waitcnt lgkmcnt(1)
	v_fma_f32 v26, -v30, v79, v26
	v_mov_b32_e32 v35, s46
	s_add_i32 s46, s45, s42
	s_lshl_b32 s46, s46, 2
	s_waitcnt lgkmcnt(0)
	v_mul_f32_e32 v26, v81, v26
	v_mov_b32_e32 v28, s46
	ds_read_b32 v31, v31
	ds_read2_b32 v[86:87], v35 offset1:1
	ds_read2_b32 v[88:89], v28 offset1:1
	ds_write_b32 v21, v26 offset:3136
	v_fma_f32 v21, -v4, v82, v23
	v_fma_f32 v21, -v5, v84, v21
	;; [unrolled: 1-line block ×23, first 2 shown]
	s_add_i32 s46, s45, s41
	s_waitcnt lgkmcnt(3)
	v_mul_f32_e32 v28, v31, v21
	s_lshl_b32 s46, s46, 2
	ds_write_b32 v20, v28 offset:3136
	v_mov_b32_e32 v20, s46
	s_add_i32 s46, s45, s40
	s_lshl_b32 s46, s46, 2
	s_waitcnt lgkmcnt(3)
	v_fma_f32 v31, -v4, v87, v22
	v_mov_b32_e32 v22, s46
	s_add_i32 s46, s45, s39
	s_lshl_b32 s46, s46, 2
	v_mov_b32_e32 v35, s46
	s_add_i32 s46, s45, s38
	s_lshl_b32 s46, s46, 2
	v_mov_b32_e32 v37, s46
	ds_read2_b32 v[20:21], v20 offset1:1
	ds_read2_b32 v[22:23], v22 offset1:1
	;; [unrolled: 1-line block ×4, first 2 shown]
	s_waitcnt lgkmcnt(6)
	v_fma_f32 v31, -v5, v89, v31
	s_add_i32 s46, s45, s37
	s_waitcnt lgkmcnt(3)
	v_fma_f32 v21, -v6, v21, v31
	s_lshl_b32 s46, s46, 2
	s_waitcnt lgkmcnt(2)
	v_fma_f32 v21, -v7, v23, v21
	v_mov_b32_e32 v23, s46
	s_add_i32 s46, s45, s36
	s_lshl_b32 s46, s46, 2
	v_mov_b32_e32 v31, s46
	s_add_i32 s46, s45, s35
	s_lshl_b32 s46, s46, 2
	;; [unrolled: 3-line block ×3, first 2 shown]
	ds_read2_b32 v[44:45], v23 offset1:1
	ds_read2_b32 v[46:47], v31 offset1:1
	;; [unrolled: 1-line block ×3, first 2 shown]
	v_mov_b32_e32 v23, s46
	s_add_i32 s46, s45, s33
	s_lshl_b32 s46, s46, 2
	ds_read2_b32 v[50:51], v23 offset1:1
	v_mov_b32_e32 v23, s46
	s_add_i32 s46, s45, s31
	s_lshl_b32 s46, s46, 2
	v_mov_b32_e32 v31, s46
	s_add_i32 s46, s45, s30
	s_lshl_b32 s46, s46, 2
	;; [unrolled: 3-line block ×4, first 2 shown]
	ds_read2_b32 v[52:53], v23 offset1:1
	ds_read2_b32 v[54:55], v31 offset1:1
	;; [unrolled: 1-line block ×4, first 2 shown]
	v_mov_b32_e32 v23, s46
	s_add_i32 s46, s45, s27
	s_lshl_b32 s46, s46, 2
	v_mov_b32_e32 v31, s46
	s_add_i32 s46, s45, s25
	s_waitcnt lgkmcnt(9)
	v_fma_f32 v21, -v8, v41, v21
	s_lshl_b32 s46, s46, 2
	s_waitcnt lgkmcnt(8)
	v_fma_f32 v21, -v9, v43, v21
	v_mov_b32_e32 v35, s46
	s_add_i32 s46, s45, s24
	s_waitcnt lgkmcnt(7)
	v_fma_f32 v21, -v10, v45, v21
	s_lshl_b32 s46, s46, 2
	s_waitcnt lgkmcnt(6)
	v_fma_f32 v21, -v11, v47, v21
	ds_read2_b32 v[60:61], v23 offset1:1
	ds_read2_b32 v[62:63], v31 offset1:1
	;; [unrolled: 1-line block ×3, first 2 shown]
	v_mov_b32_e32 v23, s46
	s_add_i32 s46, s45, s23
	s_waitcnt lgkmcnt(8)
	v_fma_f32 v21, -v15, v49, v21
	s_lshl_b32 s46, s46, 2
	s_waitcnt lgkmcnt(7)
	v_fma_f32 v21, -v17, v51, v21
	ds_read2_b32 v[66:67], v23 offset1:1
	v_mov_b32_e32 v23, s46
	s_add_i32 s46, s45, s21
	s_waitcnt lgkmcnt(7)
	v_fma_f32 v21, -v18, v53, v21
	s_lshl_b32 s46, s46, 2
	s_waitcnt lgkmcnt(6)
	v_fma_f32 v21, -v19, v55, v21
	v_mov_b32_e32 v31, s46
	s_add_i32 s46, s45, s20
	s_waitcnt lgkmcnt(5)
	v_fma_f32 v21, -v24, v57, v21
	s_lshl_b32 s46, s46, 2
	s_waitcnt lgkmcnt(4)
	v_fma_f32 v21, -v25, v59, v21
	;; [unrolled: 7-line block ×3, first 2 shown]
	v_mov_b32_e32 v37, s46
	s_add_i32 s46, s45, s18
	s_waitcnt lgkmcnt(1)
	v_fma_f32 v21, -v32, v65, v21
	ds_read2_b32 v[68:69], v23 offset1:1
	ds_read2_b32 v[70:71], v31 offset1:1
	;; [unrolled: 1-line block ×4, first 2 shown]
	s_lshl_b32 s46, s46, 2
	s_waitcnt lgkmcnt(4)
	v_fma_f32 v21, -v33, v67, v21
	v_mov_b32_e32 v23, s46
	s_add_i32 s46, s45, s15
	s_add_i32 s45, s45, s14
	s_waitcnt lgkmcnt(3)
	v_fma_f32 v21, -v38, v69, v21
	s_lshl_b32 s46, s46, 2
	s_lshl_b32 s45, s45, 2
	s_waitcnt lgkmcnt(2)
	v_fma_f32 v21, -v36, v71, v21
	v_mov_b32_e32 v31, s46
	v_mov_b32_e32 v35, s45
	ds_read2_b32 v[76:77], v23 offset1:1
	ds_read2_b32 v[78:79], v31 offset1:1
	;; [unrolled: 1-line block ×3, first 2 shown]
	s_waitcnt lgkmcnt(4)
	v_fma_f32 v21, -v34, v73, v21
	s_waitcnt lgkmcnt(3)
	v_fma_f32 v21, -v30, v75, v21
	;; [unrolled: 2-line block ×4, first 2 shown]
	s_waitcnt lgkmcnt(0)
	v_mul_f32_e32 v31, v81, v21
	ds_write_b32 v14, v31 offset:3136
	v_fma_f32 v14, -v4, v86, v16
	v_fma_f32 v14, -v5, v88, v14
	;; [unrolled: 1-line block ×18, first 2 shown]
	s_add_i32 s45, s44, 0xfffff438
	v_fma_f32 v14, -v38, v68, v14
	v_mov_b32_e32 v23, s45
	v_fma_f32 v14, -v36, v70, v14
	ds_read_b32 v23, v23
	v_fma_f32 v14, -v34, v72, v14
	v_fma_f32 v14, -v30, v74, v14
	;; [unrolled: 1-line block ×4, first 2 shown]
	s_sub_i32 s45, s26, 28
	v_fma_f32 v14, -v31, v80, v14
	s_add_i32 s43, s45, s43
	s_waitcnt lgkmcnt(0)
	v_mul_f32_e32 v14, v23, v14
	s_lshl_b32 s43, s43, 2
	s_add_i32 s42, s45, s42
	s_add_i32 s41, s45, s41
	ds_write_b32 v13, v14 offset:3136
	v_mov_b32_e32 v13, s43
	s_lshl_b32 s42, s42, 2
	s_lshl_b32 s41, s41, 2
	s_add_i32 s40, s45, s40
	v_mov_b32_e32 v16, s42
	v_mov_b32_e32 v35, s41
	s_lshl_b32 s40, s40, 2
	ds_read2_b32 v[20:21], v13 offset1:1
	ds_read2_b32 v[22:23], v16 offset1:1
	;; [unrolled: 1-line block ×3, first 2 shown]
	v_mov_b32_e32 v13, s40
	ds_read2_b32 v[42:43], v13 offset1:1
	s_waitcnt lgkmcnt(3)
	v_fma_f32 v12, -v4, v21, v12
	s_add_i32 s39, s45, s39
	s_waitcnt lgkmcnt(2)
	v_fma_f32 v12, -v5, v23, v12
	s_lshl_b32 s39, s39, 2
	s_add_i32 s38, s45, s38
	s_add_i32 s37, s45, s37
	;; [unrolled: 1-line block ×3, first 2 shown]
	s_waitcnt lgkmcnt(1)
	v_fma_f32 v16, -v6, v41, v12
	v_mov_b32_e32 v12, s39
	s_lshl_b32 s38, s38, 2
	s_lshl_b32 s37, s37, 2
	;; [unrolled: 1-line block ×3, first 2 shown]
	v_mov_b32_e32 v21, s38
	v_mov_b32_e32 v23, s37
	;; [unrolled: 1-line block ×3, first 2 shown]
	ds_read2_b32 v[12:13], v12 offset1:1
	ds_read2_b32 v[44:45], v21 offset1:1
	ds_read2_b32 v[46:47], v23 offset1:1
	ds_read2_b32 v[48:49], v35 offset1:1
	s_add_i32 s35, s45, s35
	s_waitcnt lgkmcnt(4)
	v_fma_f32 v16, -v7, v43, v16
	s_lshl_b32 s35, s35, 2
	s_add_i32 s34, s45, s34
	s_add_i32 s33, s45, s33
	;; [unrolled: 1-line block ×3, first 2 shown]
	s_waitcnt lgkmcnt(3)
	v_fma_f32 v13, -v8, v13, v16
	v_mov_b32_e32 v16, s35
	s_lshl_b32 s34, s34, 2
	s_lshl_b32 s33, s33, 2
	;; [unrolled: 1-line block ×3, first 2 shown]
	s_waitcnt lgkmcnt(2)
	v_fma_f32 v13, -v9, v45, v13
	v_mov_b32_e32 v21, s34
	v_mov_b32_e32 v23, s33
	ds_read2_b32 v[50:51], v16 offset1:1
	ds_read2_b32 v[52:53], v21 offset1:1
	;; [unrolled: 1-line block ×3, first 2 shown]
	v_mov_b32_e32 v16, s31
	s_waitcnt lgkmcnt(4)
	v_fma_f32 v13, -v10, v47, v13
	ds_read2_b32 v[56:57], v16 offset1:1
	s_waitcnt lgkmcnt(4)
	v_fma_f32 v13, -v11, v49, v13
	s_add_i32 s30, s45, s30
	s_waitcnt lgkmcnt(3)
	v_fma_f32 v13, -v15, v51, v13
	s_lshl_b32 s30, s30, 2
	s_add_i32 s29, s45, s29
	s_add_i32 s28, s45, s28
	;; [unrolled: 1-line block ×3, first 2 shown]
	s_waitcnt lgkmcnt(2)
	v_fma_f32 v13, -v17, v53, v13
	v_mov_b32_e32 v16, s30
	s_lshl_b32 s29, s29, 2
	s_lshl_b32 s28, s28, 2
	;; [unrolled: 1-line block ×3, first 2 shown]
	s_waitcnt lgkmcnt(1)
	v_fma_f32 v13, -v18, v55, v13
	v_mov_b32_e32 v21, s29
	v_mov_b32_e32 v23, s28
	;; [unrolled: 1-line block ×3, first 2 shown]
	ds_read2_b32 v[58:59], v16 offset1:1
	ds_read2_b32 v[60:61], v21 offset1:1
	;; [unrolled: 1-line block ×4, first 2 shown]
	s_add_i32 s25, s45, s25
	s_waitcnt lgkmcnt(4)
	v_fma_f32 v13, -v19, v57, v13
	s_lshl_b32 s25, s25, 2
	s_add_i32 s24, s45, s24
	s_add_i32 s23, s45, s23
	;; [unrolled: 1-line block ×3, first 2 shown]
	s_waitcnt lgkmcnt(3)
	v_fma_f32 v13, -v24, v59, v13
	v_mov_b32_e32 v16, s25
	s_lshl_b32 s24, s24, 2
	s_lshl_b32 s23, s23, 2
	s_lshl_b32 s21, s21, 2
	s_waitcnt lgkmcnt(2)
	v_fma_f32 v13, -v25, v61, v13
	v_mov_b32_e32 v21, s24
	v_mov_b32_e32 v23, s23
	ds_read2_b32 v[66:67], v16 offset1:1
	ds_read2_b32 v[68:69], v21 offset1:1
	;; [unrolled: 1-line block ×3, first 2 shown]
	v_mov_b32_e32 v16, s21
	s_waitcnt lgkmcnt(4)
	v_fma_f32 v13, -v27, v63, v13
	ds_read2_b32 v[72:73], v16 offset1:1
	s_waitcnt lgkmcnt(4)
	v_fma_f32 v13, -v29, v65, v13
	s_add_i32 s20, s45, s20
	s_waitcnt lgkmcnt(3)
	v_fma_f32 v13, -v32, v67, v13
	s_lshl_b32 s20, s20, 2
	s_add_i32 s19, s45, s19
	s_add_i32 s18, s45, s18
	;; [unrolled: 1-line block ×3, first 2 shown]
	s_waitcnt lgkmcnt(2)
	v_fma_f32 v13, -v33, v69, v13
	v_mov_b32_e32 v16, s20
	s_lshl_b32 s19, s19, 2
	s_lshl_b32 s18, s18, 2
	;; [unrolled: 1-line block ×3, first 2 shown]
	s_waitcnt lgkmcnt(1)
	v_fma_f32 v13, -v38, v71, v13
	v_mov_b32_e32 v21, s19
	v_mov_b32_e32 v23, s18
	;; [unrolled: 1-line block ×3, first 2 shown]
	ds_read2_b32 v[74:75], v16 offset1:1
	ds_read2_b32 v[76:77], v21 offset1:1
	;; [unrolled: 1-line block ×4, first 2 shown]
	s_add_i32 s14, s45, s14
	s_waitcnt lgkmcnt(4)
	v_fma_f32 v13, -v36, v73, v13
	s_lshl_b32 s14, s14, 2
	s_add_i32 s9, s45, s9
	s_add_i32 s45, s45, s8
	s_waitcnt lgkmcnt(3)
	v_fma_f32 v13, -v34, v75, v13
	v_mov_b32_e32 v16, s14
	s_lshl_b32 s9, s9, 2
	s_lshl_b32 s8, s45, 2
	s_waitcnt lgkmcnt(2)
	v_fma_f32 v13, -v30, v77, v13
	v_mov_b32_e32 v21, s9
	v_mov_b32_e32 v23, s8
	ds_read2_b32 v[82:83], v16 offset1:1
	ds_read2_b32 v[84:85], v21 offset1:1
	;; [unrolled: 1-line block ×3, first 2 shown]
	s_waitcnt lgkmcnt(4)
	v_fma_f32 v13, -v26, v79, v13
	s_waitcnt lgkmcnt(3)
	v_fma_f32 v13, -v28, v81, v13
	;; [unrolled: 2-line block ×4, first 2 shown]
	s_waitcnt lgkmcnt(0)
	v_mul_f32_e32 v13, v87, v13
	ds_write_b32 v2, v13 offset:3136
	v_fma_f32 v2, -v4, v20, v3
	v_fma_f32 v2, -v5, v22, v2
	;; [unrolled: 1-line block ×20, first 2 shown]
	s_add_i32 s8, s44, 0xfffff350
	v_fma_f32 v2, -v34, v74, v2
	v_mov_b32_e32 v16, s8
	v_fma_f32 v2, -v30, v76, v2
	ds_read_b32 v16, v16
	v_fma_f32 v2, -v26, v78, v2
	v_fma_f32 v2, -v28, v80, v2
	;; [unrolled: 1-line block ×5, first 2 shown]
	s_waitcnt lgkmcnt(0)
	v_mul_f32_e32 v2, v16, v2
	s_sub_i32 s8, s26, 29
	ds_write_b32 v1, v2 offset:3136
.LBB31_51:
	s_cmp_gt_i32 s8, -1
	s_cbranch_scc0 .LBB31_70
; %bb.52:
	s_cmp_lt_u32 s8, 23
	s_cbranch_scc1 .LBB31_57
; %bb.53:
	s_mul_i32 s9, s8, 28
	v_add_lshl_u32 v1, s9, v0, 2
	s_sub_i32 s14, s9, 28
	v_add_u32_e32 v2, 0x800, v1
	v_add_lshl_u32 v26, s14, v0, 2
	ds_read_b32 v25, v1 offset:3136
	ds_read_b32 v24, v26 offset:3136
	ds_read2_b32 v[22:23], v2 offset0:188 offset1:216
	ds_read2_b32 v[20:21], v2 offset0:132 offset1:160
	ds_read2_b32 v[18:19], v2 offset0:76 offset1:104
	ds_read2_b32 v[16:17], v2 offset0:20 offset1:48
	v_add_u32_e32 v2, 0x400, v1
	ds_read2_b32 v[14:15], v2 offset0:220 offset1:248
	ds_read2_b32 v[12:13], v2 offset0:164 offset1:192
	;; [unrolled: 1-line block ×4, first 2 shown]
	v_add_u32_e32 v2, 0x200, v1
	ds_read2_b32 v[6:7], v2 offset0:124 offset1:152
	ds_read2_b32 v[4:5], v1 offset0:196 offset1:224
	;; [unrolled: 1-line block ×3, first 2 shown]
	s_cmp_le_i32 s6, s8
	s_cbranch_scc1 .LBB31_56
; %bb.54:
	s_mul_i32 s18, s26, 0x70
	s_lshl_b32 s15, s8, 2
	s_add_i32 s15, s18, s15
	v_lshl_add_u32 v27, v0, 2, s18
	s_addk_i32 s15, 0xff34
	v_add_u32_e32 v27, 0xbd0, v27
	s_mov_b32 s18, s6
.LBB31_55:                              ; =>This Inner Loop Header: Depth=1
	v_mov_b32_e32 v29, s15
	ds_read_b32 v28, v27
	ds_read2_b32 v[30:31], v29 offset0:22 offset1:23
	ds_read2_b32 v[32:33], v29 offset0:20 offset1:21
	;; [unrolled: 1-line block ×11, first 2 shown]
	ds_read2_b32 v[52:53], v29 offset1:1
	s_add_i32 s18, s18, -1
	s_addk_i32 s15, 0xff90
	v_add_u32_e32 v27, 0xffffff90, v27
	s_cmp_gt_i32 s18, s8
	s_waitcnt lgkmcnt(11)
	v_pk_fma_f32 v[24:25], v[28:29], v[30:31], v[24:25] op_sel_hi:[0,1,1] neg_lo:[1,0,0] neg_hi:[1,0,0]
	s_waitcnt lgkmcnt(10)
	v_pk_fma_f32 v[22:23], v[28:29], v[32:33], v[22:23] op_sel_hi:[0,1,1] neg_lo:[1,0,0] neg_hi:[1,0,0]
	;; [unrolled: 2-line block ×12, first 2 shown]
	s_cbranch_scc1 .LBB31_55
.LBB31_56:
	s_mul_i32 s15, s8, 0x74
	s_add_i32 s18, s15, -4
	v_add_u32_e32 v27, 0xc40, v1
	v_mov_b32_e32 v1, s18
	s_add_i32 s18, s15, 0xffffff8c
	s_add_i32 s19, s8, -3
	v_mov_b32_e32 v30, s18
	s_add_i32 s18, s19, s9
	ds_read2_b32 v[28:29], v1 offset1:1
	s_lshl_b32 s18, s18, 2
	v_mov_b32_e32 v31, s18
	s_add_i32 s18, s19, s14
	s_lshl_b32 s18, s18, 2
	v_mov_b32_e32 v1, s18
	ds_read_b32 v34, v30
	ds_read2_b32 v[30:31], v31 offset1:1
	ds_read2_b32 v[32:33], v1 offset1:1
	s_sub_i32 s18, s14, 28
	s_waitcnt lgkmcnt(3)
	v_mul_f32_e32 v1, v29, v25
	s_add_i32 s19, s19, s18
	v_fma_f32 v24, -v1, v28, v24
	s_lshl_b32 s19, s19, 2
	v_add_u32_e32 v26, 0xc40, v26
	s_waitcnt lgkmcnt(2)
	v_mul_f32_e32 v24, v34, v24
	v_mov_b32_e32 v25, s19
	s_add_i32 s19, s15, 0xfffffea4
	s_add_i32 s21, s8, -5
	ds_write_b32 v27, v1
	ds_write_b32 v26, v24
	v_mov_b32_e32 v28, s19
	s_add_i32 s19, s21, s9
	ds_read2_b32 v[26:27], v25 offset1:1
	s_lshl_b32 s19, s19, 2
	v_mov_b32_e32 v29, s19
	s_add_i32 s19, s21, s14
	s_waitcnt lgkmcnt(4)
	v_fma_f32 v23, -v1, v31, v23
	s_lshl_b32 s19, s19, 2
	s_waitcnt lgkmcnt(3)
	v_fma_f32 v23, -v24, v33, v23
	v_mov_b32_e32 v25, s19
	ds_read_b32 v31, v28
	ds_read2_b32 v[28:29], v29 offset1:1
	ds_read2_b32 v[34:35], v25 offset1:1
	v_fma_f32 v22, -v1, v30, v22
	s_waitcnt lgkmcnt(3)
	v_mul_f32_e32 v23, v27, v23
	v_fma_f32 v22, -v24, v32, v22
	v_add_lshl_u32 v25, s18, v0, 2
	v_fma_f32 v22, -v23, v26, v22
	s_sub_i32 s19, s14, 56
	s_add_i32 s20, s21, s18
	ds_write_b32 v25, v23 offset:3136
	s_waitcnt lgkmcnt(3)
	v_mul_f32_e32 v22, v31, v22
	v_add_lshl_u32 v25, s19, v0, 2
	s_lshl_b32 s20, s20, 2
	ds_write_b32 v25, v22 offset:3136
	v_mov_b32_e32 v25, s20
	s_add_i32 s20, s21, s19
	s_lshl_b32 s20, s20, 2
	s_waitcnt lgkmcnt(3)
	v_fma_f32 v21, -v1, v29, v21
	v_mov_b32_e32 v29, s20
	s_add_i32 s20, s14, 0xffffffac
	s_add_i32 s21, s21, s20
	s_lshl_b32 s21, s21, 2
	v_mov_b32_e32 v32, s21
	s_add_i32 s21, s15, 0xfffffdbc
	ds_read2_b32 v[26:27], v25 offset1:1
	ds_read2_b32 v[30:31], v29 offset1:1
	;; [unrolled: 1-line block ×3, first 2 shown]
	v_mov_b32_e32 v25, s21
	s_waitcnt lgkmcnt(5)
	v_fma_f32 v21, -v24, v35, v21
	ds_read_b32 v25, v25
	v_fma_f32 v20, -v1, v28, v20
	s_waitcnt lgkmcnt(3)
	v_fma_f32 v21, -v23, v27, v21
	v_fma_f32 v20, -v24, v34, v20
	s_waitcnt lgkmcnt(2)
	v_fma_f32 v21, -v22, v31, v21
	v_fma_f32 v20, -v23, v26, v20
	s_waitcnt lgkmcnt(1)
	v_mul_f32_e32 v21, v33, v21
	v_fma_f32 v20, -v22, v30, v20
	s_add_i32 s24, s8, -7
	v_fma_f32 v20, -v21, v32, v20
	s_add_i32 s21, s14, 0xffffff90
	s_add_i32 s23, s24, s9
	s_waitcnt lgkmcnt(0)
	v_mul_f32_e32 v20, v25, v20
	v_add_lshl_u32 v25, s21, v0, 2
	s_lshl_b32 s23, s23, 2
	ds_write_b32 v25, v20 offset:3136
	v_mov_b32_e32 v25, s23
	s_add_i32 s23, s24, s14
	s_lshl_b32 s23, s23, 2
	v_mov_b32_e32 v28, s23
	s_add_i32 s23, s24, s18
	s_lshl_b32 s23, s23, 2
	v_add_lshl_u32 v27, s20, v0, 2
	v_mov_b32_e32 v30, s23
	s_add_i32 s23, s24, s19
	ds_write_b32 v27, v21 offset:3136
	s_lshl_b32 s23, s23, 2
	ds_read2_b32 v[26:27], v25 offset1:1
	ds_read2_b32 v[28:29], v28 offset1:1
	;; [unrolled: 1-line block ×3, first 2 shown]
	v_mov_b32_e32 v25, s23
	s_add_i32 s23, s24, s20
	s_lshl_b32 s23, s23, 2
	ds_read2_b32 v[32:33], v25 offset1:1
	v_mov_b32_e32 v25, s23
	s_add_i32 s23, s24, s21
	s_lshl_b32 s23, s23, 2
	s_waitcnt lgkmcnt(3)
	v_fma_f32 v19, -v1, v27, v19
	v_mov_b32_e32 v27, s23
	s_add_i32 s23, s15, 0xfffffd48
	ds_read2_b32 v[34:35], v25 offset1:1
	ds_read2_b32 v[36:37], v27 offset1:1
	v_mov_b32_e32 v25, s23
	s_waitcnt lgkmcnt(4)
	v_fma_f32 v19, -v24, v29, v19
	ds_read_b32 v25, v25
	s_waitcnt lgkmcnt(4)
	v_fma_f32 v19, -v23, v31, v19
	s_waitcnt lgkmcnt(3)
	v_fma_f32 v19, -v22, v33, v19
	;; [unrolled: 2-line block ×3, first 2 shown]
	s_add_i32 s23, s14, 0xffffff74
	s_waitcnt lgkmcnt(1)
	v_fma_f32 v19, -v20, v37, v19
	s_add_i32 s24, s24, s23
	s_waitcnt lgkmcnt(0)
	v_mul_f32_e32 v19, v25, v19
	v_add_lshl_u32 v25, s23, v0, 2
	s_lshl_b32 s24, s24, 2
	ds_write_b32 v25, v19 offset:3136
	v_fma_f32 v18, -v1, v26, v18
	v_mov_b32_e32 v25, s24
	s_add_i32 s24, s15, 0xfffffcd4
	v_fma_f32 v18, -v24, v28, v18
	ds_read_b32 v25, v25
	v_mov_b32_e32 v26, s24
	v_fma_f32 v18, -v23, v30, v18
	ds_read_b32 v26, v26
	v_fma_f32 v18, -v22, v32, v18
	v_fma_f32 v18, -v21, v34, v18
	s_add_i32 s27, s8, -9
	v_fma_f32 v18, -v20, v36, v18
	s_add_i32 s25, s27, s9
	s_waitcnt lgkmcnt(1)
	v_fma_f32 v18, -v19, v25, v18
	s_lshl_b32 s25, s25, 2
	s_waitcnt lgkmcnt(0)
	v_mul_f32_e32 v18, v26, v18
	v_mov_b32_e32 v26, s25
	s_add_i32 s25, s27, s14
	s_lshl_b32 s25, s25, 2
	v_mov_b32_e32 v28, s25
	s_add_i32 s25, s27, s18
	s_lshl_b32 s25, s25, 2
	;; [unrolled: 3-line block ×3, first 2 shown]
	s_add_i32 s24, s14, 0xffffff58
	v_mov_b32_e32 v32, s25
	s_add_i32 s25, s27, s20
	v_add_lshl_u32 v25, s24, v0, 2
	s_lshl_b32 s25, s25, 2
	ds_read2_b32 v[26:27], v26 offset1:1
	ds_read2_b32 v[28:29], v28 offset1:1
	;; [unrolled: 1-line block ×4, first 2 shown]
	ds_write_b32 v25, v18 offset:3136
	v_mov_b32_e32 v25, s25
	s_add_i32 s25, s27, s21
	s_lshl_b32 s25, s25, 2
	s_waitcnt lgkmcnt(4)
	v_fma_f32 v17, -v1, v27, v17
	v_mov_b32_e32 v27, s25
	s_add_i32 s25, s27, s23
	s_lshl_b32 s25, s25, 2
	s_waitcnt lgkmcnt(3)
	v_fma_f32 v17, -v24, v29, v17
	v_mov_b32_e32 v29, s25
	s_add_i32 s25, s27, s24
	ds_read2_b32 v[34:35], v25 offset1:1
	s_lshl_b32 s25, s25, 2
	v_mov_b32_e32 v25, s25
	s_add_i32 s25, s15, 0xfffffc60
	s_waitcnt lgkmcnt(3)
	v_fma_f32 v17, -v23, v31, v17
	ds_read2_b32 v[36:37], v27 offset1:1
	ds_read2_b32 v[38:39], v29 offset1:1
	ds_read2_b32 v[40:41], v25 offset1:1
	v_mov_b32_e32 v25, s25
	s_waitcnt lgkmcnt(5)
	v_fma_f32 v17, -v22, v33, v17
	ds_read_b32 v25, v25
	s_waitcnt lgkmcnt(4)
	v_fma_f32 v17, -v21, v35, v17
	s_waitcnt lgkmcnt(3)
	v_fma_f32 v17, -v20, v37, v17
	;; [unrolled: 2-line block ×3, first 2 shown]
	s_add_i32 s25, s14, 0xffffff3c
	s_waitcnt lgkmcnt(1)
	v_fma_f32 v17, -v18, v41, v17
	v_fma_f32 v16, -v1, v26, v16
	s_add_i32 s27, s27, s25
	s_waitcnt lgkmcnt(0)
	v_mul_f32_e32 v17, v25, v17
	v_add_lshl_u32 v25, s25, v0, 2
	v_fma_f32 v16, -v24, v28, v16
	s_lshl_b32 s27, s27, 2
	ds_write_b32 v25, v17 offset:3136
	v_fma_f32 v16, -v23, v30, v16
	v_mov_b32_e32 v25, s27
	s_add_i32 s27, s15, 0xfffffbec
	v_fma_f32 v16, -v22, v32, v16
	ds_read_b32 v25, v25
	v_mov_b32_e32 v26, s27
	v_fma_f32 v16, -v21, v34, v16
	ds_read_b32 v26, v26
	v_fma_f32 v16, -v20, v36, v16
	v_fma_f32 v16, -v19, v38, v16
	;; [unrolled: 1-line block ×3, first 2 shown]
	s_add_i32 s29, s8, -11
	s_waitcnt lgkmcnt(1)
	v_fma_f32 v16, -v17, v25, v16
	s_add_i32 s27, s14, 0xffffff20
	s_add_i32 s28, s29, s9
	s_waitcnt lgkmcnt(0)
	v_mul_f32_e32 v16, v26, v16
	v_add_lshl_u32 v25, s27, v0, 2
	s_lshl_b32 s28, s28, 2
	ds_write_b32 v25, v16 offset:3136
	v_mov_b32_e32 v25, s28
	s_add_i32 s28, s29, s14
	s_lshl_b32 s28, s28, 2
	v_mov_b32_e32 v28, s28
	s_add_i32 s28, s29, s18
	s_lshl_b32 s28, s28, 2
	;; [unrolled: 3-line block ×3, first 2 shown]
	ds_read2_b32 v[26:27], v25 offset1:1
	ds_read2_b32 v[28:29], v28 offset1:1
	;; [unrolled: 1-line block ×3, first 2 shown]
	v_mov_b32_e32 v25, s28
	s_add_i32 s28, s29, s20
	s_lshl_b32 s28, s28, 2
	ds_read2_b32 v[32:33], v25 offset1:1
	v_mov_b32_e32 v25, s28
	s_add_i32 s28, s29, s21
	s_lshl_b32 s28, s28, 2
	s_waitcnt lgkmcnt(3)
	v_fma_f32 v15, -v1, v27, v15
	v_mov_b32_e32 v27, s28
	s_add_i32 s28, s29, s23
	s_lshl_b32 s28, s28, 2
	s_waitcnt lgkmcnt(2)
	v_fma_f32 v15, -v24, v29, v15
	;; [unrolled: 5-line block ×3, first 2 shown]
	v_mov_b32_e32 v31, s28
	s_add_i32 s28, s29, s25
	s_lshl_b32 s28, s28, 2
	ds_read2_b32 v[34:35], v25 offset1:1
	ds_read2_b32 v[36:37], v27 offset1:1
	;; [unrolled: 1-line block ×4, first 2 shown]
	v_mov_b32_e32 v25, s28
	s_add_i32 s28, s29, s27
	s_lshl_b32 s28, s28, 2
	v_fma_f32 v14, -v1, v26, v14
	v_mov_b32_e32 v27, s28
	s_add_i32 s28, s9, 0xfffffee8
	v_fma_f32 v14, -v24, v28, v14
	s_add_i32 s31, s8, -13
	s_waitcnt lgkmcnt(4)
	v_fma_f32 v15, -v22, v33, v15
	s_add_i32 s29, s29, s28
	v_fma_f32 v14, -v23, v30, v14
	s_add_i32 s30, s31, s9
	s_waitcnt lgkmcnt(3)
	v_fma_f32 v15, -v21, v35, v15
	s_lshl_b32 s29, s29, 2
	v_fma_f32 v14, -v22, v32, v14
	s_lshl_b32 s30, s30, 2
	s_waitcnt lgkmcnt(2)
	v_fma_f32 v15, -v20, v37, v15
	v_mov_b32_e32 v29, s29
	s_add_i32 s29, s15, 0xfffffb04
	ds_read2_b32 v[42:43], v25 offset1:1
	ds_read2_b32 v[44:45], v27 offset1:1
	;; [unrolled: 1-line block ×3, first 2 shown]
	v_fma_f32 v14, -v21, v34, v14
	v_mov_b32_e32 v26, s30
	s_add_i32 s30, s31, s14
	s_waitcnt lgkmcnt(4)
	v_fma_f32 v15, -v19, v39, v15
	v_mov_b32_e32 v25, s29
	v_fma_f32 v14, -v20, v36, v14
	s_lshl_b32 s30, s30, 2
	s_waitcnt lgkmcnt(3)
	v_fma_f32 v15, -v18, v41, v15
	ds_read_b32 v25, v25
	v_fma_f32 v14, -v19, v38, v14
	v_mov_b32_e32 v28, s30
	s_add_i32 s30, s31, s18
	s_waitcnt lgkmcnt(3)
	v_fma_f32 v15, -v17, v43, v15
	v_fma_f32 v14, -v18, v40, v14
	s_lshl_b32 s30, s30, 2
	s_waitcnt lgkmcnt(2)
	v_fma_f32 v15, -v16, v45, v15
	v_fma_f32 v14, -v17, v42, v14
	v_mov_b32_e32 v30, s30
	s_add_i32 s30, s31, s19
	s_waitcnt lgkmcnt(1)
	v_mul_f32_e32 v15, v47, v15
	v_fma_f32 v14, -v16, v44, v14
	s_lshl_b32 s30, s30, 2
	v_add_lshl_u32 v27, s28, v0, 2
	v_fma_f32 v14, -v15, v46, v14
	s_add_i32 s29, s9, 0xfffffecc
	v_mov_b32_e32 v32, s30
	s_add_i32 s30, s31, s20
	ds_write_b32 v27, v15 offset:3136
	s_waitcnt lgkmcnt(1)
	v_mul_f32_e32 v14, v25, v14
	v_add_lshl_u32 v25, s29, v0, 2
	s_lshl_b32 s30, s30, 2
	ds_read2_b32 v[26:27], v26 offset1:1
	ds_read2_b32 v[28:29], v28 offset1:1
	;; [unrolled: 1-line block ×4, first 2 shown]
	ds_write_b32 v25, v14 offset:3136
	v_mov_b32_e32 v25, s30
	s_add_i32 s30, s31, s21
	s_lshl_b32 s30, s30, 2
	s_waitcnt lgkmcnt(4)
	v_fma_f32 v13, -v1, v27, v13
	v_mov_b32_e32 v27, s30
	s_add_i32 s30, s31, s23
	s_lshl_b32 s30, s30, 2
	s_waitcnt lgkmcnt(3)
	v_fma_f32 v13, -v24, v29, v13
	v_mov_b32_e32 v29, s30
	s_add_i32 s30, s31, s24
	s_lshl_b32 s30, s30, 2
	ds_read2_b32 v[34:35], v25 offset1:1
	ds_read2_b32 v[36:37], v27 offset1:1
	;; [unrolled: 1-line block ×3, first 2 shown]
	v_mov_b32_e32 v25, s30
	s_add_i32 s30, s31, s25
	s_lshl_b32 s30, s30, 2
	ds_read2_b32 v[40:41], v25 offset1:1
	v_mov_b32_e32 v25, s30
	s_add_i32 s30, s31, s27
	s_lshl_b32 s30, s30, 2
	v_mov_b32_e32 v27, s30
	s_add_i32 s30, s31, s28
	s_lshl_b32 s30, s30, 2
	v_mov_b32_e32 v29, s30
	s_add_i32 s30, s31, s29
	v_fma_f32 v12, -v1, v26, v12
	s_waitcnt lgkmcnt(6)
	v_fma_f32 v13, -v23, v31, v13
	s_lshl_b32 s30, s30, 2
	v_fma_f32 v12, -v24, v28, v12
	s_waitcnt lgkmcnt(5)
	v_fma_f32 v13, -v22, v33, v13
	v_mov_b32_e32 v31, s30
	s_add_i32 s30, s9, 0xfffffeb0
	v_fma_f32 v12, -v23, v30, v12
	s_waitcnt lgkmcnt(3)
	v_fma_f32 v13, -v21, v35, v13
	s_add_i32 s31, s31, s30
	v_fma_f32 v12, -v22, v32, v12
	s_waitcnt lgkmcnt(2)
	v_fma_f32 v13, -v20, v37, v13
	s_lshl_b32 s31, s31, 2
	v_fma_f32 v12, -v21, v34, v12
	s_waitcnt lgkmcnt(1)
	v_fma_f32 v13, -v19, v39, v13
	ds_read2_b32 v[42:43], v25 offset1:1
	ds_read2_b32 v[44:45], v27 offset1:1
	;; [unrolled: 1-line block ×4, first 2 shown]
	v_mov_b32_e32 v25, s31
	s_add_i32 s31, s15, 0xfffffa1c
	s_add_i32 s34, s8, -15
	v_fma_f32 v12, -v20, v36, v12
	s_waitcnt lgkmcnt(4)
	v_fma_f32 v13, -v18, v41, v13
	v_mov_b32_e32 v27, s31
	s_add_i32 s31, s34, s9
	ds_read2_b32 v[50:51], v25 offset1:1
	v_fma_f32 v12, -v19, v38, v12
	s_waitcnt lgkmcnt(4)
	v_fma_f32 v13, -v17, v43, v13
	s_lshl_b32 s31, s31, 2
	v_fma_f32 v12, -v18, v40, v12
	s_waitcnt lgkmcnt(3)
	v_fma_f32 v13, -v16, v45, v13
	v_mov_b32_e32 v29, s31
	s_add_i32 s31, s34, s14
	v_fma_f32 v12, -v17, v42, v12
	s_waitcnt lgkmcnt(2)
	v_fma_f32 v13, -v15, v47, v13
	s_lshl_b32 s31, s31, 2
	v_fma_f32 v12, -v16, v44, v12
	s_waitcnt lgkmcnt(1)
	v_fma_f32 v13, -v14, v49, v13
	v_mov_b32_e32 v25, s31
	ds_read_b32 v27, v27
	ds_read2_b32 v[52:53], v29 offset1:1
	ds_read2_b32 v[54:55], v25 offset1:1
	v_fma_f32 v12, -v15, v46, v12
	s_waitcnt lgkmcnt(3)
	v_mul_f32_e32 v13, v51, v13
	v_fma_f32 v12, -v14, v48, v12
	v_add_lshl_u32 v25, s30, v0, 2
	v_fma_f32 v12, -v13, v50, v12
	s_add_i32 s31, s9, 0xfffffe94
	s_add_i32 s33, s34, s18
	ds_write_b32 v25, v13 offset:3136
	s_waitcnt lgkmcnt(3)
	v_mul_f32_e32 v12, v27, v12
	v_add_lshl_u32 v25, s31, v0, 2
	s_lshl_b32 s33, s33, 2
	ds_write_b32 v25, v12 offset:3136
	v_mov_b32_e32 v25, s33
	s_add_i32 s33, s34, s19
	s_lshl_b32 s33, s33, 2
	v_mov_b32_e32 v28, s33
	s_add_i32 s33, s34, s20
	s_lshl_b32 s33, s33, 2
	;; [unrolled: 3-line block ×4, first 2 shown]
	s_waitcnt lgkmcnt(3)
	v_fma_f32 v11, -v1, v53, v11
	ds_read2_b32 v[26:27], v25 offset1:1
	ds_read2_b32 v[28:29], v28 offset1:1
	;; [unrolled: 1-line block ×4, first 2 shown]
	v_mov_b32_e32 v25, s33
	s_add_i32 s33, s34, s24
	s_waitcnt lgkmcnt(6)
	v_fma_f32 v11, -v24, v55, v11
	s_lshl_b32 s33, s33, 2
	s_waitcnt lgkmcnt(3)
	v_fma_f32 v11, -v23, v27, v11
	v_mov_b32_e32 v27, s33
	s_add_i32 s33, s34, s25
	s_lshl_b32 s33, s33, 2
	s_waitcnt lgkmcnt(2)
	v_fma_f32 v11, -v22, v29, v11
	v_mov_b32_e32 v29, s33
	s_add_i32 s33, s34, s27
	s_lshl_b32 s33, s33, 2
	ds_read2_b32 v[34:35], v25 offset1:1
	ds_read2_b32 v[36:37], v27 offset1:1
	;; [unrolled: 1-line block ×3, first 2 shown]
	v_mov_b32_e32 v25, s33
	s_add_i32 s33, s34, s28
	s_lshl_b32 s33, s33, 2
	ds_read2_b32 v[40:41], v25 offset1:1
	v_mov_b32_e32 v25, s33
	s_add_i32 s33, s34, s29
	s_lshl_b32 s33, s33, 2
	v_mov_b32_e32 v27, s33
	s_add_i32 s33, s34, s30
	v_fma_f32 v10, -v1, v52, v10
	s_lshl_b32 s33, s33, 2
	v_fma_f32 v10, -v24, v54, v10
	v_mov_b32_e32 v29, s33
	s_add_i32 s33, s34, s31
	v_fma_f32 v10, -v23, v26, v10
	s_waitcnt lgkmcnt(5)
	v_fma_f32 v11, -v21, v31, v11
	s_lshl_b32 s33, s33, 2
	v_fma_f32 v10, -v22, v28, v10
	s_waitcnt lgkmcnt(4)
	v_fma_f32 v11, -v20, v33, v11
	v_mov_b32_e32 v31, s33
	s_add_i32 s33, s9, 0xfffffe78
	v_fma_f32 v10, -v21, v30, v10
	s_waitcnt lgkmcnt(3)
	v_fma_f32 v11, -v19, v35, v11
	s_add_i32 s34, s34, s33
	v_fma_f32 v10, -v20, v32, v10
	s_waitcnt lgkmcnt(2)
	v_fma_f32 v11, -v18, v37, v11
	s_lshl_b32 s34, s34, 2
	v_fma_f32 v10, -v19, v34, v10
	s_waitcnt lgkmcnt(1)
	v_fma_f32 v11, -v17, v39, v11
	ds_read2_b32 v[42:43], v25 offset1:1
	ds_read2_b32 v[44:45], v27 offset1:1
	;; [unrolled: 1-line block ×4, first 2 shown]
	v_mov_b32_e32 v25, s34
	s_add_i32 s34, s15, 0xfffff934
	s_sub_i32 s36, s8, 17
	v_fma_f32 v10, -v18, v36, v10
	s_waitcnt lgkmcnt(4)
	v_fma_f32 v11, -v16, v41, v11
	v_mov_b32_e32 v27, s34
	s_add_i32 s34, s36, s9
	ds_read2_b32 v[50:51], v25 offset1:1
	v_fma_f32 v10, -v17, v38, v10
	s_waitcnt lgkmcnt(4)
	v_fma_f32 v11, -v15, v43, v11
	s_lshl_b32 s34, s34, 2
	v_fma_f32 v10, -v16, v40, v10
	s_waitcnt lgkmcnt(3)
	v_fma_f32 v11, -v14, v45, v11
	v_mov_b32_e32 v29, s34
	s_add_i32 s34, s36, s14
	v_fma_f32 v10, -v15, v42, v10
	s_waitcnt lgkmcnt(2)
	v_fma_f32 v11, -v13, v47, v11
	s_lshl_b32 s34, s34, 2
	v_fma_f32 v10, -v14, v44, v10
	s_waitcnt lgkmcnt(1)
	v_fma_f32 v11, -v12, v49, v11
	v_mov_b32_e32 v25, s34
	ds_read_b32 v27, v27
	ds_read2_b32 v[56:57], v29 offset1:1
	ds_read2_b32 v[58:59], v25 offset1:1
	v_fma_f32 v10, -v13, v46, v10
	s_waitcnt lgkmcnt(3)
	v_mul_f32_e32 v11, v51, v11
	v_fma_f32 v10, -v12, v48, v10
	v_add_lshl_u32 v25, s33, v0, 2
	v_fma_f32 v10, -v11, v50, v10
	s_add_i32 s34, s9, 0xfffffe5c
	s_add_i32 s35, s36, s18
	ds_write_b32 v25, v11 offset:3136
	s_waitcnt lgkmcnt(3)
	v_mul_f32_e32 v10, v27, v10
	v_add_lshl_u32 v25, s34, v0, 2
	s_lshl_b32 s35, s35, 2
	ds_write_b32 v25, v10 offset:3136
	v_mov_b32_e32 v25, s35
	s_add_i32 s35, s36, s19
	s_lshl_b32 s35, s35, 2
	v_mov_b32_e32 v28, s35
	s_add_i32 s35, s36, s20
	s_lshl_b32 s35, s35, 2
	;; [unrolled: 3-line block ×4, first 2 shown]
	s_waitcnt lgkmcnt(3)
	v_fma_f32 v9, -v1, v57, v9
	ds_read2_b32 v[26:27], v25 offset1:1
	ds_read2_b32 v[28:29], v28 offset1:1
	;; [unrolled: 1-line block ×4, first 2 shown]
	v_mov_b32_e32 v25, s35
	s_add_i32 s35, s36, s24
	s_waitcnt lgkmcnt(6)
	v_fma_f32 v9, -v24, v59, v9
	s_lshl_b32 s35, s35, 2
	s_waitcnt lgkmcnt(3)
	v_fma_f32 v9, -v23, v27, v9
	v_mov_b32_e32 v27, s35
	s_add_i32 s35, s36, s25
	s_lshl_b32 s35, s35, 2
	s_waitcnt lgkmcnt(2)
	v_fma_f32 v9, -v22, v29, v9
	v_mov_b32_e32 v29, s35
	s_add_i32 s35, s36, s27
	s_lshl_b32 s35, s35, 2
	ds_read2_b32 v[34:35], v25 offset1:1
	ds_read2_b32 v[36:37], v27 offset1:1
	;; [unrolled: 1-line block ×3, first 2 shown]
	v_mov_b32_e32 v25, s35
	s_add_i32 s35, s36, s28
	s_lshl_b32 s35, s35, 2
	ds_read2_b32 v[40:41], v25 offset1:1
	v_mov_b32_e32 v25, s35
	s_add_i32 s35, s36, s29
	s_lshl_b32 s35, s35, 2
	v_mov_b32_e32 v27, s35
	s_add_i32 s35, s36, s30
	s_lshl_b32 s35, s35, 2
	v_fma_f32 v8, -v1, v56, v8
	v_mov_b32_e32 v29, s35
	s_add_i32 s35, s36, s31
	v_fma_f32 v8, -v24, v58, v8
	s_lshl_b32 s35, s35, 2
	v_fma_f32 v8, -v23, v26, v8
	s_waitcnt lgkmcnt(5)
	v_fma_f32 v9, -v21, v31, v9
	v_mov_b32_e32 v31, s35
	s_add_i32 s35, s36, s33
	v_fma_f32 v8, -v22, v28, v8
	s_waitcnt lgkmcnt(4)
	v_fma_f32 v9, -v20, v33, v9
	s_lshl_b32 s35, s35, 2
	v_fma_f32 v8, -v21, v30, v8
	s_waitcnt lgkmcnt(3)
	v_fma_f32 v9, -v19, v35, v9
	ds_read2_b32 v[42:43], v25 offset1:1
	ds_read2_b32 v[44:45], v27 offset1:1
	;; [unrolled: 1-line block ×4, first 2 shown]
	v_mov_b32_e32 v25, s35
	s_add_i32 s35, s36, s34
	v_fma_f32 v8, -v20, v32, v8
	s_waitcnt lgkmcnt(6)
	v_fma_f32 v9, -v18, v37, v9
	s_lshl_b32 s35, s35, 2
	v_fma_f32 v8, -v19, v34, v8
	s_waitcnt lgkmcnt(5)
	v_fma_f32 v9, -v17, v39, v9
	v_mov_b32_e32 v27, s35
	s_add_i32 s35, s9, 0xfffffe40
	v_fma_f32 v8, -v18, v36, v8
	s_waitcnt lgkmcnt(4)
	v_fma_f32 v9, -v16, v41, v9
	s_add_i32 s36, s36, s35
	v_fma_f32 v8, -v17, v38, v8
	s_waitcnt lgkmcnt(3)
	v_fma_f32 v9, -v15, v43, v9
	s_lshl_b32 s36, s36, 2
	v_fma_f32 v8, -v16, v40, v8
	s_waitcnt lgkmcnt(2)
	v_fma_f32 v9, -v14, v45, v9
	v_mov_b32_e32 v29, s36
	s_add_i32 s36, s15, 0xfffff84c
	ds_read2_b32 v[50:51], v25 offset1:1
	ds_read2_b32 v[52:53], v27 offset1:1
	;; [unrolled: 1-line block ×3, first 2 shown]
	v_fma_f32 v8, -v15, v42, v8
	s_waitcnt lgkmcnt(4)
	v_fma_f32 v9, -v13, v47, v9
	v_mov_b32_e32 v25, s36
	v_fma_f32 v8, -v14, v44, v8
	s_waitcnt lgkmcnt(3)
	v_fma_f32 v9, -v12, v49, v9
	ds_read_b32 v25, v25
	v_fma_f32 v8, -v13, v46, v8
	s_waitcnt lgkmcnt(3)
	v_fma_f32 v9, -v11, v51, v9
	v_fma_f32 v8, -v12, v48, v8
	s_waitcnt lgkmcnt(2)
	v_fma_f32 v9, -v10, v53, v9
	v_fma_f32 v8, -v11, v50, v8
	s_waitcnt lgkmcnt(1)
	v_mul_f32_e32 v9, v55, v9
	v_fma_f32 v8, -v10, v52, v8
	s_sub_i32 s38, s8, 19
	v_fma_f32 v8, -v9, v54, v8
	s_add_i32 s36, s9, 0xfffffe24
	s_add_i32 s37, s38, s9
	s_waitcnt lgkmcnt(0)
	v_mul_f32_e32 v8, v25, v8
	v_add_lshl_u32 v25, s36, v0, 2
	s_lshl_b32 s37, s37, 2
	ds_write_b32 v25, v8 offset:3136
	v_mov_b32_e32 v25, s37
	s_add_i32 s37, s38, s14
	s_lshl_b32 s37, s37, 2
	v_mov_b32_e32 v28, s37
	s_add_i32 s37, s38, s18
	s_lshl_b32 s37, s37, 2
	v_add_lshl_u32 v27, s35, v0, 2
	v_mov_b32_e32 v30, s37
	s_add_i32 s37, s38, s19
	ds_write_b32 v27, v9 offset:3136
	s_lshl_b32 s37, s37, 2
	ds_read2_b32 v[26:27], v25 offset1:1
	ds_read2_b32 v[28:29], v28 offset1:1
	;; [unrolled: 1-line block ×3, first 2 shown]
	v_mov_b32_e32 v25, s37
	s_add_i32 s37, s38, s20
	s_lshl_b32 s37, s37, 2
	ds_read2_b32 v[32:33], v25 offset1:1
	v_mov_b32_e32 v25, s37
	s_add_i32 s37, s38, s21
	s_lshl_b32 s37, s37, 2
	s_waitcnt lgkmcnt(3)
	v_fma_f32 v7, -v1, v27, v7
	v_mov_b32_e32 v27, s37
	s_add_i32 s37, s38, s23
	s_lshl_b32 s37, s37, 2
	s_waitcnt lgkmcnt(2)
	v_fma_f32 v7, -v24, v29, v7
	;; [unrolled: 5-line block ×3, first 2 shown]
	v_mov_b32_e32 v31, s37
	s_add_i32 s37, s38, s25
	s_lshl_b32 s37, s37, 2
	ds_read2_b32 v[34:35], v25 offset1:1
	ds_read2_b32 v[36:37], v27 offset1:1
	;; [unrolled: 1-line block ×4, first 2 shown]
	v_mov_b32_e32 v25, s37
	s_add_i32 s37, s38, s27
	s_lshl_b32 s37, s37, 2
	v_mov_b32_e32 v27, s37
	s_add_i32 s37, s38, s28
	s_lshl_b32 s37, s37, 2
	;; [unrolled: 3-line block ×3, first 2 shown]
	ds_read2_b32 v[42:43], v25 offset1:1
	ds_read2_b32 v[44:45], v27 offset1:1
	;; [unrolled: 1-line block ×3, first 2 shown]
	v_mov_b32_e32 v25, s37
	s_add_i32 s37, s38, s30
	s_lshl_b32 s37, s37, 2
	ds_read2_b32 v[48:49], v25 offset1:1
	v_mov_b32_e32 v25, s37
	s_add_i32 s37, s38, s31
	s_lshl_b32 s37, s37, 2
	v_fma_f32 v6, -v1, v26, v6
	v_mov_b32_e32 v27, s37
	s_add_i32 s37, s38, s33
	v_fma_f32 v6, -v24, v28, v6
	s_waitcnt lgkmcnt(8)
	v_fma_f32 v7, -v22, v33, v7
	s_lshl_b32 s37, s37, 2
	v_fma_f32 v6, -v23, v30, v6
	s_waitcnt lgkmcnt(7)
	v_fma_f32 v7, -v21, v35, v7
	v_mov_b32_e32 v29, s37
	s_add_i32 s37, s38, s34
	v_fma_f32 v6, -v22, v32, v6
	s_waitcnt lgkmcnt(6)
	v_fma_f32 v7, -v20, v37, v7
	s_lshl_b32 s37, s37, 2
	v_fma_f32 v6, -v21, v34, v6
	s_waitcnt lgkmcnt(5)
	;; [unrolled: 9-line block ×3, first 2 shown]
	v_fma_f32 v7, -v17, v43, v7
	ds_read2_b32 v[50:51], v25 offset1:1
	ds_read2_b32 v[52:53], v27 offset1:1
	;; [unrolled: 1-line block ×4, first 2 shown]
	v_mov_b32_e32 v25, s37
	s_add_i32 s37, s38, s36
	v_fma_f32 v6, -v18, v40, v6
	s_waitcnt lgkmcnt(6)
	v_fma_f32 v7, -v16, v45, v7
	s_lshl_b32 s37, s37, 2
	v_fma_f32 v6, -v17, v42, v6
	s_waitcnt lgkmcnt(5)
	v_fma_f32 v7, -v15, v47, v7
	v_mov_b32_e32 v27, s37
	s_add_i32 s37, s9, 0xfffffe08
	v_fma_f32 v6, -v16, v44, v6
	s_waitcnt lgkmcnt(4)
	v_fma_f32 v7, -v14, v49, v7
	s_add_i32 s38, s38, s37
	v_fma_f32 v6, -v15, v46, v6
	s_waitcnt lgkmcnt(3)
	v_fma_f32 v7, -v13, v51, v7
	s_lshl_b32 s38, s38, 2
	v_fma_f32 v6, -v14, v48, v6
	s_waitcnt lgkmcnt(2)
	v_fma_f32 v7, -v12, v53, v7
	v_mov_b32_e32 v29, s38
	s_add_i32 s38, s15, 0xfffff764
	ds_read2_b32 v[58:59], v25 offset1:1
	ds_read2_b32 v[60:61], v27 offset1:1
	;; [unrolled: 1-line block ×3, first 2 shown]
	v_fma_f32 v6, -v13, v50, v6
	s_waitcnt lgkmcnt(4)
	v_fma_f32 v7, -v11, v55, v7
	v_mov_b32_e32 v25, s38
	v_fma_f32 v6, -v12, v52, v6
	s_waitcnt lgkmcnt(3)
	v_fma_f32 v7, -v10, v57, v7
	ds_read_b32 v25, v25
	v_fma_f32 v6, -v11, v54, v6
	s_waitcnt lgkmcnt(3)
	v_fma_f32 v7, -v9, v59, v7
	v_fma_f32 v6, -v10, v56, v6
	s_waitcnt lgkmcnt(2)
	v_fma_f32 v7, -v8, v61, v7
	v_fma_f32 v6, -v9, v58, v6
	s_sub_i32 s40, s8, 21
	s_waitcnt lgkmcnt(1)
	v_mul_f32_e32 v70, v63, v7
	v_fma_f32 v6, -v8, v60, v6
	s_add_i32 s39, s40, s9
	v_fma_f32 v6, -v70, v62, v6
	s_lshl_b32 s39, s39, 2
	s_waitcnt lgkmcnt(0)
	v_mul_f32_e32 v25, v25, v6
	v_mov_b32_e32 v6, s39
	s_add_i32 s39, s40, s14
	s_lshl_b32 s39, s39, 2
	v_mov_b32_e32 v26, s39
	s_add_i32 s39, s40, s18
	s_lshl_b32 s39, s39, 2
	v_mov_b32_e32 v28, s39
	s_add_i32 s39, s40, s19
	v_add_lshl_u32 v7, s37, v0, 2
	s_lshl_b32 s39, s39, 2
	ds_write_b32 v7, v70 offset:3136
	v_mov_b32_e32 v30, s39
	ds_read2_b32 v[6:7], v6 offset1:1
	ds_read2_b32 v[26:27], v26 offset1:1
	;; [unrolled: 1-line block ×4, first 2 shown]
	s_add_i32 s39, s40, s20
	s_lshl_b32 s39, s39, 2
	s_waitcnt lgkmcnt(3)
	v_fma_f32 v5, -v1, v7, v5
	v_mov_b32_e32 v7, s39
	s_add_i32 s39, s40, s21
	s_lshl_b32 s39, s39, 2
	s_waitcnt lgkmcnt(2)
	v_fma_f32 v5, -v24, v27, v5
	v_mov_b32_e32 v27, s39
	s_add_i32 s39, s40, s23
	s_add_i32 s38, s9, 0xfffffdec
	s_lshl_b32 s39, s39, 2
	v_add_lshl_u32 v32, s38, v0, 2
	s_waitcnt lgkmcnt(1)
	v_fma_f32 v5, -v23, v29, v5
	v_mov_b32_e32 v29, s39
	s_add_i32 s39, s40, s24
	ds_write_b32 v32, v25 offset:3136
	s_lshl_b32 s39, s39, 2
	ds_read2_b32 v[32:33], v7 offset1:1
	ds_read2_b32 v[34:35], v27 offset1:1
	;; [unrolled: 1-line block ×3, first 2 shown]
	v_mov_b32_e32 v7, s39
	s_add_i32 s39, s40, s25
	s_lshl_b32 s39, s39, 2
	ds_read2_b32 v[38:39], v7 offset1:1
	v_mov_b32_e32 v7, s39
	s_add_i32 s39, s40, s27
	s_lshl_b32 s39, s39, 2
	v_mov_b32_e32 v27, s39
	s_add_i32 s39, s40, s28
	s_lshl_b32 s39, s39, 2
	;; [unrolled: 3-line block ×3, first 2 shown]
	s_waitcnt lgkmcnt(5)
	v_fma_f32 v5, -v22, v31, v5
	v_mov_b32_e32 v31, s39
	s_add_i32 s39, s40, s30
	s_lshl_b32 s39, s39, 2
	ds_read2_b32 v[40:41], v7 offset1:1
	ds_read2_b32 v[42:43], v27 offset1:1
	;; [unrolled: 1-line block ×4, first 2 shown]
	v_mov_b32_e32 v7, s39
	s_add_i32 s39, s40, s31
	s_lshl_b32 s39, s39, 2
	v_mov_b32_e32 v27, s39
	s_add_i32 s39, s40, s33
	s_lshl_b32 s39, s39, 2
	v_mov_b32_e32 v29, s39
	s_add_i32 s39, s40, s34
	v_fma_f32 v4, -v1, v6, v4
	s_lshl_b32 s39, s39, 2
	v_fma_f32 v4, -v24, v26, v4
	ds_read2_b32 v[48:49], v7 offset1:1
	ds_read2_b32 v[50:51], v27 offset1:1
	;; [unrolled: 1-line block ×3, first 2 shown]
	v_mov_b32_e32 v7, s39
	s_add_i32 s39, s40, s35
	v_fma_f32 v4, -v23, v28, v4
	s_waitcnt lgkmcnt(10)
	v_fma_f32 v5, -v21, v33, v5
	s_lshl_b32 s39, s39, 2
	v_fma_f32 v4, -v22, v30, v4
	s_waitcnt lgkmcnt(9)
	v_fma_f32 v5, -v20, v35, v5
	ds_read2_b32 v[54:55], v7 offset1:1
	v_mov_b32_e32 v7, s39
	s_add_i32 s39, s40, s36
	v_fma_f32 v4, -v21, v32, v4
	s_waitcnt lgkmcnt(9)
	v_fma_f32 v5, -v19, v37, v5
	s_lshl_b32 s39, s39, 2
	v_fma_f32 v4, -v20, v34, v4
	s_waitcnt lgkmcnt(8)
	v_fma_f32 v5, -v18, v39, v5
	v_mov_b32_e32 v27, s39
	s_add_i32 s39, s40, s37
	v_fma_f32 v4, -v19, v36, v4
	s_waitcnt lgkmcnt(7)
	v_fma_f32 v5, -v17, v41, v5
	s_lshl_b32 s39, s39, 2
	v_fma_f32 v4, -v18, v38, v4
	s_waitcnt lgkmcnt(6)
	v_fma_f32 v5, -v16, v43, v5
	;; [unrolled: 9-line block ×3, first 2 shown]
	v_mov_b32_e32 v31, s39
	s_add_i32 s39, s9, 0xfffffdd0
	v_fma_f32 v4, -v15, v44, v4
	s_waitcnt lgkmcnt(3)
	v_fma_f32 v5, -v13, v49, v5
	s_add_i32 s40, s40, s39
	v_fma_f32 v4, -v14, v46, v4
	s_waitcnt lgkmcnt(2)
	v_fma_f32 v5, -v12, v51, v5
	s_lshl_b32 s40, s40, 2
	v_fma_f32 v4, -v13, v48, v4
	s_waitcnt lgkmcnt(1)
	v_fma_f32 v5, -v11, v53, v5
	ds_read2_b32 v[56:57], v7 offset1:1
	ds_read2_b32 v[58:59], v27 offset1:1
	;; [unrolled: 1-line block ×4, first 2 shown]
	v_mov_b32_e32 v7, s40
	v_fma_f32 v4, -v12, v50, v4
	s_waitcnt lgkmcnt(4)
	v_fma_f32 v5, -v10, v55, v5
	s_add_i32 s40, s15, 0xfffff67c
	ds_read2_b32 v[64:65], v7 offset1:1
	v_fma_f32 v4, -v11, v52, v4
	s_waitcnt lgkmcnt(4)
	v_fma_f32 v5, -v9, v57, v5
	v_mov_b32_e32 v27, s40
	s_sub_i32 s40, s8, 23
	v_fma_f32 v4, -v10, v54, v4
	s_waitcnt lgkmcnt(3)
	v_fma_f32 v5, -v8, v59, v5
	s_add_i32 s41, s40, s9
	s_add_i32 s14, s40, s14
	v_fma_f32 v4, -v9, v56, v4
	s_waitcnt lgkmcnt(2)
	v_fma_f32 v5, -v70, v61, v5
	s_lshl_b32 s41, s41, 2
	s_lshl_b32 s14, s14, 2
	v_fma_f32 v4, -v8, v58, v4
	s_waitcnt lgkmcnt(1)
	v_fma_f32 v5, -v25, v63, v5
	v_mov_b32_e32 v29, s41
	v_mov_b32_e32 v7, s14
	ds_read_b32 v27, v27
	ds_read2_b32 v[66:67], v29 offset1:1
	ds_read2_b32 v[68:69], v7 offset1:1
	v_fma_f32 v4, -v70, v60, v4
	s_waitcnt lgkmcnt(3)
	v_mul_f32_e32 v65, v65, v5
	v_fma_f32 v4, -v25, v62, v4
	v_fma_f32 v4, -v65, v64, v4
	s_add_i32 s14, s9, 0xfffffdb4
	s_add_i32 s18, s40, s18
	s_waitcnt lgkmcnt(2)
	v_mul_f32_e32 v64, v27, v4
	v_add_lshl_u32 v4, s14, v0, 2
	s_lshl_b32 s18, s18, 2
	ds_write_b32 v4, v64 offset:3136
	v_mov_b32_e32 v4, s18
	s_add_i32 s18, s40, s19
	s_lshl_b32 s18, s18, 2
	v_mov_b32_e32 v6, s18
	s_add_i32 s18, s40, s20
	v_add_lshl_u32 v5, s39, v0, 2
	s_lshl_b32 s18, s18, 2
	ds_write_b32 v5, v65 offset:3136
	v_mov_b32_e32 v26, s18
	s_add_i32 s18, s40, s21
	s_lshl_b32 s18, s18, 2
	ds_read2_b32 v[4:5], v4 offset1:1
	ds_read2_b32 v[6:7], v6 offset1:1
	;; [unrolled: 1-line block ×3, first 2 shown]
	s_waitcnt lgkmcnt(6)
	v_fma_f32 v3, -v1, v67, v3
	v_mov_b32_e32 v28, s18
	s_add_i32 s18, s40, s23
	s_waitcnt lgkmcnt(5)
	v_fma_f32 v3, -v24, v69, v3
	s_lshl_b32 s18, s18, 2
	s_waitcnt lgkmcnt(2)
	v_fma_f32 v3, -v23, v5, v3
	v_mov_b32_e32 v5, s18
	s_add_i32 s18, s40, s24
	s_lshl_b32 s18, s18, 2
	s_waitcnt lgkmcnt(1)
	v_fma_f32 v3, -v22, v7, v3
	v_mov_b32_e32 v7, s18
	s_add_i32 s18, s40, s25
	;; [unrolled: 5-line block ×3, first 2 shown]
	s_lshl_b32 s18, s18, 2
	v_mov_b32_e32 v36, s18
	s_add_i32 s18, s40, s28
	s_lshl_b32 s18, s18, 2
	ds_read2_b32 v[28:29], v28 offset1:1
	ds_read2_b32 v[30:31], v5 offset1:1
	;; [unrolled: 1-line block ×5, first 2 shown]
	v_mov_b32_e32 v5, s18
	s_add_i32 s18, s40, s29
	s_lshl_b32 s18, s18, 2
	v_mov_b32_e32 v7, s18
	s_add_i32 s18, s40, s30
	s_lshl_b32 s18, s18, 2
	;; [unrolled: 3-line block ×3, first 2 shown]
	ds_read2_b32 v[38:39], v5 offset1:1
	ds_read2_b32 v[40:41], v7 offset1:1
	ds_read2_b32 v[42:43], v27 offset1:1
	v_mov_b32_e32 v5, s18
	s_add_i32 s18, s40, s33
	s_lshl_b32 s18, s18, 2
	ds_read2_b32 v[44:45], v5 offset1:1
	v_mov_b32_e32 v5, s18
	s_add_i32 s18, s40, s34
	v_fma_f32 v1, -v1, v66, v2
	s_lshl_b32 s18, s18, 2
	v_fma_f32 v1, -v24, v68, v1
	v_mov_b32_e32 v7, s18
	s_add_i32 s18, s40, s35
	v_fma_f32 v1, -v23, v4, v1
	s_lshl_b32 s18, s18, 2
	v_fma_f32 v1, -v22, v6, v1
	s_waitcnt lgkmcnt(8)
	v_fma_f32 v3, -v20, v29, v3
	v_mov_b32_e32 v27, s18
	s_add_i32 s18, s40, s36
	v_fma_f32 v1, -v21, v26, v1
	s_waitcnt lgkmcnt(7)
	v_fma_f32 v3, -v19, v31, v3
	s_lshl_b32 s18, s18, 2
	v_fma_f32 v1, -v20, v28, v1
	s_waitcnt lgkmcnt(6)
	v_fma_f32 v3, -v18, v33, v3
	v_mov_b32_e32 v29, s18
	s_add_i32 s18, s40, s37
	v_fma_f32 v1, -v19, v30, v1
	s_waitcnt lgkmcnt(5)
	v_fma_f32 v3, -v17, v35, v3
	s_lshl_b32 s18, s18, 2
	v_fma_f32 v1, -v18, v32, v1
	s_waitcnt lgkmcnt(4)
	v_fma_f32 v3, -v16, v37, v3
	ds_read2_b32 v[46:47], v5 offset1:1
	ds_read2_b32 v[48:49], v7 offset1:1
	;; [unrolled: 1-line block ×4, first 2 shown]
	v_mov_b32_e32 v5, s18
	s_add_i32 s18, s40, s38
	v_fma_f32 v1, -v17, v34, v1
	s_waitcnt lgkmcnt(7)
	v_fma_f32 v3, -v15, v39, v3
	s_lshl_b32 s18, s18, 2
	v_fma_f32 v1, -v16, v36, v1
	s_waitcnt lgkmcnt(6)
	v_fma_f32 v3, -v14, v41, v3
	v_mov_b32_e32 v7, s18
	s_add_i32 s18, s40, s39
	s_add_i32 s14, s40, s14
	v_fma_f32 v1, -v15, v38, v1
	s_waitcnt lgkmcnt(5)
	v_fma_f32 v3, -v13, v43, v3
	s_lshl_b32 s18, s18, 2
	s_lshl_b32 s14, s14, 2
	v_fma_f32 v1, -v14, v40, v1
	s_waitcnt lgkmcnt(4)
	v_fma_f32 v3, -v12, v45, v3
	v_mov_b32_e32 v27, s18
	ds_read2_b32 v[54:55], v5 offset1:1
	ds_read2_b32 v[56:57], v7 offset1:1
	;; [unrolled: 1-line block ×3, first 2 shown]
	v_mov_b32_e32 v5, s14
	s_add_i32 s14, s9, 0xfffffd98
	v_fma_f32 v1, -v13, v42, v1
	s_waitcnt lgkmcnt(6)
	v_fma_f32 v3, -v11, v47, v3
	s_add_i32 s40, s40, s14
	v_fma_f32 v1, -v12, v44, v1
	s_waitcnt lgkmcnt(5)
	v_fma_f32 v3, -v10, v49, v3
	s_lshl_b32 s18, s40, 2
	v_fma_f32 v1, -v11, v46, v1
	s_waitcnt lgkmcnt(4)
	v_fma_f32 v3, -v9, v51, v3
	ds_read2_b32 v[60:61], v5 offset1:1
	v_mov_b32_e32 v5, s18
	v_fma_f32 v1, -v10, v48, v1
	s_waitcnt lgkmcnt(4)
	v_fma_f32 v3, -v8, v53, v3
	ds_read2_b32 v[62:63], v5 offset1:1
	s_addk_i32 s15, 0xf594
	v_fma_f32 v1, -v9, v50, v1
	s_waitcnt lgkmcnt(4)
	v_fma_f32 v3, -v70, v55, v3
	v_mov_b32_e32 v5, s15
	v_fma_f32 v1, -v8, v52, v1
	s_waitcnt lgkmcnt(3)
	v_fma_f32 v3, -v25, v57, v3
	ds_read_b32 v5, v5
	v_fma_f32 v1, -v70, v54, v1
	s_waitcnt lgkmcnt(3)
	v_fma_f32 v3, -v65, v59, v3
	v_fma_f32 v1, -v25, v56, v1
	s_waitcnt lgkmcnt(2)
	v_fma_f32 v3, -v64, v61, v3
	v_fma_f32 v1, -v65, v58, v1
	s_waitcnt lgkmcnt(1)
	v_mul_f32_e32 v3, v63, v3
	v_fma_f32 v1, -v64, v60, v1
	v_fma_f32 v1, -v3, v62, v1
	s_addk_i32 s9, 0xfd7c
	v_add_lshl_u32 v7, s14, v0, 2
	s_waitcnt lgkmcnt(0)
	v_mul_f32_e32 v1, v5, v1
	v_add_lshl_u32 v2, s9, v0, 2
	s_sub_i32 s8, s8, 24
	ds_write_b32 v7, v3 offset:3136
	ds_write_b32 v2, v1 offset:3136
.LBB31_57:
	s_cmp_lt_i32 s8, 0
	s_cbranch_scc1 .LBB31_70
; %bb.58:
	s_bitcmp1_b32 s8, 0
	s_cselect_b64 s[14:15], -1, 0
	s_and_b64 vcc, exec, s[14:15]
	s_mov_b32 s9, s8
	s_cbranch_vccnz .LBB31_63
; %bb.59:
	s_mul_i32 s9, s8, 28
	v_add_lshl_u32 v2, s9, v0, 2
	ds_read_b32 v1, v2 offset:3136
	s_cmp_le_i32 s6, s8
	s_cbranch_scc1 .LBB31_62
; %bb.60:
	s_mul_i32 s14, s26, 0x70
	s_lshl_b32 s9, s8, 2
	s_add_i32 s9, s14, s9
	v_lshl_add_u32 v3, v0, 2, s14
	s_addk_i32 s9, 0xff90
	v_add_u32_e32 v3, 0xbd0, v3
	s_mov_b32 s14, s6
.LBB31_61:                              ; =>This Inner Loop Header: Depth=1
	v_mov_b32_e32 v5, s9
	ds_read_b32 v4, v3
	ds_read_b32 v5, v5
	s_add_i32 s14, s14, -1
	s_addk_i32 s9, 0xff90
	v_add_u32_e32 v3, 0xffffff90, v3
	s_cmp_gt_i32 s14, s8
	s_waitcnt lgkmcnt(0)
	v_fma_f32 v1, -v4, v5, v1
	s_cbranch_scc1 .LBB31_61
.LBB31_62:
	s_mul_i32 s9, s8, 0x74
	v_mov_b32_e32 v3, s9
	ds_read_b32 v3, v3
	v_add_u32_e32 v2, 0xc40, v2
	s_add_i32 s9, s8, -1
	s_waitcnt lgkmcnt(0)
	v_mul_f32_e32 v1, v3, v1
	ds_write_b32 v2, v1
.LBB31_63:
	s_cmp_eq_u32 s8, 0
	s_cbranch_scc1 .LBB31_70
; %bb.64:
	s_mul_i32 s14, s26, 0x70
	s_lshl_b32 s8, s9, 2
	s_add_i32 s15, s14, s8
	v_lshl_add_u32 v1, v0, 2, s14
	s_add_i32 s8, s15, 0xffffff90
	v_add_u32_e32 v1, 0xbd0, v1
	s_add_i32 s14, s15, 0xffffff8c
	s_branch .LBB31_66
.LBB31_65:                              ;   in Loop: Header=BB31_66 Depth=1
	s_addk_i32 s15, 0xff8c
	v_mov_b32_e32 v3, s15
	ds_read_b32 v3, v3
	s_add_i32 s15, s9, -2
	s_add_i32 s8, s8, -8
	s_add_i32 s14, s14, -8
	s_cmp_lt_i32 s9, 2
	s_waitcnt lgkmcnt(0)
	v_mul_f32_e32 v3, v3, v4
	s_mov_b32 s9, s15
	ds_write_b32 v2, v3
	s_cbranch_scc1 .LBB31_70
.LBB31_66:                              ; =>This Loop Header: Depth=1
                                        ;     Child Loop BB31_67 Depth 2
                                        ;     Child Loop BB31_69 Depth 2
	s_mul_i32 s15, s9, 28
	v_add_lshl_u32 v2, s15, v0, 2
	ds_read_b32 v3, v2 offset:3136
	s_cmp_le_i32 s6, s9
	v_mov_b32_e32 v4, v1
	s_mov_b32 s15, s8
	s_mov_b32 s18, s6
	s_cbranch_scc1 .LBB31_68
.LBB31_67:                              ;   Parent Loop BB31_66 Depth=1
                                        ; =>  This Inner Loop Header: Depth=2
	v_mov_b32_e32 v6, s15
	ds_read_b32 v5, v4
	ds_read_b32 v6, v6
	s_add_i32 s18, s18, -1
	s_addk_i32 s15, 0xff90
	v_add_u32_e32 v4, 0xffffff90, v4
	s_cmp_gt_i32 s18, s9
	s_waitcnt lgkmcnt(0)
	v_fma_f32 v3, -v5, v6, v3
	s_cbranch_scc1 .LBB31_67
.LBB31_68:                              ;   in Loop: Header=BB31_66 Depth=1
	s_mul_i32 s15, s9, 0x74
	v_add_u32_e32 v6, 0xc40, v2
	v_mov_b32_e32 v2, s15
	ds_read_b32 v7, v2
	v_add_u32_e32 v2, 0xffffff90, v6
	ds_read_b32 v4, v2
	s_cmp_le_i32 s26, s9
	v_mov_b32_e32 v5, v1
	s_waitcnt lgkmcnt(1)
	v_mul_f32_e32 v3, v7, v3
	s_mov_b32 s18, s14
	s_mov_b32 s19, s26
	ds_write_b32 v6, v3
	s_cbranch_scc1 .LBB31_65
.LBB31_69:                              ;   Parent Loop BB31_66 Depth=1
                                        ; =>  This Inner Loop Header: Depth=2
	v_mov_b32_e32 v6, s18
	ds_read_b32 v3, v5
	ds_read_b32 v6, v6
	s_add_i32 s19, s19, -1
	s_addk_i32 s18, 0xff90
	v_add_u32_e32 v5, 0xffffff90, v5
	s_cmp_gt_i32 s19, s9
	s_waitcnt lgkmcnt(0)
	v_fma_f32 v4, -v3, v6, v4
	s_cbranch_scc1 .LBB31_69
	s_branch .LBB31_65
.LBB31_70:
	s_waitcnt lgkmcnt(0)
	; wave barrier
	s_waitcnt lgkmcnt(0)
	s_and_saveexec_b64 s[8:9], s[12:13]
	s_cbranch_execz .LBB31_82
; %bb.71:
	s_cmp_lt_i32 s10, 2
	s_cbranch_scc1 .LBB31_79
; %bb.72:
	s_add_i32 s8, s26, -2
	s_lshr_b32 s9, s8, 1
	s_add_i32 s9, s9, 1
	s_mov_b32 s10, 0
	s_mov_b32 s6, 1
	s_cmp_lt_u32 s8, 14
	s_mov_b32 s8, s10
	s_cbranch_scc1 .LBB31_75
; %bb.73:
	s_mul_i32 s8, s1, s7
	s_mul_hi_u32 s10, s0, s7
	s_add_i32 s15, s10, s8
	s_mul_i32 s14, s0, s7
	s_lshl_b64 s[18:19], s[4:5], 2
	v_lshlrev_b32_e32 v1, 2, v0
	s_and_b32 s12, s9, -8
	s_lshl_b64 s[14:15], s[14:15], 2
	v_mov_b32_e32 v2, s19
	v_add_co_u32_e32 v1, vcc, s18, v1
	s_lshl_b64 s[18:19], s[16:17], 2
	s_add_u32 s8, s2, s18
	s_addc_u32 s10, s3, s19
	s_add_u32 s14, s8, s14
	s_addc_u32 s15, s10, s15
	v_addc_co_u32_e32 v4, vcc, 0, v2, vcc
	v_pk_mov_b32 v[2:3], s[14:15], s[14:15] op_sel:[0,1]
	v_mad_u64_u32 v[2:3], s[14:15], v1, s22, v[2:3]
	v_mul_lo_u32 v1, v1, s11
	v_mul_lo_u32 v4, v4, s22
	v_add3_u32 v1, v4, v3, v1
	v_add_co_u32_e32 v2, vcc, 56, v2
	v_addc_co_u32_e32 v3, vcc, 0, v1, vcc
	s_mov_b32 s8, 0
	s_mov_b32 s10, 0
.LBB31_74:                              ; =>This Inner Loop Header: Depth=1
	s_mul_i32 s13, s6, 28
	s_mul_i32 s14, s10, 28
	v_add_lshl_u32 v1, s14, v0, 2
	v_add_lshl_u32 v5, s13, v0, 2
	s_add_i32 s15, s13, 56
	s_add_i32 s18, s14, 56
	;; [unrolled: 1-line block ×12, first 2 shown]
	s_addk_i32 s13, 0x188
	s_addk_i32 s14, 0x188
	v_add_lshl_u32 v6, s18, v0, 2
	v_add_lshl_u32 v7, s15, v0, 2
	;; [unrolled: 1-line block ×14, first 2 shown]
	ds_read_b32 v4, v1 offset:3136
	ds_read_b32 v5, v5 offset:3136
	;; [unrolled: 1-line block ×16, first 2 shown]
	s_add_i32 s8, s8, 16
	s_add_i32 s6, s6, 16
	;; [unrolled: 1-line block ×3, first 2 shown]
	s_add_i32 s12, s12, -8
	s_waitcnt lgkmcnt(12)
	global_store_dwordx4 v[2:3], v[4:7], off offset:-56
	s_waitcnt lgkmcnt(8)
	global_store_dwordx4 v[2:3], v[8:11], off offset:-40
	;; [unrolled: 2-line block ×4, first 2 shown]
	v_add_co_u32_e32 v2, vcc, 64, v2
	s_cmp_lg_u32 s12, 0
	v_addc_co_u32_e32 v3, vcc, 0, v3, vcc
	s_cbranch_scc1 .LBB31_74
.LBB31_75:
	s_and_b32 s12, s9, 7
	s_cmp_eq_u32 s12, 0
	s_mov_b32 s9, 0
	s_cbranch_scc1 .LBB31_78
; %bb.76:
	s_mul_i32 s13, s1, s7
	s_mul_hi_u32 s14, s0, s7
	s_add_i32 s15, s14, s13
	s_mul_i32 s14, s0, s7
	s_lshl_b64 s[18:19], s[4:5], 2
	v_lshlrev_b32_e32 v1, 2, v0
	s_lshl_b64 s[14:15], s[14:15], 2
	v_mov_b32_e32 v2, s19
	v_add_co_u32_e32 v1, vcc, s18, v1
	s_lshl_b64 s[18:19], s[16:17], 2
	s_lshl_b64 s[8:9], s[8:9], 2
	s_add_u32 s8, s2, s8
	s_addc_u32 s9, s3, s9
	s_add_u32 s8, s8, s18
	s_addc_u32 s9, s9, s19
	;; [unrolled: 2-line block ×3, first 2 shown]
	v_addc_co_u32_e32 v4, vcc, 0, v2, vcc
	v_pk_mov_b32 v[2:3], s[8:9], s[8:9] op_sel:[0,1]
	v_mad_u64_u32 v[2:3], s[8:9], v1, s22, v[2:3]
	v_mul_lo_u32 v1, v1, s11
	v_mul_lo_u32 v4, v4, s22
	v_add3_u32 v3, v4, v3, v1
	s_lshl_b32 s8, s12, 3
.LBB31_77:                              ; =>This Inner Loop Header: Depth=1
	s_mul_i32 s9, s6, 28
	s_mul_i32 s12, s10, 28
	v_add_lshl_u32 v1, s12, v0, 2
	v_add_lshl_u32 v5, s9, v0, 2
	ds_read_b32 v4, v1 offset:3136
	ds_read_b32 v5, v5 offset:3136
	s_add_i32 s6, s6, 2
	s_add_i32 s10, s10, 2
	s_add_i32 s8, s8, -8
	s_cmp_lg_u32 s8, 0
	s_waitcnt lgkmcnt(0)
	global_store_dwordx2 v[2:3], v[4:5], off
	v_add_co_u32_e32 v2, vcc, 8, v2
	v_addc_co_u32_e32 v3, vcc, 0, v3, vcc
	s_cbranch_scc1 .LBB31_77
.LBB31_78:
	s_and_b32 s10, s26, 30
	s_cmp_lg_u32 s26, s10
	s_cselect_b64 s[8:9], -1, 0
	s_and_b64 vcc, exec, s[8:9]
	s_cbranch_vccnz .LBB31_80
	s_branch .LBB31_82
.LBB31_79:
	s_mov_b32 s10, 0
	s_cbranch_execz .LBB31_82
.LBB31_80:
	s_mul_i32 s8, s10, 0x70
	v_lshl_add_u32 v1, v0, 2, s8
	s_mul_i32 s1, s1, s7
	s_mul_hi_u32 s8, s0, s7
	s_add_i32 s1, s8, s1
	s_mul_i32 s0, s0, s7
	s_lshl_b64 s[4:5], s[4:5], 2
	v_lshlrev_b32_e32 v0, 2, v0
	s_sub_i32 s6, s26, s10
	v_add_u32_e32 v2, 0xc40, v1
	s_lshl_b64 s[0:1], s[0:1], 2
	v_mov_b32_e32 v1, s5
	v_add_co_u32_e32 v3, vcc, s4, v0
	s_lshl_b64 s[4:5], s[16:17], 2
	s_lshl_b32 s7, s10, 2
	s_add_u32 s2, s2, s7
	s_addc_u32 s3, s3, 0
	s_add_u32 s2, s2, s4
	s_addc_u32 s3, s3, s5
	;; [unrolled: 2-line block ×3, first 2 shown]
	v_addc_co_u32_e32 v4, vcc, 0, v1, vcc
	v_pk_mov_b32 v[0:1], s[0:1], s[0:1] op_sel:[0,1]
	v_mad_u64_u32 v[0:1], s[0:1], v3, s22, v[0:1]
	v_mul_lo_u32 v3, v3, s11
	v_mul_lo_u32 v4, v4, s22
	v_add3_u32 v1, v4, v1, v3
.LBB31_81:                              ; =>This Inner Loop Header: Depth=1
	ds_read_b32 v3, v2
	s_add_i32 s6, s6, -1
	v_add_u32_e32 v2, 0x70, v2
	s_cmp_lg_u32 s6, 0
	s_waitcnt lgkmcnt(0)
	global_store_dword v[0:1], v3, off
	v_add_co_u32_e32 v0, vcc, 4, v0
	v_addc_co_u32_e32 v1, vcc, 0, v1, vcc
	s_cbranch_scc1 .LBB31_81
.LBB31_82:
	s_endpgm
	.section	.rodata,"a",@progbits
	.p2align	6, 0x0
	.amdhsa_kernel _ZL38rocblas_trsm_small_left_device_sharedBILi28ELi28ELb0EffPKfPfEv13rocblas_fill_18rocblas_operation_17rocblas_diagonal_iiT3_T4_lilT5_lili
		.amdhsa_group_segment_fixed_size 6272
		.amdhsa_private_segment_fixed_size 0
		.amdhsa_kernarg_size 352
		.amdhsa_user_sgpr_count 6
		.amdhsa_user_sgpr_private_segment_buffer 1
		.amdhsa_user_sgpr_dispatch_ptr 0
		.amdhsa_user_sgpr_queue_ptr 0
		.amdhsa_user_sgpr_kernarg_segment_ptr 1
		.amdhsa_user_sgpr_dispatch_id 0
		.amdhsa_user_sgpr_flat_scratch_init 0
		.amdhsa_user_sgpr_kernarg_preload_length 0
		.amdhsa_user_sgpr_kernarg_preload_offset 0
		.amdhsa_user_sgpr_private_segment_size 0
		.amdhsa_uses_dynamic_stack 0
		.amdhsa_system_sgpr_private_segment_wavefront_offset 0
		.amdhsa_system_sgpr_workgroup_id_x 1
		.amdhsa_system_sgpr_workgroup_id_y 0
		.amdhsa_system_sgpr_workgroup_id_z 1
		.amdhsa_system_sgpr_workgroup_info 0
		.amdhsa_system_vgpr_workitem_id 0
		.amdhsa_next_free_vgpr 90
		.amdhsa_next_free_sgpr 47
		.amdhsa_accum_offset 92
		.amdhsa_reserve_vcc 1
		.amdhsa_reserve_flat_scratch 0
		.amdhsa_float_round_mode_32 0
		.amdhsa_float_round_mode_16_64 0
		.amdhsa_float_denorm_mode_32 3
		.amdhsa_float_denorm_mode_16_64 3
		.amdhsa_dx10_clamp 1
		.amdhsa_ieee_mode 1
		.amdhsa_fp16_overflow 0
		.amdhsa_tg_split 0
		.amdhsa_exception_fp_ieee_invalid_op 0
		.amdhsa_exception_fp_denorm_src 0
		.amdhsa_exception_fp_ieee_div_zero 0
		.amdhsa_exception_fp_ieee_overflow 0
		.amdhsa_exception_fp_ieee_underflow 0
		.amdhsa_exception_fp_ieee_inexact 0
		.amdhsa_exception_int_div_zero 0
	.end_amdhsa_kernel
	.section	.text._ZL38rocblas_trsm_small_left_device_sharedBILi28ELi28ELb0EffPKfPfEv13rocblas_fill_18rocblas_operation_17rocblas_diagonal_iiT3_T4_lilT5_lili,"axG",@progbits,_ZL38rocblas_trsm_small_left_device_sharedBILi28ELi28ELb0EffPKfPfEv13rocblas_fill_18rocblas_operation_17rocblas_diagonal_iiT3_T4_lilT5_lili,comdat
.Lfunc_end31:
	.size	_ZL38rocblas_trsm_small_left_device_sharedBILi28ELi28ELb0EffPKfPfEv13rocblas_fill_18rocblas_operation_17rocblas_diagonal_iiT3_T4_lilT5_lili, .Lfunc_end31-_ZL38rocblas_trsm_small_left_device_sharedBILi28ELi28ELb0EffPKfPfEv13rocblas_fill_18rocblas_operation_17rocblas_diagonal_iiT3_T4_lilT5_lili
                                        ; -- End function
	.section	.AMDGPU.csdata,"",@progbits
; Kernel info:
; codeLenInByte = 30352
; NumSgprs: 51
; NumVgprs: 90
; NumAgprs: 0
; TotalNumVgprs: 90
; ScratchSize: 0
; MemoryBound: 0
; FloatMode: 240
; IeeeMode: 1
; LDSByteSize: 6272 bytes/workgroup (compile time only)
; SGPRBlocks: 6
; VGPRBlocks: 11
; NumSGPRsForWavesPerEU: 51
; NumVGPRsForWavesPerEU: 90
; AccumOffset: 92
; Occupancy: 3
; WaveLimiterHint : 0
; COMPUTE_PGM_RSRC2:SCRATCH_EN: 0
; COMPUTE_PGM_RSRC2:USER_SGPR: 6
; COMPUTE_PGM_RSRC2:TRAP_HANDLER: 0
; COMPUTE_PGM_RSRC2:TGID_X_EN: 1
; COMPUTE_PGM_RSRC2:TGID_Y_EN: 0
; COMPUTE_PGM_RSRC2:TGID_Z_EN: 1
; COMPUTE_PGM_RSRC2:TIDIG_COMP_CNT: 0
; COMPUTE_PGM_RSRC3_GFX90A:ACCUM_OFFSET: 22
; COMPUTE_PGM_RSRC3_GFX90A:TG_SPLIT: 0
	.section	.text._ZL30rocblas_trsm_small_left_deviceILi28ELi28ELb0EffPKfPfEv13rocblas_fill_18rocblas_operation_17rocblas_diagonal_iiT3_T4_lilT5_lili,"axG",@progbits,_ZL30rocblas_trsm_small_left_deviceILi28ELi28ELb0EffPKfPfEv13rocblas_fill_18rocblas_operation_17rocblas_diagonal_iiT3_T4_lilT5_lili,comdat
	.globl	_ZL30rocblas_trsm_small_left_deviceILi28ELi28ELb0EffPKfPfEv13rocblas_fill_18rocblas_operation_17rocblas_diagonal_iiT3_T4_lilT5_lili ; -- Begin function _ZL30rocblas_trsm_small_left_deviceILi28ELi28ELb0EffPKfPfEv13rocblas_fill_18rocblas_operation_17rocblas_diagonal_iiT3_T4_lilT5_lili
	.p2align	8
	.type	_ZL30rocblas_trsm_small_left_deviceILi28ELi28ELb0EffPKfPfEv13rocblas_fill_18rocblas_operation_17rocblas_diagonal_iiT3_T4_lilT5_lili,@function
_ZL30rocblas_trsm_small_left_deviceILi28ELi28ELb0EffPKfPfEv13rocblas_fill_18rocblas_operation_17rocblas_diagonal_iiT3_T4_lilT5_lili: ; @_ZL30rocblas_trsm_small_left_deviceILi28ELi28ELb0EffPKfPfEv13rocblas_fill_18rocblas_operation_17rocblas_diagonal_iiT3_T4_lilT5_lili
; %bb.0:
	s_load_dwordx4 s[8:11], s[4:5], 0x4
	s_load_dword s16, s[4:5], 0x14
	s_load_dwordx4 s[0:3], s[4:5], 0x30
	s_load_dwordx2 s[20:21], s[4:5], 0x40
	s_mov_b32 s19, 0
	s_waitcnt lgkmcnt(0)
	s_min_i32 s18, s10, 28
	v_cmp_gt_i32_e32 vcc, s18, v0
	s_and_saveexec_b64 s[22:23], vcc
	s_cbranch_execz .LBB32_15
; %bb.1:
	s_load_dword s24, s[4:5], 0x28
	s_load_dwordx4 s[12:15], s[4:5], 0x18
	s_cmp_gt_u32 s18, 1
	s_cselect_b64 s[26:27], -1, 0
	s_mov_b32 s17, 1
	s_waitcnt lgkmcnt(0)
	s_cmp_eq_u32 s24, 1
	s_cselect_b64 s[28:29], -1, 0
	s_and_b64 s[28:29], s[26:27], s[28:29]
	s_mov_b64 s[26:27], -1
	s_and_b64 vcc, exec, s[28:29]
	s_cbranch_vccz .LBB32_9
; %bb.2:
	s_add_i32 s26, s18, -2
	s_lshr_b32 s25, s26, 1
	s_add_i32 s25, s25, 1
	s_cmp_lt_u32 s26, 14
	s_mov_b32 s26, s19
	s_cbranch_scc1 .LBB32_5
; %bb.3:
	s_mul_i32 s17, s1, s7
	s_mul_hi_u32 s19, s0, s7
	s_add_i32 s29, s19, s17
	s_mul_i32 s28, s0, s7
	s_and_b32 s27, s25, -8
	s_lshl_b64 s[28:29], s[28:29], 2
	s_lshl_b64 s[30:31], s[14:15], 2
	s_add_u32 s17, s28, s30
	s_addc_u32 s19, s29, s31
	s_add_u32 s17, s12, s17
	v_lshlrev_b32_e32 v1, 2, v0
	s_addc_u32 s19, s13, s19
	v_mov_b32_e32 v2, s19
	v_add_co_u32_e32 v1, vcc, s17, v1
	v_addc_co_u32_e32 v3, vcc, 0, v2, vcc
	v_add_co_u32_e32 v2, vcc, 56, v1
	v_addc_co_u32_e32 v3, vcc, 0, v3, vcc
	s_mov_b32 s17, 1
	s_mov_b32 s26, 0
	s_mov_b32 s19, 0
.LBB32_4:                               ; =>This Inner Loop Header: Depth=1
	global_load_dwordx4 v[4:7], v[2:3], off offset:-56
	global_load_dwordx4 v[8:11], v[2:3], off offset:-40
	;; [unrolled: 1-line block ×4, first 2 shown]
	s_mul_i32 s28, s17, 28
	s_mul_i32 s29, s19, 28
	s_add_i32 s26, s26, 16
	s_add_i32 s17, s17, 16
	;; [unrolled: 1-line block ×3, first 2 shown]
	s_add_i32 s27, s27, -8
	v_add_co_u32_e32 v2, vcc, 64, v2
	v_add_lshl_u32 v1, s29, v0, 2
	v_add_lshl_u32 v20, s28, v0, 2
	s_add_i32 s30, s28, 56
	s_add_i32 s31, s29, 56
	s_add_i32 s33, s28, 0x70
	s_add_i32 s34, s29, 0x70
	s_add_i32 s35, s28, 0xa8
	s_add_i32 s36, s29, 0xa8
	s_add_i32 s37, s28, 0xe0
	s_add_i32 s38, s29, 0xe0
	s_add_i32 s39, s28, 0x118
	s_add_i32 s40, s29, 0x118
	s_add_i32 s41, s28, 0x150
	s_add_i32 s42, s29, 0x150
	s_addk_i32 s28, 0x188
	s_addk_i32 s29, 0x188
	v_addc_co_u32_e32 v3, vcc, 0, v3, vcc
	s_cmp_lg_u32 s27, 0
	v_add_lshl_u32 v21, s31, v0, 2
	v_add_lshl_u32 v22, s30, v0, 2
	v_add_lshl_u32 v23, s34, v0, 2
	v_add_lshl_u32 v24, s33, v0, 2
	v_add_lshl_u32 v25, s36, v0, 2
	v_add_lshl_u32 v26, s35, v0, 2
	v_add_lshl_u32 v27, s38, v0, 2
	v_add_lshl_u32 v28, s37, v0, 2
	v_add_lshl_u32 v29, s40, v0, 2
	v_add_lshl_u32 v30, s39, v0, 2
	v_add_lshl_u32 v31, s42, v0, 2
	v_add_lshl_u32 v32, s41, v0, 2
	v_add_lshl_u32 v33, s29, v0, 2
	v_add_lshl_u32 v34, s28, v0, 2
	s_waitcnt vmcnt(3)
	ds_write_b32 v1, v4
	ds_write_b32 v20, v5
	ds_write_b32 v21, v6
	ds_write_b32 v22, v7
	s_waitcnt vmcnt(2)
	ds_write_b32 v23, v8
	ds_write_b32 v24, v9
	ds_write_b32 v25, v10
	ds_write_b32 v26, v11
	;; [unrolled: 5-line block ×4, first 2 shown]
	s_cbranch_scc1 .LBB32_4
.LBB32_5:
	s_and_b32 s25, s25, 7
	s_cmp_eq_u32 s25, 0
	s_mov_b32 s27, 0
	s_cbranch_scc1 .LBB32_8
; %bb.6:
	s_mul_i32 s28, s1, s7
	s_mul_hi_u32 s29, s0, s7
	s_add_i32 s29, s29, s28
	s_mul_i32 s28, s0, s7
	s_lshl_b64 s[28:29], s[28:29], 2
	s_lshl_b64 s[30:31], s[14:15], 2
	s_add_u32 s28, s28, s30
	s_addc_u32 s29, s29, s31
	s_lshl_b64 s[26:27], s[26:27], 2
	s_add_u32 s26, s12, s26
	s_addc_u32 s27, s13, s27
	s_add_u32 s26, s26, s28
	v_lshlrev_b32_e32 v1, 2, v0
	s_addc_u32 s27, s27, s29
	v_mov_b32_e32 v3, s27
	v_add_co_u32_e32 v2, vcc, s26, v1
	v_addc_co_u32_e32 v3, vcc, 0, v3, vcc
	s_lshl_b32 s25, s25, 3
.LBB32_7:                               ; =>This Inner Loop Header: Depth=1
	global_load_dwordx2 v[4:5], v[2:3], off
	s_mul_i32 s26, s17, 28
	s_mul_i32 s27, s19, 28
	s_add_i32 s17, s17, 2
	s_add_i32 s19, s19, 2
	v_add_co_u32_e32 v2, vcc, 8, v2
	s_add_i32 s25, s25, -8
	v_addc_co_u32_e32 v3, vcc, 0, v3, vcc
	v_add_lshl_u32 v1, s27, v0, 2
	s_cmp_lg_u32 s25, 0
	v_add_lshl_u32 v6, s26, v0, 2
	s_waitcnt vmcnt(0)
	ds_write_b32 v1, v4
	ds_write_b32 v6, v5
	s_cbranch_scc1 .LBB32_7
.LBB32_8:
	s_and_b32 s19, s18, -2
	s_cmp_lg_u32 s18, s19
	s_cselect_b64 s[26:27], -1, 0
.LBB32_9:
	s_and_b64 vcc, exec, s[26:27]
	s_cbranch_vccz .LBB32_12
; %bb.10:
	s_ashr_i32 s25, s24, 31
	s_mul_i32 s1, s1, s7
	s_mul_hi_u32 s17, s0, s7
	s_add_i32 s1, s17, s1
	s_mul_hi_u32 s17, s24, s19
	s_mul_i32 s26, s25, s19
	s_mul_i32 s0, s0, s7
	s_add_i32 s27, s17, s26
	s_mul_i32 s26, s24, s19
	s_lshl_b64 s[0:1], s[0:1], 2
	s_lshl_b64 s[26:27], s[26:27], 2
	s_add_u32 s17, s0, s26
	s_addc_u32 s26, s1, s27
	s_lshl_b64 s[0:1], s[14:15], 2
	s_add_u32 s0, s17, s0
	s_addc_u32 s1, s26, s1
	s_add_u32 s0, s12, s0
	v_lshlrev_b32_e32 v1, 2, v0
	s_addc_u32 s1, s13, s1
	v_mov_b32_e32 v3, s1
	v_add_co_u32_e32 v2, vcc, s0, v1
	s_lshl_b64 s[0:1], s[24:25], 2
	s_mul_i32 s13, s19, 0x70
	v_addc_co_u32_e32 v3, vcc, 0, v3, vcc
	s_sub_i32 s12, s18, s19
	v_lshl_add_u32 v1, v0, 2, s13
	v_mov_b32_e32 v4, s1
.LBB32_11:                              ; =>This Inner Loop Header: Depth=1
	global_load_dword v5, v[2:3], off
	v_add_co_u32_e32 v2, vcc, s0, v2
	s_add_i32 s12, s12, -1
	v_addc_co_u32_e32 v3, vcc, v3, v4, vcc
	s_cmp_eq_u32 s12, 0
	s_waitcnt vmcnt(0)
	ds_write_b32 v1, v5
	v_add_u32_e32 v1, 0x70, v1
	s_cbranch_scc0 .LBB32_11
.LBB32_12:
	v_mul_u32_u24_e32 v1, 29, v0
	s_cmpk_lg_i32 s9, 0x84
	v_lshlrev_b32_e32 v1, 2, v1
	v_mov_b32_e32 v2, 1.0
	s_cbranch_scc0 .LBB32_14
; %bb.13:
	ds_read_b32 v2, v1
	s_waitcnt lgkmcnt(0)
	v_div_scale_f32 v3, s[0:1], v2, v2, 1.0
	v_rcp_f32_e32 v4, v3
	v_div_scale_f32 v5, vcc, 1.0, v2, 1.0
	v_fma_f32 v6, -v3, v4, 1.0
	v_fmac_f32_e32 v4, v6, v4
	v_mul_f32_e32 v6, v5, v4
	v_fma_f32 v7, -v3, v6, v5
	v_fmac_f32_e32 v6, v7, v4
	v_fma_f32 v3, -v3, v6, v5
	v_div_fmas_f32 v3, v3, v4, v6
	v_div_fixup_f32 v2, v3, v2, 1.0
.LBB32_14:
	ds_write_b32 v1, v2
.LBB32_15:
	s_or_b64 exec, exec, s[22:23]
	s_load_dword s0, s[4:5], 0x60
	s_mul_i32 s1, s6, 0xffffffe4
	s_add_i32 s1, s1, s11
	s_waitcnt lgkmcnt(0)
	; wave barrier
	s_waitcnt lgkmcnt(0)
	s_add_i32 s0, s0, -1
	s_cmp_ge_u32 s6, s0
	s_cselect_b32 s0, s1, 28
	v_cmp_gt_i32_e32 vcc, s0, v0
	s_and_saveexec_b64 s[0:1], vcc
	s_cbranch_execz .LBB32_59
; %bb.16:
	s_load_dwordx2 s[0:1], s[4:5], 0x50
	s_load_dword s9, s[4:5], 0x48
	s_waitcnt lgkmcnt(0)
	s_mul_i32 s1, s7, s1
	s_mul_hi_u32 s4, s7, s0
	s_mul_i32 s0, s7, s0
	s_add_i32 s1, s4, s1
	s_lshl_b64 s[0:1], s[0:1], 2
	s_add_u32 s7, s2, s0
	s_addc_u32 s11, s3, s1
	s_lshl_b64 s[4:5], s[20:21], 2
	s_add_u32 s12, s7, s4
	v_mad_u64_u32 v[0:1], s[6:7], s6, 28, v[0:1]
	v_mad_i64_i32 v[0:1], s[6:7], s9, v0, 0
	s_addc_u32 s11, s11, s5
	v_lshlrev_b64 v[30:31], 2, v[0:1]
	v_mov_b32_e32 v0, s11
	v_add_co_u32_e32 v28, vcc, s12, v30
	v_addc_co_u32_e32 v29, vcc, v0, v31, vcc
	s_cmpk_eq_i32 s8, 0x6f
	s_mov_b64 s[6:7], -1
	s_cbranch_scc1 .LBB32_37
; %bb.17:
	s_cmp_gt_i32 s10, 27
	s_cselect_b64 s[8:9], -1, 0
	s_mov_b32 s6, 0
	s_and_b64 vcc, exec, s[8:9]
	s_cbranch_vccz .LBB32_19
; %bb.18:
	global_load_dwordx4 v[4:7], v[28:29], off
	global_load_dwordx4 v[8:11], v[28:29], off offset:16
	global_load_dwordx4 v[12:15], v[28:29], off offset:32
	;; [unrolled: 1-line block ×6, first 2 shown]
	v_mov_b32_e32 v32, 0
	ds_read_b32 v33, v32
	ds_read_b64 v[66:67], v32 offset:112
	ds_read_b96 v[70:72], v32 offset:224
	ds_read_b128 v[34:37], v32 offset:336
	ds_read_b128 v[38:41], v32 offset:448
	ds_read_b32 v77, v32 offset:464
	ds_read_b128 v[42:45], v32 offset:560
	ds_read_b64 v[78:79], v32 offset:576
	ds_read_b128 v[46:49], v32 offset:672
	ds_read_b96 v[74:76], v32 offset:688
	ds_read_b128 v[50:53], v32 offset:784
	ds_read_b128 v[54:57], v32 offset:800
	;; [unrolled: 1-line block ×4, first 2 shown]
	ds_read_b32 v82, v32 offset:928
	s_mov_b32 s6, 28
	s_waitcnt vmcnt(6)
	v_mul_f32_e32 v4, s16, v4
	s_waitcnt lgkmcnt(14)
	v_mul_f32_e32 v4, v33, v4
	s_waitcnt lgkmcnt(13)
	;; [unrolled: 2-line block ×3, first 2 shown]
	v_mul_f32_e32 v66, v4, v70
	v_fma_f32 v5, v5, s16, -v33
	s_waitcnt lgkmcnt(10)
	v_mul_f32_e32 v38, v4, v38
	s_waitcnt lgkmcnt(8)
	v_mul_f32_e32 v42, v4, v42
	;; [unrolled: 2-line block ×3, first 2 shown]
	v_fma_f32 v6, v6, s16, -v66
	s_waitcnt lgkmcnt(4)
	v_mul_f32_e32 v33, v4, v50
	v_mul_f32_e32 v5, v67, v5
	s_waitcnt vmcnt(5)
	v_fma_f32 v38, v8, s16, -v38
	v_fma_f32 v42, v9, s16, -v42
	v_fma_f32 v46, v10, s16, -v46
	v_fma_f32 v33, v11, s16, -v33
	ds_read_b128 v[8:11], v32 offset:1008
	v_fma_f32 v6, -v5, v71, v6
	ds_read_b128 v[66:69], v32 offset:1024
	ds_read_b64 v[80:81], v32 offset:1040
	v_mul_f32_e32 v6, v72, v6
	ds_read_b128 v[70:73], v32 offset:1120
	v_mul_f32_e32 v34, v4, v34
	v_fma_f32 v7, v7, s16, -v34
	v_fma_f32 v7, -v5, v35, v7
	v_fma_f32 v7, -v6, v36, v7
	s_waitcnt lgkmcnt(3)
	v_mul_f32_e32 v8, v4, v8
	v_mul_f32_e32 v7, v37, v7
	ds_read_b128 v[34:37], v32 offset:1136
	v_fma_f32 v38, -v5, v39, v38
	v_fma_f32 v42, -v5, v43, v42
	s_waitcnt lgkmcnt(1)
	v_mul_f32_e32 v43, v4, v70
	s_waitcnt vmcnt(4)
	v_fma_f32 v8, v13, s16, -v8
	v_fma_f32 v38, -v6, v40, v38
	v_fma_f32 v13, v14, s16, -v43
	v_fma_f32 v8, -v5, v9, v8
	v_fma_f32 v41, -v7, v41, v38
	v_mul_f32_e32 v50, v4, v58
	v_fma_f32 v42, -v6, v44, v42
	v_fma_f32 v14, -v5, v47, v46
	v_fma_f32 v33, -v5, v51, v33
	v_fma_f32 v9, -v5, v71, v13
	v_fma_f32 v8, -v6, v10, v8
	v_fma_f32 v42, -v7, v45, v42
	v_fma_f32 v12, v12, s16, -v50
	v_fma_f32 v13, -v6, v48, v14
	v_fma_f32 v14, -v6, v52, v33
	;; [unrolled: 1-line block ×4, first 2 shown]
	v_mul_f32_e32 v8, v77, v41
	v_fma_f32 v12, -v5, v59, v12
	v_fma_f32 v10, -v7, v49, v13
	;; [unrolled: 1-line block ×7, first 2 shown]
	v_mul_f32_e32 v9, v79, v9
	v_fma_f32 v12, -v7, v61, v12
	v_fma_f32 v13, -v8, v54, v13
	;; [unrolled: 1-line block ×6, first 2 shown]
	v_mul_f32_e32 v10, v76, v10
	s_waitcnt lgkmcnt(0)
	v_fma_f32 v14, -v8, v34, v14
	ds_read_b96 v[38:40], v32 offset:1152
	v_fma_f32 v12, -v9, v63, v12
	v_fma_f32 v11, -v9, v67, v11
	;; [unrolled: 1-line block ×6, first 2 shown]
	v_mul_f32_e32 v11, v57, v13
	v_fma_f32 v14, -v10, v36, v14
	v_fma_f32 v12, -v11, v65, v12
	;; [unrolled: 1-line block ×3, first 2 shown]
	ds_read_b128 v[34:37], v32 offset:1232
	v_fma_f32 v13, -v11, v69, v33
	v_mul_f32_e32 v12, v82, v12
	v_fma_f32 v13, -v12, v80, v13
	v_mul_f32_e32 v13, v81, v13
	s_waitcnt lgkmcnt(1)
	v_fma_f32 v14, -v12, v38, v14
	v_fma_f32 v14, -v13, v39, v14
	v_mul_f32_e32 v14, v40, v14
	ds_read_b128 v[38:41], v32 offset:1248
	s_waitcnt lgkmcnt(1)
	v_mul_f32_e32 v33, v4, v34
	v_fma_f32 v15, v15, s16, -v33
	v_fma_f32 v15, -v5, v35, v15
	v_fma_f32 v15, -v6, v36, v15
	;; [unrolled: 1-line block ×3, first 2 shown]
	ds_read_b128 v[34:37], v32 offset:1264
	s_waitcnt lgkmcnt(1)
	v_fma_f32 v15, -v8, v38, v15
	v_fma_f32 v15, -v9, v39, v15
	v_fma_f32 v15, -v10, v40, v15
	v_fma_f32 v15, -v11, v41, v15
	ds_read_b128 v[38:41], v32 offset:1344
	s_waitcnt lgkmcnt(1)
	v_fma_f32 v15, -v12, v34, v15
	v_fma_f32 v15, -v13, v35, v15
	;; [unrolled: 1-line block ×3, first 2 shown]
	v_mul_f32_e32 v15, v37, v15
	ds_read_b128 v[34:37], v32 offset:1360
	s_waitcnt lgkmcnt(1)
	v_mul_f32_e32 v33, v4, v38
	s_waitcnt vmcnt(3)
	v_fma_f32 v20, v20, s16, -v33
	v_fma_f32 v20, -v5, v39, v20
	v_fma_f32 v20, -v6, v40, v20
	;; [unrolled: 1-line block ×3, first 2 shown]
	ds_read_b128 v[38:41], v32 offset:1376
	s_waitcnt lgkmcnt(1)
	v_fma_f32 v20, -v8, v34, v20
	v_fma_f32 v20, -v9, v35, v20
	global_store_dwordx4 v[28:29], v[4:7], off
	global_store_dwordx4 v[28:29], v[8:11], off offset:16
	global_store_dwordx4 v[28:29], v[12:15], off offset:32
	v_fma_f32 v20, -v10, v36, v20
	v_fma_f32 v20, -v11, v37, v20
	ds_read_b32 v33, v32 offset:1392
	ds_read_b128 v[34:37], v32 offset:1456
	s_waitcnt lgkmcnt(2)
	v_fma_f32 v20, -v12, v38, v20
	v_fma_f32 v20, -v13, v39, v20
	;; [unrolled: 1-line block ×4, first 2 shown]
	s_waitcnt lgkmcnt(1)
	v_mul_f32_e32 v20, v33, v20
	s_waitcnt lgkmcnt(0)
	v_mul_f32_e32 v33, v4, v34
	ds_read_b128 v[38:41], v32 offset:1472
	v_fma_f32 v21, v21, s16, -v33
	v_fma_f32 v21, -v5, v35, v21
	v_fma_f32 v21, -v6, v36, v21
	;; [unrolled: 1-line block ×3, first 2 shown]
	ds_read_b128 v[34:37], v32 offset:1488
	s_waitcnt lgkmcnt(1)
	v_fma_f32 v21, -v8, v38, v21
	v_fma_f32 v21, -v9, v39, v21
	;; [unrolled: 1-line block ×4, first 2 shown]
	ds_read_b64 v[42:43], v32 offset:1504
	ds_read_b128 v[38:41], v32 offset:1568
	s_waitcnt lgkmcnt(2)
	v_fma_f32 v21, -v12, v34, v21
	v_fma_f32 v21, -v13, v35, v21
	;; [unrolled: 1-line block ×4, first 2 shown]
	s_waitcnt lgkmcnt(0)
	v_mul_f32_e32 v33, v4, v38
	ds_read_b128 v[34:37], v32 offset:1584
	v_fma_f32 v22, v22, s16, -v33
	v_fma_f32 v22, -v5, v39, v22
	v_fma_f32 v22, -v6, v40, v22
	;; [unrolled: 1-line block ×3, first 2 shown]
	ds_read_b128 v[38:41], v32 offset:1600
	s_waitcnt lgkmcnt(1)
	v_fma_f32 v22, -v8, v34, v22
	v_fma_f32 v22, -v9, v35, v22
	;; [unrolled: 1-line block ×4, first 2 shown]
	v_mul_f32_e32 v21, v43, v21
	v_fma_f32 v22, -v11, v37, v22
	ds_read_b96 v[42:44], v32 offset:1616
	ds_read_b128 v[34:37], v32 offset:1680
	s_waitcnt lgkmcnt(2)
	v_fma_f32 v22, -v12, v38, v22
	v_fma_f32 v22, -v13, v39, v22
	;; [unrolled: 1-line block ×4, first 2 shown]
	s_waitcnt lgkmcnt(0)
	v_mul_f32_e32 v33, v4, v34
	ds_read_b128 v[38:41], v32 offset:1696
	v_fma_f32 v23, v23, s16, -v33
	v_fma_f32 v23, -v5, v35, v23
	v_fma_f32 v23, -v6, v36, v23
	;; [unrolled: 1-line block ×3, first 2 shown]
	ds_read_b128 v[34:37], v32 offset:1712
	s_waitcnt lgkmcnt(1)
	v_fma_f32 v23, -v8, v38, v23
	v_fma_f32 v23, -v9, v39, v23
	;; [unrolled: 1-line block ×4, first 2 shown]
	ds_read_b128 v[38:41], v32 offset:1728
	s_waitcnt lgkmcnt(1)
	v_fma_f32 v23, -v12, v34, v23
	v_fma_f32 v23, -v13, v35, v23
	;; [unrolled: 1-line block ×5, first 2 shown]
	ds_read_b128 v[34:37], v32 offset:1792
	v_fma_f32 v22, -v21, v43, v22
	s_waitcnt lgkmcnt(1)
	v_fma_f32 v23, -v20, v38, v23
	v_mul_f32_e32 v22, v44, v22
	v_fma_f32 v23, -v21, v39, v23
	v_fma_f32 v23, -v22, v40, v23
	v_mul_f32_e32 v23, v41, v23
	global_store_dwordx4 v[28:29], v[20:23], off offset:48
	s_waitcnt lgkmcnt(0)
	v_mul_f32_e32 v33, v4, v34
	ds_read_b128 v[38:41], v32 offset:1808
	ds_read_b128 v[42:45], v32 offset:1824
	s_waitcnt vmcnt(4)
	v_fma_f32 v24, v24, s16, -v33
	v_fma_f32 v24, -v5, v35, v24
	v_fma_f32 v24, -v6, v36, v24
	;; [unrolled: 1-line block ×3, first 2 shown]
	s_waitcnt lgkmcnt(1)
	v_fma_f32 v24, -v8, v38, v24
	v_fma_f32 v24, -v9, v39, v24
	;; [unrolled: 1-line block ×4, first 2 shown]
	ds_read_b128 v[34:37], v32 offset:1840
	ds_read_b32 v33, v32 offset:1856
	s_waitcnt lgkmcnt(2)
	v_fma_f32 v24, -v12, v42, v24
	v_fma_f32 v24, -v13, v43, v24
	;; [unrolled: 1-line block ×4, first 2 shown]
	ds_read_b128 v[38:41], v32 offset:1904
	s_waitcnt lgkmcnt(2)
	v_fma_f32 v24, -v20, v34, v24
	v_fma_f32 v24, -v21, v35, v24
	;; [unrolled: 1-line block ×4, first 2 shown]
	ds_read_b128 v[34:37], v32 offset:1920
	s_waitcnt lgkmcnt(2)
	v_mul_f32_e32 v24, v33, v24
	s_waitcnt lgkmcnt(1)
	v_mul_f32_e32 v33, v4, v38
	v_fma_f32 v25, v25, s16, -v33
	v_fma_f32 v25, -v5, v39, v25
	v_fma_f32 v25, -v6, v40, v25
	;; [unrolled: 1-line block ×3, first 2 shown]
	ds_read_b128 v[38:41], v32 offset:1936
	s_waitcnt lgkmcnt(1)
	v_fma_f32 v25, -v8, v34, v25
	v_fma_f32 v25, -v9, v35, v25
	;; [unrolled: 1-line block ×4, first 2 shown]
	ds_read_b128 v[34:37], v32 offset:1952
	s_waitcnt lgkmcnt(1)
	v_fma_f32 v25, -v12, v38, v25
	v_fma_f32 v25, -v13, v39, v25
	;; [unrolled: 1-line block ×4, first 2 shown]
	ds_read_b64 v[42:43], v32 offset:1968
	ds_read_b128 v[38:41], v32 offset:2016
	s_waitcnt lgkmcnt(2)
	v_fma_f32 v25, -v20, v34, v25
	v_fma_f32 v25, -v21, v35, v25
	;; [unrolled: 1-line block ×4, first 2 shown]
	s_waitcnt lgkmcnt(0)
	v_mul_f32_e32 v33, v4, v38
	ds_read_b128 v[34:37], v32 offset:2032
	v_fma_f32 v26, v26, s16, -v33
	v_fma_f32 v26, -v5, v39, v26
	v_fma_f32 v26, -v6, v40, v26
	;; [unrolled: 1-line block ×3, first 2 shown]
	ds_read_b128 v[38:41], v32 offset:2048
	s_waitcnt lgkmcnt(1)
	v_fma_f32 v26, -v8, v34, v26
	v_fma_f32 v26, -v9, v35, v26
	;; [unrolled: 1-line block ×4, first 2 shown]
	ds_read_b128 v[34:37], v32 offset:2064
	s_waitcnt lgkmcnt(1)
	v_fma_f32 v26, -v12, v38, v26
	v_fma_f32 v26, -v13, v39, v26
	v_fma_f32 v26, -v14, v40, v26
	ds_read_b96 v[38:40], v32 offset:2080
	v_fma_f32 v26, -v15, v41, v26
	s_waitcnt lgkmcnt(1)
	v_fma_f32 v26, -v20, v34, v26
	v_fma_f32 v26, -v21, v35, v26
	;; [unrolled: 1-line block ×4, first 2 shown]
	ds_read_b128 v[34:37], v32 offset:2128
	v_fma_f32 v25, -v24, v42, v25
	v_mul_f32_e32 v25, v43, v25
	s_waitcnt lgkmcnt(1)
	v_fma_f32 v26, -v24, v38, v26
	v_fma_f32 v26, -v25, v39, v26
	v_mul_f32_e32 v26, v40, v26
	ds_read_b128 v[38:41], v32 offset:2144
	s_waitcnt lgkmcnt(1)
	v_mul_f32_e32 v33, v4, v34
	v_fma_f32 v27, v27, s16, -v33
	v_fma_f32 v27, -v5, v35, v27
	v_fma_f32 v27, -v6, v36, v27
	v_fma_f32 v27, -v7, v37, v27
	ds_read_b128 v[34:37], v32 offset:2160
	s_waitcnt lgkmcnt(1)
	v_fma_f32 v27, -v8, v38, v27
	v_fma_f32 v27, -v9, v39, v27
	v_fma_f32 v27, -v10, v40, v27
	v_fma_f32 v27, -v11, v41, v27
	ds_read_b128 v[38:41], v32 offset:2176
	s_waitcnt lgkmcnt(1)
	v_fma_f32 v27, -v12, v34, v27
	;; [unrolled: 6-line block ×4, first 2 shown]
	v_fma_f32 v27, -v25, v35, v27
	v_fma_f32 v27, -v26, v36, v27
	v_mul_f32_e32 v27, v37, v27
	global_store_dwordx4 v[28:29], v[24:27], off offset:64
	s_waitcnt lgkmcnt(0)
	v_mul_f32_e32 v33, v4, v38
	ds_read_b128 v[34:37], v32 offset:2256
	ds_read_b128 v[42:45], v32 offset:2272
	v_fma_f32 v16, v16, s16, -v33
	v_fma_f32 v16, -v5, v39, v16
	v_fma_f32 v16, -v6, v40, v16
	;; [unrolled: 1-line block ×3, first 2 shown]
	s_waitcnt lgkmcnt(1)
	v_fma_f32 v16, -v8, v34, v16
	v_fma_f32 v16, -v9, v35, v16
	;; [unrolled: 1-line block ×4, first 2 shown]
	ds_read_b128 v[34:37], v32 offset:2288
	ds_read_b128 v[38:41], v32 offset:2304
	s_waitcnt lgkmcnt(2)
	v_fma_f32 v16, -v12, v42, v16
	v_fma_f32 v16, -v13, v43, v16
	v_fma_f32 v16, -v14, v44, v16
	v_fma_f32 v16, -v15, v45, v16
	s_waitcnt lgkmcnt(1)
	v_fma_f32 v16, -v20, v34, v16
	v_fma_f32 v16, -v21, v35, v16
	;; [unrolled: 1-line block ×4, first 2 shown]
	ds_read_b32 v33, v32 offset:2320
	ds_read_b128 v[34:37], v32 offset:2352
	s_waitcnt lgkmcnt(2)
	v_fma_f32 v16, -v24, v38, v16
	v_fma_f32 v16, -v25, v39, v16
	;; [unrolled: 1-line block ×4, first 2 shown]
	s_waitcnt lgkmcnt(1)
	v_mul_f32_e32 v16, v33, v16
	s_waitcnt lgkmcnt(0)
	v_mul_f32_e32 v33, v4, v34
	ds_read_b128 v[38:41], v32 offset:2368
	v_fma_f32 v17, v17, s16, -v33
	v_fma_f32 v17, -v5, v35, v17
	v_fma_f32 v17, -v6, v36, v17
	v_fma_f32 v17, -v7, v37, v17
	ds_read_b128 v[34:37], v32 offset:2384
	s_waitcnt lgkmcnt(1)
	v_fma_f32 v17, -v8, v38, v17
	v_fma_f32 v17, -v9, v39, v17
	v_fma_f32 v17, -v10, v40, v17
	v_fma_f32 v17, -v11, v41, v17
	ds_read_b128 v[38:41], v32 offset:2400
	s_waitcnt lgkmcnt(1)
	v_fma_f32 v17, -v12, v34, v17
	;; [unrolled: 6-line block ×3, first 2 shown]
	v_fma_f32 v17, -v21, v39, v17
	v_fma_f32 v17, -v22, v40, v17
	v_fma_f32 v17, -v23, v41, v17
	ds_read_b64 v[42:43], v32 offset:2432
	ds_read_b128 v[38:41], v32 offset:2464
	s_waitcnt lgkmcnt(2)
	v_fma_f32 v17, -v24, v34, v17
	v_fma_f32 v17, -v25, v35, v17
	;; [unrolled: 1-line block ×4, first 2 shown]
	s_waitcnt lgkmcnt(0)
	v_mul_f32_e32 v33, v4, v38
	ds_read_b128 v[34:37], v32 offset:2480
	v_fma_f32 v18, v18, s16, -v33
	v_fma_f32 v18, -v5, v39, v18
	v_fma_f32 v18, -v6, v40, v18
	v_fma_f32 v18, -v7, v41, v18
	ds_read_b128 v[38:41], v32 offset:2496
	s_waitcnt lgkmcnt(1)
	v_fma_f32 v18, -v8, v34, v18
	v_fma_f32 v18, -v9, v35, v18
	v_fma_f32 v18, -v10, v36, v18
	v_fma_f32 v18, -v11, v37, v18
	ds_read_b128 v[34:37], v32 offset:2512
	s_waitcnt lgkmcnt(1)
	v_fma_f32 v18, -v12, v38, v18
	;; [unrolled: 6-line block ×3, first 2 shown]
	v_fma_f32 v18, -v21, v35, v18
	v_fma_f32 v17, -v16, v42, v17
	;; [unrolled: 1-line block ×3, first 2 shown]
	v_mul_f32_e32 v17, v43, v17
	v_fma_f32 v18, -v23, v37, v18
	ds_read_b96 v[42:44], v32 offset:2544
	ds_read_b128 v[34:37], v32 offset:2576
	s_waitcnt lgkmcnt(2)
	v_fma_f32 v18, -v24, v38, v18
	v_fma_f32 v18, -v25, v39, v18
	;; [unrolled: 1-line block ×4, first 2 shown]
	s_waitcnt lgkmcnt(0)
	v_mul_f32_e32 v33, v4, v34
	ds_read_b128 v[38:41], v32 offset:2592
	v_fma_f32 v19, v19, s16, -v33
	v_fma_f32 v19, -v5, v35, v19
	v_fma_f32 v19, -v6, v36, v19
	v_fma_f32 v19, -v7, v37, v19
	ds_read_b128 v[34:37], v32 offset:2608
	s_waitcnt lgkmcnt(1)
	v_fma_f32 v19, -v8, v38, v19
	v_fma_f32 v19, -v9, v39, v19
	v_fma_f32 v19, -v10, v40, v19
	v_fma_f32 v19, -v11, v41, v19
	ds_read_b128 v[38:41], v32 offset:2624
	s_waitcnt lgkmcnt(1)
	v_fma_f32 v19, -v12, v34, v19
	;; [unrolled: 6-line block ×4, first 2 shown]
	v_fma_f32 v19, -v25, v35, v19
	v_fma_f32 v19, -v26, v36, v19
	;; [unrolled: 1-line block ×4, first 2 shown]
	ds_read_b128 v[34:37], v32 offset:2688
	v_fma_f32 v18, -v17, v43, v18
	s_waitcnt lgkmcnt(1)
	v_fma_f32 v19, -v16, v38, v19
	v_mul_f32_e32 v18, v44, v18
	v_fma_f32 v19, -v17, v39, v19
	v_fma_f32 v19, -v18, v40, v19
	v_mul_f32_e32 v19, v41, v19
	global_store_dwordx4 v[28:29], v[16:19], off offset:80
	s_waitcnt lgkmcnt(0)
	v_mul_f32_e32 v33, v4, v34
	ds_read_b128 v[38:41], v32 offset:2704
	ds_read_b128 v[42:45], v32 offset:2720
	v_fma_f32 v0, v0, s16, -v33
	v_fma_f32 v0, -v5, v35, v0
	v_fma_f32 v0, -v6, v36, v0
	;; [unrolled: 1-line block ×3, first 2 shown]
	s_waitcnt lgkmcnt(1)
	v_fma_f32 v0, -v8, v38, v0
	v_fma_f32 v0, -v9, v39, v0
	;; [unrolled: 1-line block ×4, first 2 shown]
	ds_read_b128 v[34:37], v32 offset:2736
	ds_read_b128 v[38:41], v32 offset:2752
	s_waitcnt lgkmcnt(2)
	v_fma_f32 v0, -v12, v42, v0
	v_fma_f32 v0, -v13, v43, v0
	;; [unrolled: 1-line block ×4, first 2 shown]
	s_waitcnt lgkmcnt(1)
	v_fma_f32 v0, -v20, v34, v0
	v_fma_f32 v0, -v21, v35, v0
	;; [unrolled: 1-line block ×4, first 2 shown]
	ds_read_b128 v[34:37], v32 offset:2768
	ds_read_b32 v33, v32 offset:2784
	s_waitcnt lgkmcnt(2)
	v_fma_f32 v0, -v24, v38, v0
	v_fma_f32 v0, -v25, v39, v0
	;; [unrolled: 1-line block ×4, first 2 shown]
	ds_read_b128 v[38:41], v32 offset:2800
	s_waitcnt lgkmcnt(2)
	v_fma_f32 v0, -v16, v34, v0
	v_fma_f32 v0, -v17, v35, v0
	;; [unrolled: 1-line block ×4, first 2 shown]
	ds_read_b128 v[34:37], v32 offset:2816
	s_waitcnt lgkmcnt(2)
	v_mul_f32_e32 v0, v33, v0
	s_waitcnt lgkmcnt(1)
	v_mul_f32_e32 v33, v4, v38
	v_fma_f32 v1, v1, s16, -v33
	v_fma_f32 v1, -v5, v39, v1
	v_fma_f32 v1, -v6, v40, v1
	v_fma_f32 v1, -v7, v41, v1
	ds_read_b128 v[38:41], v32 offset:2832
	s_waitcnt lgkmcnt(1)
	v_fma_f32 v1, -v8, v34, v1
	v_fma_f32 v1, -v9, v35, v1
	v_fma_f32 v1, -v10, v36, v1
	v_fma_f32 v1, -v11, v37, v1
	ds_read_b128 v[34:37], v32 offset:2848
	s_waitcnt lgkmcnt(1)
	v_fma_f32 v1, -v12, v38, v1
	;; [unrolled: 6-line block ×4, first 2 shown]
	v_fma_f32 v1, -v25, v39, v1
	v_fma_f32 v1, -v26, v40, v1
	;; [unrolled: 1-line block ×3, first 2 shown]
	ds_read_b64 v[42:43], v32 offset:2896
	ds_read_b128 v[38:41], v32 offset:2912
	s_waitcnt lgkmcnt(2)
	v_fma_f32 v1, -v16, v34, v1
	v_fma_f32 v1, -v17, v35, v1
	;; [unrolled: 1-line block ×4, first 2 shown]
	s_waitcnt lgkmcnt(0)
	v_mul_f32_e32 v33, v4, v38
	ds_read_b128 v[34:37], v32 offset:2928
	v_fma_f32 v2, v2, s16, -v33
	v_fma_f32 v2, -v5, v39, v2
	v_fma_f32 v2, -v6, v40, v2
	v_fma_f32 v2, -v7, v41, v2
	ds_read_b128 v[38:41], v32 offset:2944
	s_waitcnt lgkmcnt(1)
	v_fma_f32 v2, -v8, v34, v2
	v_fma_f32 v2, -v9, v35, v2
	v_fma_f32 v2, -v10, v36, v2
	v_fma_f32 v2, -v11, v37, v2
	ds_read_b128 v[34:37], v32 offset:2960
	s_waitcnt lgkmcnt(1)
	v_fma_f32 v2, -v12, v38, v2
	;; [unrolled: 6-line block ×4, first 2 shown]
	v_fma_f32 v2, -v25, v39, v2
	v_fma_f32 v2, -v26, v40, v2
	ds_read_b96 v[38:40], v32 offset:3008
	v_fma_f32 v2, -v27, v41, v2
	s_waitcnt lgkmcnt(1)
	v_fma_f32 v2, -v16, v34, v2
	v_fma_f32 v2, -v17, v35, v2
	;; [unrolled: 1-line block ×4, first 2 shown]
	ds_read_b128 v[34:37], v32 offset:3024
	v_fma_f32 v1, -v0, v42, v1
	v_mul_f32_e32 v1, v43, v1
	s_waitcnt lgkmcnt(1)
	v_fma_f32 v2, -v0, v38, v2
	v_fma_f32 v2, -v1, v39, v2
	v_mul_f32_e32 v2, v40, v2
	ds_read_b128 v[38:41], v32 offset:3040
	s_waitcnt lgkmcnt(1)
	v_mul_f32_e32 v4, v4, v34
	v_fma_f32 v3, v3, s16, -v4
	v_fma_f32 v3, -v5, v35, v3
	v_fma_f32 v3, -v6, v36, v3
	v_fma_f32 v3, -v7, v37, v3
	ds_read_b128 v[4:7], v32 offset:3056
	s_waitcnt lgkmcnt(1)
	v_fma_f32 v3, -v8, v38, v3
	v_fma_f32 v3, -v9, v39, v3
	v_fma_f32 v3, -v10, v40, v3
	v_fma_f32 v3, -v11, v41, v3
	ds_read_b128 v[8:11], v32 offset:3072
	s_waitcnt lgkmcnt(1)
	v_fma_f32 v3, -v12, v4, v3
	;; [unrolled: 6-line block ×5, first 2 shown]
	v_fma_f32 v3, -v17, v9, v3
	v_fma_f32 v3, -v18, v10, v3
	v_fma_f32 v3, -v19, v11, v3
	s_waitcnt lgkmcnt(0)
	v_fma_f32 v3, -v0, v4, v3
	v_fma_f32 v3, -v1, v5, v3
	;; [unrolled: 1-line block ×3, first 2 shown]
	v_mul_f32_e32 v3, v7, v3
	global_store_dwordx4 v[28:29], v[0:3], off offset:96
.LBB32_19:
	s_cmp_lt_i32 s6, s18
	s_cbranch_scc0 .LBB32_36
; %bb.20:
	s_add_i32 s7, s6, 23
	s_cmp_ge_u32 s7, s18
	s_cbranch_scc1 .LBB32_25
; %bb.21:
	s_lshl_b32 s11, s6, 2
	v_add_co_u32_e32 v20, vcc, s11, v28
	v_addc_co_u32_e32 v21, vcc, 0, v29, vcc
	global_load_dwordx4 v[0:3], v[20:21], off
	global_load_dwordx4 v[4:7], v[20:21], off offset:16
	global_load_dwordx4 v[8:11], v[20:21], off offset:32
	;; [unrolled: 1-line block ×5, first 2 shown]
	s_mov_b32 s11, 0
	s_andn2_b64 vcc, exec, s[8:9]
	s_waitcnt vmcnt(5)
	v_pk_mul_f32 v[0:1], v[0:1], s[16:17] op_sel_hi:[1,0]
	v_pk_mul_f32 v[2:3], v[2:3], s[16:17] op_sel_hi:[1,0]
	s_waitcnt vmcnt(4)
	v_pk_mul_f32 v[4:5], v[4:5], s[16:17] op_sel_hi:[1,0]
	v_pk_mul_f32 v[6:7], v[6:7], s[16:17] op_sel_hi:[1,0]
	;; [unrolled: 3-line block ×6, first 2 shown]
	s_cbranch_vccnz .LBB32_24
; %bb.22:
	s_mul_i32 s8, s6, 0x70
	v_pk_mov_b32 v[26:27], v[28:29], v[28:29] op_sel:[0,1]
.LBB32_23:                              ; =>This Inner Loop Header: Depth=1
	global_load_dword v32, v[26:27], off
	v_mov_b32_e32 v33, s8
	v_add_u32_e32 v50, 0x400, v33
	v_add_u32_e32 v52, 0x600, v33
	ds_read2_b32 v[34:35], v33 offset1:28
	ds_read2_b32 v[36:37], v33 offset0:56 offset1:84
	ds_read2_b32 v[38:39], v33 offset0:112 offset1:140
	;; [unrolled: 1-line block ×4, first 2 shown]
	v_add_u32_e32 v33, 0x800, v33
	ds_read2_b32 v[44:45], v50 offset0:24 offset1:52
	ds_read2_b32 v[46:47], v50 offset0:80 offset1:108
	;; [unrolled: 1-line block ×7, first 2 shown]
	s_add_i32 s11, s11, 1
	s_add_i32 s8, s8, 4
	v_add_co_u32_e32 v26, vcc, 4, v26
	v_addc_co_u32_e32 v27, vcc, 0, v27, vcc
	s_cmp_lt_u32 s11, s6
	s_waitcnt vmcnt(0) lgkmcnt(11)
	v_pk_fma_f32 v[0:1], v[32:33], v[34:35], v[0:1] op_sel_hi:[0,1,1] neg_lo:[1,0,0] neg_hi:[1,0,0]
	s_waitcnt lgkmcnt(10)
	v_pk_fma_f32 v[2:3], v[32:33], v[36:37], v[2:3] op_sel_hi:[0,1,1] neg_lo:[1,0,0] neg_hi:[1,0,0]
	s_waitcnt lgkmcnt(9)
	;; [unrolled: 2-line block ×11, first 2 shown]
	v_pk_fma_f32 v[22:23], v[32:33], v[56:57], v[22:23] op_sel_hi:[0,1,1] neg_lo:[1,0,0] neg_hi:[1,0,0]
	s_cbranch_scc1 .LBB32_23
.LBB32_24:
	s_mul_i32 s8, s6, 0x74
	v_mov_b32_e32 v26, s8
	s_or_b32 s8, s6, 1
	s_mul_i32 s8, s8, 28
	s_add_i32 s8, s8, s6
	s_lshl_b32 s9, s8, 2
	ds_read2_b32 v[44:45], v26 offset1:116
	v_mov_b32_e32 v27, s9
	ds_read2_b64 v[32:35], v27 offset1:58
	ds_read_b96 v[40:42], v27 offset:112
	ds_read_b128 v[36:39], v27 offset:224
	s_waitcnt lgkmcnt(3)
	v_mul_f32_e32 v0, v44, v0
	s_add_i32 s11, s9, 0x3fc
	s_waitcnt lgkmcnt(2)
	v_fma_f32 v1, -v0, v32, v1
	v_mul_f32_e32 v1, v33, v1
	s_waitcnt lgkmcnt(1)
	v_fma_f32 v2, -v0, v40, v2
	v_fma_f32 v2, -v1, v41, v2
	s_waitcnt lgkmcnt(0)
	v_fma_f32 v3, -v0, v36, v3
	v_mul_f32_e32 v2, v42, v2
	v_fma_f32 v3, -v1, v37, v3
	ds_read_b128 v[40:43], v27 offset:336
	v_fma_f32 v3, -v2, v38, v3
	v_mul_f32_e32 v3, v39, v3
	ds_read_b128 v[36:39], v27 offset:448
	ds_read2_b32 v[32:33], v27 offset0:140 offset1:145
	s_waitcnt lgkmcnt(2)
	v_fma_f32 v4, -v0, v40, v4
	v_fma_f32 v4, -v1, v41, v4
	;; [unrolled: 1-line block ×3, first 2 shown]
	s_waitcnt lgkmcnt(1)
	v_fma_f32 v5, -v0, v36, v5
	v_fma_f32 v5, -v1, v37, v5
	;; [unrolled: 1-line block ×4, first 2 shown]
	v_mul_f32_e32 v4, v45, v4
	v_fma_f32 v5, -v3, v39, v5
	v_fma_f32 v5, -v4, v34, v5
	v_mul_f32_e32 v5, v35, v5
	ds_read2_b32 v[34:35], v27 offset0:141 offset1:142
	s_waitcnt lgkmcnt(1)
	v_fma_f32 v6, -v0, v32, v6
	global_store_dwordx4 v[20:21], v[0:3], off
	ds_read2_b32 v[36:37], v27 offset0:143 offset1:144
	ds_read2_b32 v[38:39], v27 offset0:169 offset1:170
	;; [unrolled: 1-line block ×3, first 2 shown]
	v_add_u32_e32 v44, 0x400, v26
	s_waitcnt lgkmcnt(3)
	v_fma_f32 v6, -v1, v34, v6
	v_fma_f32 v6, -v2, v35, v6
	ds_read2_b32 v[34:35], v26 offset0:174 offset1:203
	ds_read2_b32 v[42:43], v27 offset0:168 offset1:196
	s_waitcnt lgkmcnt(4)
	v_fma_f32 v6, -v3, v36, v6
	v_fma_f32 v6, -v4, v37, v6
	;; [unrolled: 1-line block ×3, first 2 shown]
	ds_read2_b32 v[32:33], v27 offset0:173 offset1:174
	s_waitcnt lgkmcnt(1)
	v_fma_f32 v7, -v0, v42, v7
	v_fma_f32 v7, -v1, v38, v7
	;; [unrolled: 1-line block ×5, first 2 shown]
	ds_read2_b32 v[36:37], v27 offset0:197 offset1:198
	ds_read2_b32 v[38:39], v27 offset0:199 offset1:200
	;; [unrolled: 1-line block ×3, first 2 shown]
	v_fma_f32 v8, -v0, v43, v8
	v_mul_f32_e32 v6, v34, v6
	s_waitcnt lgkmcnt(3)
	v_fma_f32 v7, -v5, v32, v7
	s_waitcnt lgkmcnt(2)
	v_fma_f32 v8, -v1, v36, v8
	v_fma_f32 v7, -v6, v33, v7
	ds_read2_b32 v[32:33], v27 offset0:203 offset1:224
	v_fma_f32 v8, -v2, v37, v8
	s_waitcnt lgkmcnt(2)
	v_fma_f32 v8, -v3, v38, v8
	ds_read2_b32 v[36:37], v27 offset0:225 offset1:226
	v_fma_f32 v8, -v4, v39, v8
	v_mul_f32_e32 v7, v35, v7
	s_waitcnt lgkmcnt(2)
	v_fma_f32 v8, -v5, v40, v8
	global_store_dwordx4 v[20:21], v[4:7], off offset:16
	v_add_u32_e32 v34, 0x200, v26
	v_fma_f32 v8, -v6, v41, v8
	ds_read2_b32 v[34:35], v34 offset0:104 offset1:133
	s_waitcnt lgkmcnt(2)
	v_fma_f32 v8, -v7, v32, v8
	v_fma_f32 v9, -v0, v33, v9
	ds_read2_b32 v[32:33], v27 offset0:227 offset1:228
	ds_read2_b32 v[38:39], v27 offset0:229 offset1:230
	;; [unrolled: 1-line block ×3, first 2 shown]
	s_waitcnt lgkmcnt(4)
	v_fma_f32 v9, -v1, v36, v9
	v_fma_f32 v9, -v2, v37, v9
	s_waitcnt lgkmcnt(2)
	v_fma_f32 v9, -v3, v32, v9
	v_fma_f32 v9, -v4, v33, v9
	v_add_u32_e32 v32, 0x200, v27
	s_waitcnt lgkmcnt(1)
	v_fma_f32 v9, -v5, v38, v9
	ds_read2_b32 v[32:33], v32 offset0:124 offset1:133
	v_fma_f32 v9, -v6, v39, v9
	v_mul_f32_e32 v8, v34, v8
	s_waitcnt lgkmcnt(1)
	v_fma_f32 v9, -v7, v40, v9
	v_fma_f32 v9, -v8, v41, v9
	v_mul_f32_e32 v9, v35, v9
	ds_read2_b32 v[34:35], v27 offset0:253 offset1:254
	s_waitcnt lgkmcnt(1)
	v_fma_f32 v10, -v0, v32, v10
	v_mov_b32_e32 v32, s11
	s_add_i32 s11, s9, 0x404
	v_mov_b32_e32 v38, s11
	s_add_i32 s11, s9, 0x40c
	v_mov_b32_e32 v40, s11
	ds_read2_b32 v[36:37], v32 offset1:1
	ds_read2_b32 v[38:39], v38 offset1:1
	;; [unrolled: 1-line block ×3, first 2 shown]
	s_waitcnt lgkmcnt(3)
	v_fma_f32 v10, -v1, v34, v10
	v_fma_f32 v10, -v2, v35, v10
	s_waitcnt lgkmcnt(2)
	v_fma_f32 v10, -v3, v36, v10
	v_fma_f32 v10, -v4, v37, v10
	s_waitcnt lgkmcnt(1)
	v_fma_f32 v10, -v5, v38, v10
	ds_read2_b32 v[34:35], v44 offset0:34 offset1:63
	v_add_u32_e32 v27, 0x400, v27
	v_fma_f32 v10, -v6, v39, v10
	ds_read2_b32 v[36:37], v27 offset0:24 offset1:52
	s_waitcnt lgkmcnt(2)
	v_fma_f32 v10, -v7, v40, v10
	s_add_i32 s11, s9, 0x464
	v_fma_f32 v10, -v8, v41, v10
	v_mov_b32_e32 v32, s11
	v_fma_f32 v10, -v9, v33, v10
	s_add_i32 s11, s9, 0x46c
	ds_read2_b32 v[32:33], v32 offset1:1
	s_waitcnt lgkmcnt(2)
	v_mul_f32_e32 v10, v34, v10
	v_mov_b32_e32 v34, s11
	s_add_i32 s11, s9, 0x474
	s_waitcnt lgkmcnt(1)
	v_fma_f32 v11, -v0, v36, v11
	v_mov_b32_e32 v36, s11
	s_add_i32 s11, s9, 0x47c
	v_mov_b32_e32 v42, s11
	ds_read2_b32 v[38:39], v34 offset1:1
	ds_read2_b32 v[40:41], v36 offset1:1
	;; [unrolled: 1-line block ×3, first 2 shown]
	s_waitcnt lgkmcnt(3)
	v_fma_f32 v11, -v1, v32, v11
	v_fma_f32 v11, -v2, v33, v11
	s_add_i32 s11, s9, 0x484
	s_waitcnt lgkmcnt(2)
	v_fma_f32 v11, -v3, v38, v11
	v_mov_b32_e32 v32, s11
	v_fma_f32 v11, -v4, v39, v11
	ds_read2_b32 v[32:33], v32 offset1:1
	s_waitcnt lgkmcnt(2)
	v_fma_f32 v11, -v5, v40, v11
	v_fma_f32 v11, -v6, v41, v11
	s_waitcnt lgkmcnt(1)
	v_fma_f32 v11, -v7, v42, v11
	v_fma_f32 v11, -v8, v43, v11
	s_waitcnt lgkmcnt(0)
	v_fma_f32 v11, -v9, v32, v11
	s_add_i32 s11, s9, 0x4d4
	v_fma_f32 v11, -v10, v33, v11
	ds_read2_b32 v[32:33], v27 offset0:63 offset1:80
	v_mov_b32_e32 v27, s11
	v_mul_f32_e32 v11, v35, v11
	ds_read2_b32 v[34:35], v27 offset1:1
	s_add_i32 s11, s9, 0x4dc
	v_mov_b32_e32 v36, s11
	s_add_i32 s11, s9, 0x4e4
	global_store_dwordx4 v[20:21], v[8:11], off offset:32
	v_mov_b32_e32 v38, s11
	s_add_i32 s11, s9, 0x4ec
	v_fma_f32 v12, -v0, v37, v12
	v_mov_b32_e32 v27, s11
	ds_read2_b32 v[36:37], v36 offset1:1
	ds_read2_b32 v[38:39], v38 offset1:1
	;; [unrolled: 1-line block ×3, first 2 shown]
	s_waitcnt lgkmcnt(3)
	v_fma_f32 v12, -v1, v34, v12
	v_fma_f32 v12, -v2, v35, v12
	s_add_i32 s11, s9, 0x4f4
	s_waitcnt lgkmcnt(2)
	v_fma_f32 v12, -v3, v36, v12
	v_mov_b32_e32 v27, s11
	v_fma_f32 v12, -v4, v37, v12
	ds_read2_b32 v[34:35], v27 offset1:1
	s_waitcnt lgkmcnt(2)
	v_fma_f32 v12, -v5, v38, v12
	v_fma_f32 v12, -v6, v39, v12
	s_waitcnt lgkmcnt(1)
	v_fma_f32 v12, -v7, v40, v12
	v_fma_f32 v12, -v8, v41, v12
	ds_read2_b32 v[36:37], v44 offset0:92 offset1:121
	s_waitcnt lgkmcnt(1)
	v_fma_f32 v12, -v9, v34, v12
	s_add_i32 s11, s9, 0x544
	v_fma_f32 v12, -v10, v35, v12
	v_mov_b32_e32 v27, s11
	v_fma_f32 v12, -v11, v32, v12
	v_fma_f32 v13, -v0, v33, v13
	ds_read2_b32 v[32:33], v27 offset1:1
	s_add_i32 s11, s9, 0x54c
	v_mov_b32_e32 v34, s11
	s_add_i32 s11, s9, 0x554
	s_waitcnt lgkmcnt(1)
	v_mul_f32_e32 v12, v36, v12
	v_mov_b32_e32 v36, s11
	s_add_i32 s11, s9, 0x55c
	v_mov_b32_e32 v27, s11
	ds_read2_b32 v[34:35], v34 offset1:1
	ds_read2_b32 v[38:39], v36 offset1:1
	;; [unrolled: 1-line block ×3, first 2 shown]
	s_waitcnt lgkmcnt(3)
	v_fma_f32 v13, -v1, v32, v13
	v_fma_f32 v13, -v2, v33, v13
	s_add_i32 s11, s9, 0x564
	s_waitcnt lgkmcnt(2)
	v_fma_f32 v13, -v3, v34, v13
	v_mov_b32_e32 v27, s11
	v_fma_f32 v13, -v4, v35, v13
	ds_read2_b32 v[32:33], v27 offset1:1
	s_waitcnt lgkmcnt(2)
	v_fma_f32 v13, -v5, v38, v13
	s_addk_i32 s9, 0x56c
	v_fma_f32 v13, -v6, v39, v13
	v_mov_b32_e32 v27, s9
	s_waitcnt lgkmcnt(1)
	v_fma_f32 v13, -v7, v40, v13
	ds_read2_b32 v[38:39], v27 offset1:1
	v_fma_f32 v13, -v8, v41, v13
	s_waitcnt lgkmcnt(1)
	v_fma_f32 v13, -v9, v32, v13
	v_fma_f32 v13, -v10, v33, v13
	ds_read_b128 v[32:35], v26 offset:1568
	s_waitcnt lgkmcnt(1)
	v_fma_f32 v13, -v11, v38, v13
	v_fma_f32 v13, -v12, v39, v13
	v_mul_f32_e32 v13, v37, v13
	ds_read_b128 v[36:39], v26 offset:1584
	s_waitcnt lgkmcnt(1)
	v_fma_f32 v14, -v0, v32, v14
	v_fma_f32 v14, -v1, v33, v14
	;; [unrolled: 1-line block ×4, first 2 shown]
	ds_read_b128 v[32:35], v26 offset:1600
	s_waitcnt lgkmcnt(1)
	v_fma_f32 v14, -v4, v36, v14
	v_fma_f32 v14, -v5, v37, v14
	;; [unrolled: 1-line block ×3, first 2 shown]
	ds_read_b96 v[36:38], v26 offset:1616
	v_fma_f32 v14, -v7, v39, v14
	s_waitcnt lgkmcnt(1)
	v_fma_f32 v14, -v8, v32, v14
	v_fma_f32 v14, -v9, v33, v14
	;; [unrolled: 1-line block ×4, first 2 shown]
	ds_read_b128 v[32:35], v26 offset:1680
	s_waitcnt lgkmcnt(1)
	v_fma_f32 v14, -v12, v36, v14
	v_fma_f32 v14, -v13, v37, v14
	v_mul_f32_e32 v14, v38, v14
	ds_read_b128 v[36:39], v26 offset:1696
	s_waitcnt lgkmcnt(1)
	v_fma_f32 v15, -v0, v32, v15
	v_fma_f32 v15, -v1, v33, v15
	v_fma_f32 v15, -v2, v34, v15
	v_fma_f32 v15, -v3, v35, v15
	ds_read_b128 v[32:35], v26 offset:1712
	s_waitcnt lgkmcnt(1)
	v_fma_f32 v15, -v4, v36, v15
	v_fma_f32 v15, -v5, v37, v15
	v_fma_f32 v15, -v6, v38, v15
	v_fma_f32 v15, -v7, v39, v15
	;; [unrolled: 6-line block ×3, first 2 shown]
	ds_read_b128 v[32:35], v26 offset:1792
	s_waitcnt lgkmcnt(1)
	v_fma_f32 v15, -v12, v36, v15
	v_fma_f32 v15, -v13, v37, v15
	v_fma_f32 v15, -v14, v38, v15
	v_mul_f32_e32 v15, v39, v15
	global_store_dwordx4 v[20:21], v[12:15], off offset:48
	s_waitcnt lgkmcnt(0)
	v_fma_f32 v16, -v0, v32, v16
	ds_read_b128 v[36:39], v26 offset:1808
	ds_read_b128 v[40:43], v26 offset:1824
	;; [unrolled: 1-line block ×3, first 2 shown]
	v_fma_f32 v16, -v1, v33, v16
	v_fma_f32 v16, -v2, v34, v16
	;; [unrolled: 1-line block ×3, first 2 shown]
	ds_read_b32 v27, v26 offset:1856
	ds_read_b128 v[32:35], v26 offset:1904
	s_waitcnt lgkmcnt(4)
	v_fma_f32 v16, -v4, v36, v16
	v_fma_f32 v16, -v5, v37, v16
	v_fma_f32 v16, -v6, v38, v16
	v_fma_f32 v16, -v7, v39, v16
	ds_read_b128 v[36:39], v26 offset:1920
	s_waitcnt lgkmcnt(1)
	v_fma_f32 v17, -v0, v32, v17
	v_fma_f32 v17, -v1, v33, v17
	v_fma_f32 v17, -v2, v34, v17
	v_fma_f32 v17, -v3, v35, v17
	;; [unrolled: 6-line block ×4, first 2 shown]
	v_fma_f32 v17, -v11, v35, v17
	ds_read_b128 v[32:35], v26 offset:2016
	v_fma_f32 v16, -v9, v41, v16
	ds_read_b64 v[40:41], v26 offset:1968
	s_waitcnt lgkmcnt(2)
	v_fma_f32 v17, -v12, v36, v17
	v_fma_f32 v17, -v13, v37, v17
	v_fma_f32 v17, -v14, v38, v17
	v_fma_f32 v17, -v15, v39, v17
	ds_read_b128 v[36:39], v26 offset:2032
	s_waitcnt lgkmcnt(2)
	v_fma_f32 v18, -v0, v32, v18
	v_fma_f32 v18, -v1, v33, v18
	;; [unrolled: 1-line block ×5, first 2 shown]
	ds_read_b128 v[32:35], v26 offset:2048
	v_fma_f32 v16, -v11, v43, v16
	s_waitcnt lgkmcnt(1)
	v_fma_f32 v18, -v4, v36, v18
	v_fma_f32 v16, -v12, v44, v16
	;; [unrolled: 1-line block ×7, first 2 shown]
	ds_read_b128 v[36:39], v26 offset:2064
	v_fma_f32 v16, -v15, v47, v16
	s_waitcnt lgkmcnt(1)
	v_fma_f32 v18, -v8, v32, v18
	v_mul_f32_e32 v16, v27, v16
	v_fma_f32 v18, -v9, v33, v18
	v_fma_f32 v17, -v16, v40, v17
	;; [unrolled: 1-line block ×3, first 2 shown]
	v_mul_f32_e32 v17, v41, v17
	v_fma_f32 v18, -v11, v35, v18
	ds_read_b96 v[40:42], v26 offset:2080
	ds_read_b128 v[32:35], v26 offset:2128
	s_waitcnt lgkmcnt(2)
	v_fma_f32 v18, -v12, v36, v18
	v_fma_f32 v18, -v13, v37, v18
	v_fma_f32 v18, -v14, v38, v18
	v_fma_f32 v18, -v15, v39, v18
	ds_read_b128 v[36:39], v26 offset:2144
	s_waitcnt lgkmcnt(1)
	v_fma_f32 v19, -v0, v32, v19
	v_fma_f32 v19, -v1, v33, v19
	v_fma_f32 v19, -v2, v34, v19
	v_fma_f32 v19, -v3, v35, v19
	;; [unrolled: 6-line block ×5, first 2 shown]
	v_fma_f32 v19, -v15, v39, v19
	v_fma_f32 v18, -v17, v41, v18
	s_waitcnt lgkmcnt(0)
	v_fma_f32 v19, -v16, v32, v19
	v_mul_f32_e32 v18, v42, v18
	v_fma_f32 v19, -v17, v33, v19
	v_fma_f32 v19, -v18, v34, v19
	v_mul_f32_e32 v19, v35, v19
	ds_read_b128 v[32:35], v26 offset:2240
	global_store_dwordx4 v[20:21], v[16:19], off offset:64
	ds_read_b128 v[36:39], v26 offset:2256
	ds_read_b128 v[40:43], v26 offset:2272
	;; [unrolled: 1-line block ×3, first 2 shown]
	ds_read_b32 v27, v26 offset:2320
	s_mul_i32 s7, s7, 28
	s_waitcnt lgkmcnt(4)
	v_fma_f32 v24, -v0, v32, v24
	v_fma_f32 v24, -v1, v33, v24
	v_fma_f32 v24, -v2, v34, v24
	v_fma_f32 v24, -v3, v35, v24
	s_waitcnt lgkmcnt(3)
	v_fma_f32 v24, -v4, v36, v24
	v_fma_f32 v24, -v5, v37, v24
	v_fma_f32 v24, -v6, v38, v24
	v_fma_f32 v24, -v7, v39, v24
	;; [unrolled: 5-line block ×3, first 2 shown]
	ds_read_b128 v[32:35], v26 offset:2304
	s_waitcnt lgkmcnt(2)
	v_fma_f32 v24, -v12, v44, v24
	v_fma_f32 v24, -v13, v45, v24
	v_fma_f32 v24, -v14, v46, v24
	v_fma_f32 v24, -v15, v47, v24
	ds_read_b128 v[36:39], v26 offset:2352
	s_waitcnt lgkmcnt(1)
	v_fma_f32 v24, -v16, v32, v24
	v_fma_f32 v24, -v17, v33, v24
	v_fma_f32 v24, -v18, v34, v24
	v_fma_f32 v24, -v19, v35, v24
	ds_read_b128 v[32:35], v26 offset:2368
	s_waitcnt lgkmcnt(1)
	v_fma_f32 v25, -v0, v36, v25
	v_fma_f32 v25, -v1, v37, v25
	v_fma_f32 v25, -v2, v38, v25
	v_fma_f32 v25, -v3, v39, v25
	ds_read_b128 v[36:39], v26 offset:2384
	s_waitcnt lgkmcnt(1)
	v_fma_f32 v25, -v4, v32, v25
	v_fma_f32 v25, -v5, v33, v25
	v_fma_f32 v25, -v6, v34, v25
	v_fma_f32 v25, -v7, v35, v25
	ds_read_b128 v[32:35], v26 offset:2400
	s_waitcnt lgkmcnt(1)
	v_fma_f32 v25, -v8, v36, v25
	v_fma_f32 v25, -v9, v37, v25
	v_fma_f32 v25, -v10, v38, v25
	v_fma_f32 v25, -v11, v39, v25
	ds_read_b128 v[36:39], v26 offset:2416
	ds_read_b64 v[40:41], v26 offset:2432
	s_waitcnt lgkmcnt(2)
	v_fma_f32 v25, -v12, v32, v25
	v_fma_f32 v25, -v13, v33, v25
	v_fma_f32 v25, -v14, v34, v25
	v_fma_f32 v25, -v15, v35, v25
	ds_read_b128 v[32:35], v26 offset:2464
	s_waitcnt lgkmcnt(2)
	v_fma_f32 v25, -v16, v36, v25
	v_fma_f32 v25, -v17, v37, v25
	v_fma_f32 v25, -v18, v38, v25
	v_fma_f32 v25, -v19, v39, v25
	ds_read_b128 v[36:39], v26 offset:2480
	;; [unrolled: 6-line block ×5, first 2 shown]
	s_waitcnt lgkmcnt(1)
	v_fma_f32 v22, -v12, v36, v22
	v_fma_f32 v22, -v13, v37, v22
	;; [unrolled: 1-line block ×3, first 2 shown]
	ds_read_b96 v[36:38], v26 offset:2544
	v_fma_f32 v22, -v15, v39, v22
	s_waitcnt lgkmcnt(1)
	v_fma_f32 v22, -v16, v32, v22
	s_add_i32 s7, s7, s6
	s_add_i32 s8, s6, 24
	v_fma_f32 v22, -v17, v33, v22
	s_lshl_b32 s6, s7, 2
	v_mul_f32_e32 v24, v27, v24
	v_fma_f32 v22, -v18, v34, v22
	v_mov_b32_e32 v27, s6
	v_fma_f32 v22, -v19, v35, v22
	ds_read_b128 v[32:35], v27
	v_fma_f32 v25, -v24, v40, v25
	v_mul_f32_e32 v25, v41, v25
	s_waitcnt lgkmcnt(1)
	v_fma_f32 v22, -v24, v36, v22
	v_fma_f32 v22, -v25, v37, v22
	s_waitcnt lgkmcnt(0)
	v_fma_f32 v0, -v0, v32, v23
	v_mul_f32_e32 v26, v38, v22
	ds_read_b128 v[36:39], v27 offset:16
	ds_read_b128 v[40:43], v27 offset:32
	;; [unrolled: 1-line block ×3, first 2 shown]
	v_fma_f32 v0, -v1, v33, v0
	v_fma_f32 v0, -v2, v34, v0
	v_fma_f32 v0, -v3, v35, v0
	s_waitcnt lgkmcnt(2)
	v_fma_f32 v0, -v4, v36, v0
	v_fma_f32 v0, -v5, v37, v0
	v_fma_f32 v0, -v6, v38, v0
	v_fma_f32 v0, -v7, v39, v0
	s_waitcnt lgkmcnt(1)
	v_fma_f32 v0, -v8, v40, v0
	;; [unrolled: 5-line block ×3, first 2 shown]
	ds_read_b128 v[0:3], v27 offset:64
	v_fma_f32 v4, -v13, v45, v4
	v_fma_f32 v4, -v14, v46, v4
	v_fma_f32 v8, -v15, v47, v4
	ds_read_b128 v[4:7], v27 offset:80
	s_waitcnt lgkmcnt(1)
	v_fma_f32 v0, -v16, v0, v8
	v_fma_f32 v0, -v17, v1, v0
	;; [unrolled: 1-line block ×4, first 2 shown]
	s_waitcnt lgkmcnt(0)
	v_fma_f32 v0, -v24, v4, v0
	v_fma_f32 v0, -v25, v5, v0
	;; [unrolled: 1-line block ×3, first 2 shown]
	v_mul_f32_e32 v27, v7, v0
	s_mov_b32 s6, s8
	global_store_dwordx4 v[20:21], v[24:27], off offset:80
.LBB32_25:
	s_cmp_ge_i32 s6, s18
	s_cbranch_scc1 .LBB32_36
; %bb.26:
	s_add_i32 s11, s6, -1
	s_add_u32 s7, s2, s4
	s_addc_u32 s8, s3, s5
	s_add_u32 s7, s7, s0
	s_addc_u32 s8, s8, s1
	v_mov_b32_e32 v0, s8
	v_add_co_u32_e32 v6, vcc, s7, v30
	v_addc_co_u32_e32 v7, vcc, v0, v31, vcc
	v_add_co_u32_e32 v0, vcc, 28, v6
	s_mul_i32 s12, s6, 0x70
	v_addc_co_u32_e32 v1, vcc, 0, v7, vcc
	s_mov_b32 s9, 0
	s_mov_b32 s14, s6
	;; [unrolled: 1-line block ×3, first 2 shown]
	s_branch .LBB32_28
.LBB32_27:                              ;   in Loop: Header=BB32_28 Depth=1
	s_mul_i32 s7, s6, 0x74
	v_mov_b32_e32 v4, s7
	ds_read_b32 v4, v4
	s_add_i32 s6, s6, 1
	s_add_i32 s13, s13, 1
	s_addk_i32 s12, 0x70
	v_add_u16_e64 v5, s14, 1
	s_waitcnt lgkmcnt(0)
	v_mul_f32_e32 v4, v4, v8
	s_cmp_ge_i32 s6, s18
	v_readfirstlane_b32 s14, v5
	global_store_dword v[2:3], v4, off
	s_cbranch_scc1 .LBB32_36
.LBB32_28:                              ; =>This Loop Header: Depth=1
                                        ;     Child Loop BB32_31 Depth 2
                                        ;     Child Loop BB32_35 Depth 2
	s_ashr_i32 s7, s6, 31
	s_lshl_b64 s[20:21], s[6:7], 2
	v_mov_b32_e32 v3, s21
	v_add_co_u32_e32 v2, vcc, s20, v28
	v_addc_co_u32_e32 v3, vcc, v29, v3, vcc
	global_load_dword v4, v[2:3], off
	s_cmp_eq_u32 s6, 0
	s_waitcnt vmcnt(0)
	v_mul_f32_e32 v8, s16, v4
	s_cbranch_scc1 .LBB32_27
; %bb.29:                               ;   in Loop: Header=BB32_28 Depth=1
	s_add_i32 s7, s11, s13
	s_cmp_lt_u32 s7, 7
	s_cbranch_scc1 .LBB32_33
; %bb.30:                               ;   in Loop: Header=BB32_28 Depth=1
	s_and_b32 s8, s6, -8
	s_mov_b32 s7, 0
	v_pk_mov_b32 v[4:5], v[0:1], v[0:1] op_sel:[0,1]
	s_mov_b32 s15, s12
.LBB32_31:                              ;   Parent Loop BB32_28 Depth=1
                                        ; =>  This Inner Loop Header: Depth=2
	global_load_dwordx4 v[10:13], v[4:5], off offset:-28
	global_load_dwordx4 v[14:17], v[4:5], off offset:-12
	v_mov_b32_e32 v9, s15
	ds_read_b128 v[18:21], v9
	ds_read_b128 v[22:25], v9 offset:16
	s_add_i32 s7, s7, 8
	s_add_i32 s15, s15, 32
	v_add_co_u32_e32 v4, vcc, 32, v4
	v_addc_co_u32_e32 v5, vcc, 0, v5, vcc
	s_cmp_lg_u32 s8, s7
	s_waitcnt vmcnt(1) lgkmcnt(1)
	v_fma_f32 v8, -v10, v18, v8
	v_fma_f32 v8, -v11, v19, v8
	;; [unrolled: 1-line block ×4, first 2 shown]
	s_waitcnt vmcnt(0) lgkmcnt(0)
	v_fma_f32 v8, -v14, v22, v8
	v_fma_f32 v8, -v15, v23, v8
	;; [unrolled: 1-line block ×4, first 2 shown]
	s_cbranch_scc1 .LBB32_31
; %bb.32:                               ;   in Loop: Header=BB32_28 Depth=1
	s_and_b32 s7, s6, 7
	s_cmp_eq_u32 s7, 0
	s_cbranch_scc0 .LBB32_34
	s_branch .LBB32_27
.LBB32_33:                              ;   in Loop: Header=BB32_28 Depth=1
	s_mov_b32 s8, 0
	s_and_b32 s7, s6, 7
	s_cmp_eq_u32 s7, 0
	s_cbranch_scc1 .LBB32_27
.LBB32_34:                              ;   in Loop: Header=BB32_28 Depth=1
	s_lshl_b64 s[20:21], s[8:9], 2
	v_mov_b32_e32 v5, s21
	v_add_co_u32_e32 v4, vcc, s20, v6
	s_and_b32 s7, s14, 7
	s_lshl_b32 s15, s8, 2
	v_addc_co_u32_e32 v5, vcc, v7, v5, vcc
.LBB32_35:                              ;   Parent Loop BB32_28 Depth=1
                                        ; =>  This Inner Loop Header: Depth=2
	global_load_dword v9, v[4:5], off
	s_add_i32 s8, s12, s15
	v_mov_b32_e32 v10, s8
	ds_read_b32 v10, v10
	s_add_i32 s15, s15, 4
	v_add_co_u32_e32 v4, vcc, 4, v4
	s_add_i32 s7, s7, -1
	v_addc_co_u32_e32 v5, vcc, 0, v5, vcc
	s_cmp_lg_u32 s7, 0
	s_waitcnt vmcnt(0) lgkmcnt(0)
	v_fma_f32 v8, -v9, v10, v8
	s_cbranch_scc1 .LBB32_35
	s_branch .LBB32_27
.LBB32_36:
	s_mov_b64 s[6:7], 0
.LBB32_37:
	s_and_b64 vcc, exec, s[6:7]
	s_cbranch_vccz .LBB32_59
; %bb.38:
	s_add_i32 s6, s18, -1
	s_cmp_gt_i32 s10, 27
	s_mov_b32 s8, s6
	s_cbranch_scc0 .LBB32_40
; %bb.39:
	s_ashr_i32 s19, s18, 31
	s_lshl_b64 s[8:9], s[18:19], 2
	v_mov_b32_e32 v0, s9
	v_add_co_u32_e32 v32, vcc, s8, v28
	v_addc_co_u32_e32 v33, vcc, v29, v0, vcc
	global_load_dword v7, v[32:33], off offset:-4
	s_mov_b32 s19, 0
	s_lshl_b64 s[8:9], s[18:19], 2
	v_mov_b32_e32 v0, s9
	v_add_co_u32_e32 v34, vcc, s8, v28
	v_addc_co_u32_e32 v35, vcc, v29, v0, vcc
	global_load_dwordx3 v[4:6], v[34:35], off offset:-16
	global_load_dwordx4 v[8:11], v[34:35], off offset:-32
	global_load_dwordx4 v[0:3], v[34:35], off offset:-112
	;; [unrolled: 1-line block ×6, first 2 shown]
	s_mul_i32 s8, s6, 0x74
	s_mul_i32 s7, s6, 28
	s_add_i32 s9, s18, -4
	s_add_i32 s11, s18, -6
	s_add_i32 s12, s18, s7
	s_add_i32 s13, s8, 0xffffff8c
	;; [unrolled: 1-line block ×3, first 2 shown]
	s_sub_i32 s15, s7, 28
	s_sub_i32 s17, s7, 56
	s_add_i32 s19, s8, 0xfffffea4
	s_add_i32 s20, s11, s7
	s_lshl_b32 s12, s12, 2
	v_mov_b32_e32 v36, s13
	s_lshl_b32 s13, s14, 2
	s_add_i32 s14, s9, s15
	s_add_i32 s9, s9, s17
	;; [unrolled: 1-line block ×3, first 2 shown]
	v_mov_b32_e32 v42, s19
	s_lshl_b32 s19, s20, 2
	s_add_i32 s12, s12, -8
	v_mov_b32_e32 v37, s13
	s_lshl_b32 s13, s14, 2
	s_lshl_b32 s9, s9, 2
	;; [unrolled: 1-line block ×3, first 2 shown]
	v_mov_b32_e32 v43, s19
	v_mov_b32_e32 v38, s12
	;; [unrolled: 1-line block ×5, first 2 shown]
	ds_read2_b32 v[34:35], v38 offset1:1
	ds_read_b32 v53, v36
	ds_read2_b32 v[36:37], v37 offset1:1
	ds_read2_b32 v[38:39], v39 offset1:1
	ds_read2_b32 v[40:41], v40 offset1:1
	ds_read_b32 v54, v42
	ds_read2_b32 v[42:43], v43 offset1:1
	ds_read2_b32 v[44:45], v44 offset1:1
	s_add_i32 s11, s11, s17
	s_lshl_b32 s11, s11, 2
	s_add_i32 s9, s11, 0xffffff90
	v_mov_b32_e32 v46, s11
	s_addk_i32 s11, 0xff20
	v_mov_b32_e32 v48, s9
	s_add_i32 s9, s7, 0xffffff74
	s_add_i32 s21, s8, 0xfffffdbc
	v_mov_b32_e32 v50, s11
	s_add_i32 s11, s18, s9
	v_mov_b32_e32 v52, s21
	s_lshl_b32 s11, s11, 2
	ds_read2_b32 v[46:47], v46 offset1:1
	ds_read2_b32 v[48:49], v48 offset1:1
	;; [unrolled: 1-line block ×3, first 2 shown]
	ds_read_b32 v52, v52
	s_addk_i32 s8, 0xfd48
	s_waitcnt vmcnt(7)
	v_mul_f32_e32 v7, s16, v7
	s_waitcnt lgkmcnt(11)
	v_mul_f32_e32 v7, v35, v7
	v_mul_f32_e32 v34, v7, v34
	s_waitcnt lgkmcnt(9)
	v_mul_f32_e32 v35, v7, v37
	;; [unrolled: 3-line block ×3, first 2 shown]
	v_mul_f32_e32 v37, v7, v43
	s_waitcnt vmcnt(6)
	v_fma_f32 v6, v6, s16, -v34
	v_fma_f32 v5, v5, s16, -v35
	v_mul_f32_e32 v6, v53, v6
	v_fma_f32 v4, v4, s16, -v36
	v_fma_f32 v5, -v6, v39, v5
	v_fma_f32 v4, -v6, v38, v4
	v_mul_f32_e32 v5, v41, v5
	v_fma_f32 v4, -v5, v40, v4
	s_waitcnt vmcnt(5)
	v_fma_f32 v10, v10, s16, -v42
	v_mul_f32_e32 v4, v54, v4
	global_store_dwordx4 v[32:33], v[4:7], off offset:-16
	s_waitcnt lgkmcnt(4)
	v_fma_f32 v10, -v6, v44, v10
	v_mov_b32_e32 v44, s11
	v_fma_f32 v11, v11, s16, -v37
	ds_read2_b32 v[34:35], v44 offset0:132 offset1:133
	ds_read2_b32 v[36:37], v44 offset0:104 offset1:105
	s_sub_i32 s11, s11, 32
	v_mov_b32_e32 v38, s11
	ds_read2_b32 v[38:39], v38 offset1:1
	ds_read2_b32 v[40:41], v44 offset0:76 offset1:77
	s_waitcnt lgkmcnt(3)
	v_mul_f32_e32 v35, v7, v35
	v_fma_f32 v9, v9, s16, -v35
	v_mov_b32_e32 v35, s8
	s_add_i32 s8, s18, -9
	v_fma_f32 v11, -v6, v45, v11
	ds_read2_b32 v[42:43], v44 offset0:48 offset1:49
	ds_read2_b32 v[44:45], v44 offset0:20 offset1:21
	s_add_i32 s11, s9, s8
	v_fma_f32 v11, -v5, v47, v11
	s_lshl_b32 s11, s11, 2
	v_fma_f32 v11, -v4, v49, v11
	v_fma_f32 v10, -v5, v46, v10
	s_waitcnt lgkmcnt(4)
	v_fma_f32 v9, -v6, v37, v9
	ds_read_b32 v35, v35
	v_mul_f32_e32 v34, v7, v34
	s_addk_i32 s11, 0xff90
	v_mul_f32_e32 v11, v51, v11
	v_fma_f32 v10, -v4, v48, v10
	s_waitcnt lgkmcnt(3)
	v_fma_f32 v9, -v5, v41, v9
	v_fma_f32 v8, v8, s16, -v34
	v_mov_b32_e32 v34, s11
	s_add_i32 s11, s7, 0xffffff3c
	v_fma_f32 v10, -v11, v50, v10
	s_waitcnt lgkmcnt(2)
	v_fma_f32 v9, -v4, v43, v9
	s_add_i32 s8, s8, s11
	v_mul_f32_e32 v10, v52, v10
	s_waitcnt lgkmcnt(1)
	v_fma_f32 v9, -v11, v45, v9
	s_lshl_b32 s8, s8, 2
	v_fma_f32 v9, -v10, v39, v9
	v_fma_f32 v8, -v6, v36, v8
	v_mov_b32_e32 v36, s8
	s_waitcnt lgkmcnt(0)
	v_mul_f32_e32 v9, v35, v9
	v_fma_f32 v8, -v5, v40, v8
	ds_read2_b32 v[34:35], v34 offset1:1
	ds_read2_b32 v[36:37], v36 offset1:1
	s_add_i32 s8, s18, -10
	v_fma_f32 v8, -v4, v42, v8
	s_add_i32 s11, s11, s8
	v_fma_f32 v8, -v11, v44, v8
	s_lshl_b32 s11, s11, 2
	s_add_i32 s8, s8, s9
	v_fma_f32 v8, -v10, v38, v8
	v_mov_b32_e32 v48, s11
	s_lshl_b32 s8, s8, 2
	ds_read2_b32 v[38:39], v48 offset0:112 offset1:113
	ds_read2_b32 v[40:41], v48 offset0:84 offset1:85
	s_waitcnt lgkmcnt(3)
	v_fma_f32 v8, -v9, v35, v8
	v_mov_b32_e32 v35, s8
	ds_read2_b32 v[42:43], v48 offset0:196 offset1:197
	ds_read2_b32 v[44:45], v35 offset1:1
	ds_read2_b32 v[46:47], v48 offset0:168 offset1:169
	ds_read2_b32 v[48:49], v48 offset0:140 offset1:141
	s_mul_i32 s8, s18, 0x74
	s_waitcnt lgkmcnt(3)
	v_mul_f32_e32 v35, v7, v43
	s_waitcnt vmcnt(2)
	v_fma_f32 v15, v15, s16, -v35
	s_waitcnt lgkmcnt(1)
	v_fma_f32 v15, -v6, v47, v15
	s_waitcnt lgkmcnt(0)
	v_fma_f32 v15, -v5, v49, v15
	v_fma_f32 v15, -v4, v39, v15
	;; [unrolled: 1-line block ×4, first 2 shown]
	s_add_i32 s11, s8, 0xfffffbec
	v_fma_f32 v15, -v9, v34, v15
	v_mov_b32_e32 v34, s11
	ds_read_b32 v39, v34
	v_mul_f32_e32 v8, v37, v8
	s_add_i32 s11, s18, -11
	v_fma_f32 v15, -v8, v36, v15
	s_add_i32 s12, s9, s11
	s_lshl_b32 s12, s12, 2
	s_waitcnt lgkmcnt(0)
	v_mul_f32_e32 v15, v39, v15
	v_mul_f32_e32 v39, v7, v42
	s_add_i32 s13, s12, 0xffffff90
	v_fma_f32 v14, v14, s16, -v39
	v_mov_b32_e32 v35, s13
	s_add_i32 s13, s12, 0xffffff20
	v_fma_f32 v14, -v6, v46, v14
	global_store_dwordx4 v[32:33], v[8:11], off offset:-32
	v_mov_b32_e32 v36, s13
	s_addk_i32 s12, 0xfeb0
	v_fma_f32 v14, -v5, v48, v14
	v_mov_b32_e32 v41, s12
	ds_read2_b32 v[34:35], v35 offset1:1
	ds_read2_b32 v[36:37], v36 offset1:1
	;; [unrolled: 1-line block ×3, first 2 shown]
	v_fma_f32 v14, -v4, v38, v14
	s_add_i32 s12, s7, 0xffffff04
	v_fma_f32 v14, -v11, v40, v14
	s_add_i32 s11, s11, s12
	v_fma_f32 v14, -v10, v44, v14
	s_lshl_b32 s11, s11, 2
	s_waitcnt lgkmcnt(2)
	v_fma_f32 v14, -v9, v35, v14
	v_mov_b32_e32 v35, s11
	s_add_i32 s11, s18, -12
	s_add_i32 s12, s12, s11
	s_add_i32 s11, s11, s9
	s_lshl_b32 s11, s11, 2
	s_waitcnt lgkmcnt(1)
	v_fma_f32 v14, -v8, v37, v14
	v_mov_b32_e32 v37, s11
	s_add_i32 s11, s8, 0xfffffb04
	s_lshl_b32 s12, s12, 2
	v_mov_b32_e32 v42, s11
	ds_read2_b32 v[38:39], v35 offset1:1
	v_mov_b32_e32 v35, s12
	ds_read2_b32 v[40:41], v37 offset1:1
	ds_read_b32 v37, v42
	ds_read2_b32 v[42:43], v35 offset0:252 offset1:253
	ds_read2_b32 v[44:45], v35 offset0:224 offset1:225
	;; [unrolled: 1-line block ×5, first 2 shown]
	s_waitcnt lgkmcnt(4)
	v_mul_f32_e32 v35, v7, v43
	v_fma_f32 v13, v13, s16, -v35
	s_waitcnt lgkmcnt(3)
	v_fma_f32 v13, -v6, v45, v13
	s_waitcnt lgkmcnt(2)
	v_fma_f32 v13, -v5, v47, v13
	;; [unrolled: 2-line block ×4, first 2 shown]
	s_add_i32 s11, s18, -13
	v_fma_f32 v13, -v10, v41, v13
	s_add_i32 s12, s9, s11
	v_fma_f32 v13, -v9, v34, v13
	v_mul_f32_e32 v34, v7, v42
	s_lshl_b32 s12, s12, 2
	v_fma_f32 v12, v12, s16, -v34
	s_add_i32 s13, s12, 0xffffff90
	v_fma_f32 v14, -v15, v51, v14
	v_fma_f32 v13, -v8, v36, v13
	;; [unrolled: 1-line block ×3, first 2 shown]
	v_mov_b32_e32 v34, s13
	s_add_i32 s13, s12, 0xffffff20
	v_mul_f32_e32 v14, v39, v14
	v_fma_f32 v13, -v15, v50, v13
	v_fma_f32 v12, -v5, v46, v12
	v_mov_b32_e32 v36, s13
	s_add_i32 s13, s12, 0xfffffeb0
	v_fma_f32 v13, -v14, v38, v13
	v_fma_f32 v12, -v4, v48, v12
	v_mov_b32_e32 v38, s13
	s_add_i32 s13, s12, 0xfffffe40
	v_mul_f32_e32 v13, v37, v13
	v_fma_f32 v12, -v11, v52, v12
	v_mov_b32_e32 v41, s13
	ds_read2_b32 v[34:35], v34 offset1:1
	ds_read2_b32 v[36:37], v36 offset1:1
	;; [unrolled: 1-line block ×4, first 2 shown]
	v_fma_f32 v12, -v10, v40, v12
	s_addk_i32 s12, 0xfdd0
	s_waitcnt lgkmcnt(3)
	v_fma_f32 v12, -v9, v35, v12
	v_mov_b32_e32 v35, s12
	s_add_i32 s12, s7, 0xfffffecc
	s_add_i32 s11, s11, s12
	s_lshl_b32 s11, s11, 2
	s_waitcnt lgkmcnt(2)
	v_fma_f32 v12, -v8, v37, v12
	v_mov_b32_e32 v37, s11
	s_add_i32 s11, s18, -14
	s_add_i32 s12, s12, s11
	s_lshl_b32 s12, s12, 2
	ds_read2_b32 v[40:41], v35 offset1:1
	ds_read2_b32 v[44:45], v37 offset1:1
	s_add_i32 s13, s12, 0x4d0
	s_waitcnt lgkmcnt(3)
	v_fma_f32 v12, -v15, v39, v12
	v_mov_b32_e32 v39, s13
	s_add_i32 s13, s12, 0x460
	s_waitcnt lgkmcnt(2)
	v_fma_f32 v12, -v14, v43, v12
	v_mov_b32_e32 v35, s13
	ds_read2_b32 v[46:47], v39 offset1:1
	ds_read2_b32 v[48:49], v35 offset1:1
	s_waitcnt lgkmcnt(3)
	v_fma_f32 v12, -v13, v41, v12
	s_add_i32 s11, s11, s9
	s_waitcnt lgkmcnt(2)
	v_mul_f32_e32 v12, v45, v12
	s_lshl_b32 s11, s11, 2
	global_store_dwordx4 v[32:33], v[12:15], off offset:-48
	v_mov_b32_e32 v39, s11
	s_waitcnt lgkmcnt(1)
	v_mul_f32_e32 v35, v7, v47
	v_mov_b32_e32 v37, s12
	ds_read2_b32 v[50:51], v39 offset1:1
	ds_read2_b32 v[52:53], v37 offset0:252 offset1:253
	ds_read2_b32 v[54:55], v37 offset0:224 offset1:225
	;; [unrolled: 1-line block ×3, first 2 shown]
	s_waitcnt vmcnt(3)
	v_fma_f32 v19, v19, s16, -v35
	s_waitcnt lgkmcnt(4)
	v_fma_f32 v19, -v6, v49, v19
	s_waitcnt lgkmcnt(2)
	v_fma_f32 v19, -v5, v53, v19
	;; [unrolled: 2-line block ×4, first 2 shown]
	v_fma_f32 v19, -v10, v51, v19
	v_fma_f32 v19, -v9, v34, v19
	;; [unrolled: 1-line block ×4, first 2 shown]
	s_add_i32 s11, s8, 0xfffffa1c
	v_fma_f32 v19, -v14, v42, v19
	v_mov_b32_e32 v34, s11
	v_fma_f32 v19, -v13, v40, v19
	ds_read_b32 v40, v34
	s_add_i32 s11, s18, -15
	s_add_i32 s12, s9, s11
	v_fma_f32 v19, -v12, v44, v19
	s_lshl_b32 s12, s12, 2
	s_add_i32 s13, s12, 0xffffff90
	s_waitcnt lgkmcnt(0)
	v_mul_f32_e32 v19, v40, v19
	v_mul_f32_e32 v40, v7, v46
	v_mov_b32_e32 v35, s13
	s_add_i32 s13, s12, 0xffffff20
	v_fma_f32 v18, v18, s16, -v40
	v_mov_b32_e32 v36, s13
	s_add_i32 s13, s12, 0xfffffeb0
	v_fma_f32 v18, -v6, v48, v18
	v_mov_b32_e32 v38, s13
	v_fma_f32 v18, -v5, v52, v18
	ds_read2_b32 v[34:35], v35 offset1:1
	ds_read2_b32 v[36:37], v36 offset1:1
	;; [unrolled: 1-line block ×3, first 2 shown]
	v_fma_f32 v18, -v4, v54, v18
	v_fma_f32 v18, -v11, v56, v18
	;; [unrolled: 1-line block ×3, first 2 shown]
	s_add_i32 s13, s12, 0xfffffe40
	s_waitcnt lgkmcnt(2)
	v_fma_f32 v18, -v9, v35, v18
	v_mov_b32_e32 v35, s13
	s_add_i32 s13, s12, 0xfffffdd0
	s_waitcnt lgkmcnt(1)
	v_fma_f32 v18, -v8, v37, v18
	v_mov_b32_e32 v37, s13
	s_add_i32 s13, s12, 0xfffffd60
	s_addk_i32 s12, 0xfcf0
	v_mov_b32_e32 v46, s12
	s_add_i32 s12, s7, 0xfffffe94
	s_add_i32 s11, s11, s12
	v_mov_b32_e32 v44, s13
	s_lshl_b32 s11, s11, 2
	ds_read2_b32 v[40:41], v35 offset1:1
	ds_read2_b32 v[42:43], v37 offset1:1
	;; [unrolled: 1-line block ×4, first 2 shown]
	v_mov_b32_e32 v35, s11
	s_add_i32 s11, s18, -16
	s_add_i32 s12, s12, s11
	s_lshl_b32 s12, s12, 2
	s_add_i32 s13, s12, 0x5b0
	v_mov_b32_e32 v37, s13
	ds_read2_b32 v[48:49], v35 offset1:1
	ds_read2_b32 v[50:51], v37 offset1:1
	s_add_i32 s13, s12, 0x540
	s_waitcnt lgkmcnt(6)
	v_fma_f32 v18, -v15, v39, v18
	v_mov_b32_e32 v39, s13
	s_add_i32 s13, s12, 0x4d0
	v_mov_b32_e32 v35, s13
	ds_read2_b32 v[52:53], v39 offset1:1
	ds_read2_b32 v[54:55], v35 offset1:1
	s_waitcnt lgkmcnt(2)
	v_mul_f32_e32 v35, v7, v51
	s_add_i32 s13, s12, 0x460
	s_add_i32 s11, s11, s9
	v_fma_f32 v17, v17, s16, -v35
	v_mov_b32_e32 v35, s13
	s_lshl_b32 s11, s11, 2
	v_mov_b32_e32 v37, s12
	v_mov_b32_e32 v39, s11
	ds_read2_b32 v[56:57], v35 offset1:1
	ds_read2_b32 v[58:59], v37 offset0:252 offset1:253
	ds_read2_b32 v[60:61], v39 offset1:1
	s_waitcnt lgkmcnt(4)
	v_fma_f32 v17, -v6, v53, v17
	s_waitcnt lgkmcnt(3)
	v_fma_f32 v17, -v5, v55, v17
	s_waitcnt lgkmcnt(2)
	v_fma_f32 v17, -v4, v57, v17
	s_waitcnt lgkmcnt(1)
	v_fma_f32 v17, -v11, v59, v17
	s_waitcnt lgkmcnt(0)
	v_fma_f32 v17, -v10, v61, v17
	s_add_i32 s11, s8, 0xfffff934
	v_fma_f32 v17, -v9, v34, v17
	v_mov_b32_e32 v35, s11
	v_fma_f32 v17, -v8, v36, v17
	s_sub_i32 s11, s18, 17
	v_fma_f32 v18, -v14, v41, v18
	v_fma_f32 v17, -v15, v38, v17
	s_add_i32 s12, s9, s11
	v_fma_f32 v18, -v13, v43, v18
	ds_read_b32 v35, v35
	v_fma_f32 v17, -v14, v40, v17
	s_lshl_b32 s12, s12, 2
	v_fma_f32 v18, -v12, v45, v18
	v_fma_f32 v17, -v13, v42, v17
	v_mul_f32_e32 v34, v7, v50
	s_add_i32 s13, s12, 0xffffff90
	v_fma_f32 v18, -v19, v47, v18
	v_fma_f32 v17, -v12, v44, v17
	v_fma_f32 v16, v16, s16, -v34
	v_mov_b32_e32 v34, s13
	s_add_i32 s13, s12, 0xffffff20
	v_mul_f32_e32 v18, v49, v18
	v_fma_f32 v17, -v19, v46, v17
	v_fma_f32 v16, -v6, v52, v16
	v_mov_b32_e32 v36, s13
	s_add_i32 s13, s12, 0xfffffeb0
	v_fma_f32 v17, -v18, v48, v17
	v_fma_f32 v16, -v5, v54, v16
	v_mov_b32_e32 v38, s13
	s_waitcnt lgkmcnt(0)
	v_mul_f32_e32 v17, v35, v17
	v_fma_f32 v16, -v4, v56, v16
	ds_read2_b32 v[34:35], v34 offset1:1
	ds_read2_b32 v[36:37], v36 offset1:1
	;; [unrolled: 1-line block ×3, first 2 shown]
	v_fma_f32 v16, -v11, v58, v16
	s_add_i32 s13, s12, 0xfffffe40
	v_fma_f32 v16, -v10, v60, v16
	v_mov_b32_e32 v40, s13
	s_add_i32 s13, s12, 0xfffffdd0
	s_waitcnt lgkmcnt(2)
	v_fma_f32 v16, -v9, v35, v16
	v_mov_b32_e32 v35, s13
	s_add_i32 s13, s12, 0xfffffd60
	s_waitcnt lgkmcnt(1)
	;; [unrolled: 4-line block ×3, first 2 shown]
	v_fma_f32 v16, -v15, v39, v16
	v_mov_b32_e32 v39, s13
	s_add_i32 s13, s12, 0xfffffc80
	v_mov_b32_e32 v48, s13
	s_addk_i32 s12, 0xfc10
	ds_read2_b32 v[40:41], v40 offset1:1
	ds_read2_b32 v[42:43], v35 offset1:1
	;; [unrolled: 1-line block ×5, first 2 shown]
	v_mov_b32_e32 v35, s12
	s_add_i32 s12, s7, 0xfffffe5c
	s_add_i32 s11, s11, s12
	s_lshl_b32 s11, s11, 2
	v_mov_b32_e32 v37, s11
	s_sub_i32 s11, s18, 18
	s_add_i32 s12, s12, s11
	s_lshl_b32 s12, s12, 2
	s_waitcnt lgkmcnt(4)
	v_fma_f32 v16, -v14, v41, v16
	s_add_i32 s13, s12, 0x690
	s_waitcnt lgkmcnt(3)
	v_fma_f32 v16, -v13, v43, v16
	v_mov_b32_e32 v39, s13
	s_add_i32 s13, s12, 0x620
	ds_read2_b32 v[50:51], v35 offset1:1
	ds_read2_b32 v[52:53], v37 offset1:1
	s_waitcnt lgkmcnt(4)
	v_fma_f32 v16, -v12, v45, v16
	v_mov_b32_e32 v35, s13
	ds_read2_b32 v[54:55], v39 offset1:1
	ds_read2_b32 v[56:57], v35 offset1:1
	s_waitcnt lgkmcnt(5)
	v_fma_f32 v16, -v19, v47, v16
	s_waitcnt lgkmcnt(4)
	v_fma_f32 v16, -v18, v49, v16
	;; [unrolled: 2-line block ×3, first 2 shown]
	s_waitcnt lgkmcnt(2)
	v_mul_f32_e32 v16, v53, v16
	s_waitcnt lgkmcnt(1)
	v_mul_f32_e32 v35, v7, v55
	s_add_i32 s13, s12, 0x5b0
	s_add_i32 s11, s11, s9
	global_store_dwordx4 v[32:33], v[16:19], off offset:-64
	v_fma_f32 v27, v27, s16, -v35
	v_mov_b32_e32 v35, s13
	s_add_i32 s13, s12, 0x540
	s_addk_i32 s12, 0x4d0
	s_lshl_b32 s11, s11, 2
	v_mov_b32_e32 v37, s13
	v_mov_b32_e32 v39, s12
	;; [unrolled: 1-line block ×3, first 2 shown]
	ds_read2_b32 v[58:59], v35 offset1:1
	ds_read2_b32 v[60:61], v37 offset1:1
	ds_read2_b32 v[62:63], v39 offset1:1
	ds_read2_b32 v[64:65], v41 offset1:1
	s_waitcnt lgkmcnt(4)
	v_fma_f32 v27, -v6, v57, v27
	s_waitcnt lgkmcnt(3)
	v_fma_f32 v27, -v5, v59, v27
	;; [unrolled: 2-line block ×5, first 2 shown]
	v_fma_f32 v27, -v9, v34, v27
	v_fma_f32 v27, -v8, v36, v27
	;; [unrolled: 1-line block ×4, first 2 shown]
	s_add_i32 s11, s8, 0xfffff84c
	v_fma_f32 v27, -v13, v42, v27
	v_mov_b32_e32 v34, s11
	v_fma_f32 v27, -v12, v44, v27
	ds_read_b32 v40, v34
	v_fma_f32 v27, -v19, v46, v27
	v_fma_f32 v27, -v18, v48, v27
	s_sub_i32 s11, s18, 19
	v_fma_f32 v27, -v17, v50, v27
	s_add_i32 s12, s9, s11
	v_fma_f32 v27, -v16, v52, v27
	s_lshl_b32 s12, s12, 2
	s_add_i32 s13, s12, 0xffffff90
	s_waitcnt lgkmcnt(0)
	v_mul_f32_e32 v27, v40, v27
	v_mul_f32_e32 v40, v7, v54
	v_mov_b32_e32 v35, s13
	s_add_i32 s13, s12, 0xffffff20
	v_fma_f32 v26, v26, s16, -v40
	v_mov_b32_e32 v36, s13
	s_add_i32 s13, s12, 0xfffffeb0
	v_fma_f32 v26, -v6, v56, v26
	v_mov_b32_e32 v38, s13
	v_fma_f32 v26, -v5, v58, v26
	ds_read2_b32 v[34:35], v35 offset1:1
	ds_read2_b32 v[36:37], v36 offset1:1
	;; [unrolled: 1-line block ×3, first 2 shown]
	v_fma_f32 v26, -v4, v60, v26
	v_fma_f32 v26, -v11, v62, v26
	;; [unrolled: 1-line block ×3, first 2 shown]
	s_add_i32 s13, s12, 0xfffffe40
	s_waitcnt lgkmcnt(2)
	v_fma_f32 v26, -v9, v35, v26
	v_mov_b32_e32 v35, s13
	s_add_i32 s13, s12, 0xfffffdd0
	s_waitcnt lgkmcnt(1)
	v_fma_f32 v26, -v8, v37, v26
	v_mov_b32_e32 v37, s13
	;; [unrolled: 4-line block ×3, first 2 shown]
	s_add_i32 s13, s12, 0xfffffcf0
	ds_read2_b32 v[40:41], v35 offset1:1
	ds_read2_b32 v[42:43], v37 offset1:1
	;; [unrolled: 1-line block ×3, first 2 shown]
	v_mov_b32_e32 v35, s13
	s_add_i32 s13, s12, 0xfffffc80
	ds_read2_b32 v[46:47], v35 offset1:1
	v_mov_b32_e32 v35, s13
	s_add_i32 s13, s12, 0xfffffc10
	v_mov_b32_e32 v37, s13
	s_add_i32 s13, s12, 0xfffffba0
	s_addk_i32 s12, 0xfb30
	s_waitcnt lgkmcnt(3)
	v_fma_f32 v26, -v14, v41, v26
	v_mov_b32_e32 v41, s12
	s_add_i32 s12, s7, 0xfffffe24
	s_add_i32 s11, s11, s12
	s_lshl_b32 s11, s11, 2
	v_mov_b32_e32 v39, s13
	ds_read2_b32 v[48:49], v35 offset1:1
	ds_read2_b32 v[50:51], v37 offset1:1
	;; [unrolled: 1-line block ×4, first 2 shown]
	v_mov_b32_e32 v35, s11
	s_sub_i32 s11, s18, 20
	s_add_i32 s12, s12, s11
	s_lshl_b32 s12, s12, 2
	s_add_i32 s13, s12, 0x770
	v_mov_b32_e32 v37, s13
	ds_read2_b32 v[56:57], v35 offset1:1
	ds_read2_b32 v[58:59], v37 offset1:1
	s_add_i32 s13, s12, 0x700
	v_mov_b32_e32 v39, s13
	s_add_i32 s13, s12, 0x690
	v_mov_b32_e32 v35, s13
	ds_read2_b32 v[60:61], v39 offset1:1
	ds_read2_b32 v[62:63], v35 offset1:1
	s_waitcnt lgkmcnt(2)
	v_mul_f32_e32 v35, v7, v59
	s_add_i32 s13, s12, 0x620
	s_add_i32 s11, s11, s9
	v_fma_f32 v25, v25, s16, -v35
	v_mov_b32_e32 v35, s13
	s_addk_i32 s12, 0x5b0
	s_lshl_b32 s11, s11, 2
	v_mov_b32_e32 v37, s12
	v_mov_b32_e32 v39, s11
	ds_read2_b32 v[64:65], v35 offset1:1
	ds_read2_b32 v[66:67], v37 offset1:1
	;; [unrolled: 1-line block ×3, first 2 shown]
	s_waitcnt lgkmcnt(4)
	v_fma_f32 v25, -v6, v61, v25
	s_waitcnt lgkmcnt(3)
	v_fma_f32 v25, -v5, v63, v25
	;; [unrolled: 2-line block ×5, first 2 shown]
	v_fma_f32 v25, -v9, v34, v25
	v_fma_f32 v25, -v8, v36, v25
	;; [unrolled: 1-line block ×4, first 2 shown]
	s_add_i32 s11, s8, 0xfffff764
	v_fma_f32 v25, -v14, v40, v25
	v_fma_f32 v26, -v12, v45, v26
	v_mov_b32_e32 v35, s11
	v_fma_f32 v25, -v13, v42, v25
	s_sub_i32 s11, s18, 21
	v_fma_f32 v26, -v19, v47, v26
	v_fma_f32 v25, -v12, v44, v25
	s_add_i32 s12, s9, s11
	v_fma_f32 v26, -v18, v49, v26
	v_fma_f32 v25, -v19, v46, v25
	s_lshl_b32 s12, s12, 2
	v_fma_f32 v26, -v17, v51, v26
	ds_read_b32 v35, v35
	v_fma_f32 v25, -v18, v48, v25
	v_mul_f32_e32 v34, v7, v58
	s_add_i32 s13, s12, 0xffffff90
	v_fma_f32 v26, -v16, v53, v26
	v_fma_f32 v25, -v17, v50, v25
	v_fma_f32 v24, v24, s16, -v34
	v_mov_b32_e32 v34, s13
	s_add_i32 s13, s12, 0xffffff20
	v_fma_f32 v26, -v27, v55, v26
	v_fma_f32 v25, -v16, v52, v25
	v_fma_f32 v24, -v6, v60, v24
	v_mov_b32_e32 v36, s13
	s_add_i32 s13, s12, 0xfffffeb0
	v_mul_f32_e32 v26, v57, v26
	v_fma_f32 v25, -v27, v54, v25
	v_fma_f32 v24, -v5, v62, v24
	v_mov_b32_e32 v38, s13
	s_add_i32 s13, s12, 0xfffffe40
	v_fma_f32 v25, -v26, v56, v25
	v_fma_f32 v24, -v4, v64, v24
	v_mov_b32_e32 v40, s13
	s_waitcnt lgkmcnt(0)
	v_mul_f32_e32 v25, v35, v25
	v_fma_f32 v24, -v11, v66, v24
	ds_read2_b32 v[34:35], v34 offset1:1
	ds_read2_b32 v[36:37], v36 offset1:1
	;; [unrolled: 1-line block ×4, first 2 shown]
	v_fma_f32 v24, -v10, v68, v24
	s_add_i32 s13, s12, 0xfffffdd0
	s_waitcnt lgkmcnt(3)
	v_fma_f32 v24, -v9, v35, v24
	v_mov_b32_e32 v35, s13
	s_add_i32 s13, s12, 0xfffffd60
	s_waitcnt lgkmcnt(2)
	v_fma_f32 v24, -v8, v37, v24
	v_mov_b32_e32 v37, s13
	;; [unrolled: 4-line block ×3, first 2 shown]
	s_add_i32 s13, s12, 0xfffffc80
	ds_read2_b32 v[42:43], v35 offset1:1
	ds_read2_b32 v[44:45], v37 offset1:1
	;; [unrolled: 1-line block ×3, first 2 shown]
	v_mov_b32_e32 v35, s13
	s_add_i32 s13, s12, 0xfffffc10
	ds_read2_b32 v[48:49], v35 offset1:1
	v_mov_b32_e32 v35, s13
	s_add_i32 s13, s12, 0xfffffba0
	v_mov_b32_e32 v37, s13
	s_add_i32 s13, s12, 0xfffffb30
	;; [unrolled: 2-line block ×3, first 2 shown]
	s_addk_i32 s12, 0xfa50
	s_waitcnt lgkmcnt(4)
	v_fma_f32 v24, -v14, v41, v24
	v_mov_b32_e32 v41, s13
	ds_read2_b32 v[50:51], v35 offset1:1
	ds_read2_b32 v[52:53], v37 offset1:1
	;; [unrolled: 1-line block ×4, first 2 shown]
	v_mov_b32_e32 v35, s12
	s_add_i32 s12, s7, 0xfffffdec
	s_add_i32 s11, s11, s12
	s_lshl_b32 s11, s11, 2
	s_waitcnt lgkmcnt(7)
	v_fma_f32 v24, -v13, v43, v24
	v_mov_b32_e32 v37, s11
	s_sub_i32 s11, s18, 22
	s_waitcnt lgkmcnt(6)
	v_fma_f32 v24, -v12, v45, v24
	s_add_i32 s12, s12, s11
	s_waitcnt lgkmcnt(5)
	v_fma_f32 v24, -v19, v47, v24
	s_lshl_b32 s12, s12, 2
	s_waitcnt lgkmcnt(4)
	v_fma_f32 v24, -v18, v49, v24
	s_add_i32 s13, s12, 0x850
	s_waitcnt lgkmcnt(3)
	v_fma_f32 v24, -v17, v51, v24
	v_mov_b32_e32 v39, s13
	s_add_i32 s13, s12, 0x7e0
	ds_read2_b32 v[58:59], v35 offset1:1
	ds_read2_b32 v[60:61], v37 offset1:1
	s_waitcnt lgkmcnt(4)
	v_fma_f32 v24, -v16, v53, v24
	v_mov_b32_e32 v35, s13
	ds_read2_b32 v[62:63], v39 offset1:1
	ds_read2_b32 v[64:65], v35 offset1:1
	s_waitcnt lgkmcnt(5)
	v_fma_f32 v24, -v27, v55, v24
	s_waitcnt lgkmcnt(4)
	v_fma_f32 v24, -v26, v57, v24
	;; [unrolled: 2-line block ×3, first 2 shown]
	s_waitcnt lgkmcnt(2)
	v_mul_f32_e32 v24, v61, v24
	s_waitcnt lgkmcnt(1)
	v_mul_f32_e32 v35, v7, v63
	s_add_i32 s13, s12, 0x770
	s_add_i32 s11, s11, s9
	global_store_dwordx4 v[32:33], v[24:27], off offset:-80
	v_fma_f32 v23, v23, s16, -v35
	v_mov_b32_e32 v35, s13
	s_add_i32 s13, s12, 0x700
	s_addk_i32 s12, 0x690
	s_lshl_b32 s11, s11, 2
	v_mov_b32_e32 v37, s13
	v_mov_b32_e32 v39, s12
	;; [unrolled: 1-line block ×3, first 2 shown]
	ds_read2_b32 v[66:67], v35 offset1:1
	ds_read2_b32 v[68:69], v37 offset1:1
	;; [unrolled: 1-line block ×4, first 2 shown]
	s_waitcnt lgkmcnt(4)
	v_fma_f32 v23, -v6, v65, v23
	s_waitcnt lgkmcnt(3)
	v_fma_f32 v23, -v5, v67, v23
	;; [unrolled: 2-line block ×5, first 2 shown]
	v_fma_f32 v23, -v9, v34, v23
	v_fma_f32 v23, -v8, v36, v23
	;; [unrolled: 1-line block ×8, first 2 shown]
	s_add_i32 s11, s8, 0xfffff67c
	v_fma_f32 v23, -v17, v50, v23
	v_mov_b32_e32 v34, s11
	v_fma_f32 v23, -v16, v52, v23
	ds_read_b32 v40, v34
	v_fma_f32 v23, -v27, v54, v23
	v_fma_f32 v23, -v26, v56, v23
	s_sub_i32 s11, s18, 23
	v_fma_f32 v23, -v25, v58, v23
	s_add_i32 s12, s9, s11
	v_fma_f32 v23, -v24, v60, v23
	s_lshl_b32 s12, s12, 2
	s_add_i32 s13, s12, 0xffffff90
	s_waitcnt lgkmcnt(0)
	v_mul_f32_e32 v23, v40, v23
	v_mul_f32_e32 v40, v7, v62
	v_mov_b32_e32 v35, s13
	s_add_i32 s13, s12, 0xffffff20
	v_fma_f32 v22, v22, s16, -v40
	v_mov_b32_e32 v36, s13
	s_add_i32 s13, s12, 0xfffffeb0
	v_fma_f32 v22, -v6, v64, v22
	v_mov_b32_e32 v38, s13
	v_fma_f32 v22, -v5, v66, v22
	ds_read2_b32 v[34:35], v35 offset1:1
	ds_read2_b32 v[36:37], v36 offset1:1
	;; [unrolled: 1-line block ×3, first 2 shown]
	v_fma_f32 v22, -v4, v68, v22
	v_fma_f32 v22, -v11, v70, v22
	;; [unrolled: 1-line block ×3, first 2 shown]
	s_add_i32 s13, s12, 0xfffffe40
	s_waitcnt lgkmcnt(2)
	v_fma_f32 v22, -v9, v35, v22
	v_mov_b32_e32 v35, s13
	s_add_i32 s13, s12, 0xfffffdd0
	s_waitcnt lgkmcnt(1)
	v_fma_f32 v22, -v8, v37, v22
	v_mov_b32_e32 v37, s13
	s_add_i32 s13, s12, 0xfffffd60
	v_mov_b32_e32 v44, s13
	s_add_i32 s13, s12, 0xfffffcf0
	;; [unrolled: 2-line block ×3, first 2 shown]
	ds_read2_b32 v[40:41], v35 offset1:1
	ds_read2_b32 v[42:43], v37 offset1:1
	;; [unrolled: 1-line block ×4, first 2 shown]
	v_mov_b32_e32 v35, s13
	s_add_i32 s13, s12, 0xfffffc10
	v_mov_b32_e32 v37, s13
	s_add_i32 s13, s12, 0xfffffba0
	s_waitcnt lgkmcnt(4)
	v_fma_f32 v22, -v15, v39, v22
	v_mov_b32_e32 v39, s13
	s_add_i32 s13, s12, 0xfffffb30
	ds_read2_b32 v[48:49], v35 offset1:1
	ds_read2_b32 v[50:51], v37 offset1:1
	;; [unrolled: 1-line block ×3, first 2 shown]
	v_mov_b32_e32 v35, s13
	s_add_i32 s13, s12, 0xfffffac0
	ds_read2_b32 v[54:55], v35 offset1:1
	v_mov_b32_e32 v35, s13
	s_add_i32 s13, s12, 0xfffffa50
	v_mov_b32_e32 v37, s13
	s_add_i32 s13, s12, 0xfffff9e0
	s_addk_i32 s12, 0xf970
	s_waitcnt lgkmcnt(7)
	v_fma_f32 v22, -v14, v41, v22
	v_mov_b32_e32 v41, s12
	s_add_i32 s12, s7, 0xfffffdb4
	s_add_i32 s11, s11, s12
	s_lshl_b32 s11, s11, 2
	v_mov_b32_e32 v39, s13
	ds_read2_b32 v[56:57], v35 offset1:1
	ds_read2_b32 v[58:59], v37 offset1:1
	;; [unrolled: 1-line block ×4, first 2 shown]
	v_mov_b32_e32 v35, s11
	s_sub_i32 s11, s18, 24
	s_add_i32 s12, s12, s11
	s_lshl_b32 s12, s12, 2
	s_add_i32 s13, s12, 0x930
	v_mov_b32_e32 v37, s13
	ds_read2_b32 v[64:65], v35 offset1:1
	ds_read2_b32 v[66:67], v37 offset1:1
	s_add_i32 s13, s12, 0x8c0
	v_mov_b32_e32 v39, s13
	s_add_i32 s13, s12, 0x850
	v_mov_b32_e32 v35, s13
	ds_read2_b32 v[68:69], v39 offset1:1
	ds_read2_b32 v[70:71], v35 offset1:1
	s_waitcnt lgkmcnt(2)
	v_mul_f32_e32 v35, v7, v67
	s_add_i32 s13, s12, 0x7e0
	s_add_i32 s11, s11, s9
	v_fma_f32 v21, v21, s16, -v35
	v_mov_b32_e32 v35, s13
	s_addk_i32 s12, 0x770
	s_lshl_b32 s11, s11, 2
	v_mov_b32_e32 v37, s12
	v_mov_b32_e32 v39, s11
	ds_read2_b32 v[72:73], v35 offset1:1
	ds_read2_b32 v[74:75], v37 offset1:1
	;; [unrolled: 1-line block ×3, first 2 shown]
	s_waitcnt lgkmcnt(4)
	v_fma_f32 v21, -v6, v69, v21
	s_waitcnt lgkmcnt(3)
	v_fma_f32 v21, -v5, v71, v21
	;; [unrolled: 2-line block ×5, first 2 shown]
	v_fma_f32 v21, -v9, v34, v21
	v_fma_f32 v21, -v8, v36, v21
	;; [unrolled: 1-line block ×14, first 2 shown]
	s_add_i32 s11, s8, 0xfffff594
	v_fma_f32 v21, -v17, v50, v21
	v_fma_f32 v22, -v27, v55, v22
	v_mov_b32_e32 v35, s11
	v_fma_f32 v21, -v16, v52, v21
	s_sub_i32 s11, s18, 25
	v_fma_f32 v22, -v26, v57, v22
	v_fma_f32 v21, -v27, v54, v21
	s_add_i32 s12, s9, s11
	v_fma_f32 v22, -v25, v59, v22
	ds_read_b32 v35, v35
	v_fma_f32 v21, -v26, v56, v21
	s_lshl_b32 s12, s12, 2
	v_fma_f32 v22, -v24, v61, v22
	v_fma_f32 v21, -v25, v58, v21
	v_mul_f32_e32 v34, v7, v66
	s_add_i32 s13, s12, 0xffffff90
	v_fma_f32 v22, -v23, v63, v22
	v_fma_f32 v21, -v24, v60, v21
	v_fma_f32 v20, v20, s16, -v34
	v_mov_b32_e32 v34, s13
	s_add_i32 s13, s12, 0xffffff20
	v_mul_f32_e32 v22, v65, v22
	v_fma_f32 v21, -v23, v62, v21
	v_fma_f32 v20, -v6, v68, v20
	v_mov_b32_e32 v36, s13
	s_add_i32 s13, s12, 0xfffffeb0
	v_fma_f32 v21, -v22, v64, v21
	v_fma_f32 v20, -v5, v70, v20
	v_mov_b32_e32 v38, s13
	s_waitcnt lgkmcnt(0)
	v_mul_f32_e32 v21, v35, v21
	v_fma_f32 v20, -v4, v72, v20
	ds_read2_b32 v[34:35], v34 offset1:1
	ds_read2_b32 v[36:37], v36 offset1:1
	;; [unrolled: 1-line block ×3, first 2 shown]
	v_fma_f32 v20, -v11, v74, v20
	s_add_i32 s13, s12, 0xfffffe40
	v_fma_f32 v20, -v10, v76, v20
	v_mov_b32_e32 v40, s13
	s_add_i32 s13, s12, 0xfffffdd0
	s_waitcnt lgkmcnt(2)
	v_fma_f32 v20, -v9, v35, v20
	v_mov_b32_e32 v35, s13
	s_add_i32 s13, s12, 0xfffffd60
	s_waitcnt lgkmcnt(1)
	;; [unrolled: 4-line block ×3, first 2 shown]
	v_fma_f32 v20, -v15, v39, v20
	v_mov_b32_e32 v39, s13
	s_add_i32 s13, s12, 0xfffffc80
	v_mov_b32_e32 v48, s13
	s_add_i32 s13, s12, 0xfffffc10
	ds_read2_b32 v[40:41], v40 offset1:1
	ds_read2_b32 v[42:43], v35 offset1:1
	;; [unrolled: 1-line block ×5, first 2 shown]
	v_mov_b32_e32 v35, s13
	s_add_i32 s13, s12, 0xfffffba0
	v_mov_b32_e32 v37, s13
	s_add_i32 s13, s12, 0xfffffb30
	;; [unrolled: 2-line block ×3, first 2 shown]
	ds_read2_b32 v[50:51], v35 offset1:1
	ds_read2_b32 v[52:53], v37 offset1:1
	;; [unrolled: 1-line block ×3, first 2 shown]
	v_mov_b32_e32 v35, s13
	s_add_i32 s13, s12, 0xfffffa50
	ds_read2_b32 v[56:57], v35 offset1:1
	v_mov_b32_e32 v35, s13
	s_add_i32 s13, s12, 0xfffff9e0
	s_waitcnt lgkmcnt(8)
	v_fma_f32 v20, -v14, v41, v20
	v_mov_b32_e32 v37, s13
	s_add_i32 s13, s12, 0xfffff970
	s_waitcnt lgkmcnt(7)
	v_fma_f32 v20, -v13, v43, v20
	v_mov_b32_e32 v39, s13
	s_add_i32 s13, s12, 0xfffff900
	s_addk_i32 s12, 0xf890
	s_waitcnt lgkmcnt(6)
	v_fma_f32 v20, -v12, v45, v20
	v_mov_b32_e32 v41, s13
	ds_read2_b32 v[58:59], v35 offset1:1
	ds_read2_b32 v[60:61], v37 offset1:1
	;; [unrolled: 1-line block ×4, first 2 shown]
	v_mov_b32_e32 v35, s12
	s_add_i32 s12, s7, 0xfffffd7c
	s_waitcnt lgkmcnt(9)
	v_fma_f32 v20, -v19, v47, v20
	s_add_i32 s11, s11, s12
	s_waitcnt lgkmcnt(8)
	v_fma_f32 v20, -v18, v49, v20
	s_lshl_b32 s11, s11, 2
	s_waitcnt lgkmcnt(7)
	v_fma_f32 v20, -v17, v51, v20
	v_mov_b32_e32 v37, s11
	s_sub_i32 s11, s18, 26
	s_waitcnt lgkmcnt(6)
	v_fma_f32 v20, -v16, v53, v20
	s_add_i32 s12, s12, s11
	s_waitcnt lgkmcnt(5)
	v_fma_f32 v20, -v27, v55, v20
	s_lshl_b32 s12, s12, 2
	s_waitcnt lgkmcnt(4)
	v_fma_f32 v20, -v26, v57, v20
	s_add_i32 s13, s12, 0xa10
	s_waitcnt lgkmcnt(3)
	v_fma_f32 v20, -v25, v59, v20
	v_mov_b32_e32 v39, s13
	s_add_i32 s13, s12, 0x9a0
	ds_read2_b32 v[66:67], v35 offset1:1
	ds_read2_b32 v[68:69], v37 offset1:1
	s_waitcnt lgkmcnt(4)
	v_fma_f32 v20, -v24, v61, v20
	v_mov_b32_e32 v35, s13
	ds_read2_b32 v[70:71], v39 offset1:1
	ds_read2_b32 v[72:73], v35 offset1:1
	s_waitcnt lgkmcnt(5)
	v_fma_f32 v20, -v23, v63, v20
	s_waitcnt lgkmcnt(4)
	v_fma_f32 v20, -v22, v65, v20
	;; [unrolled: 2-line block ×3, first 2 shown]
	s_waitcnt lgkmcnt(2)
	v_mul_f32_e32 v20, v69, v20
	s_waitcnt lgkmcnt(1)
	v_mul_f32_e32 v35, v7, v71
	s_add_i32 s13, s12, 0x930
	s_add_i32 s11, s11, s9
	global_store_dwordx4 v[32:33], v[20:23], off offset:-96
	v_fma_f32 v3, v3, s16, -v35
	v_mov_b32_e32 v35, s13
	s_add_i32 s13, s12, 0x8c0
	s_addk_i32 s12, 0x850
	s_lshl_b32 s11, s11, 2
	v_mov_b32_e32 v37, s13
	v_mov_b32_e32 v39, s12
	;; [unrolled: 1-line block ×3, first 2 shown]
	ds_read2_b32 v[74:75], v35 offset1:1
	ds_read2_b32 v[76:77], v37 offset1:1
	;; [unrolled: 1-line block ×4, first 2 shown]
	s_waitcnt lgkmcnt(4)
	v_fma_f32 v3, -v6, v73, v3
	s_waitcnt lgkmcnt(3)
	v_fma_f32 v3, -v5, v75, v3
	;; [unrolled: 2-line block ×5, first 2 shown]
	v_fma_f32 v3, -v9, v34, v3
	v_fma_f32 v3, -v8, v36, v3
	;; [unrolled: 1-line block ×12, first 2 shown]
	s_add_i32 s11, s8, 0xfffff4ac
	v_fma_f32 v3, -v25, v58, v3
	v_mov_b32_e32 v34, s11
	v_fma_f32 v3, -v24, v60, v3
	ds_read_b32 v40, v34
	v_fma_f32 v3, -v23, v62, v3
	v_fma_f32 v3, -v22, v64, v3
	s_sub_i32 s11, s18, 27
	v_fma_f32 v3, -v21, v66, v3
	s_add_i32 s9, s9, s11
	v_fma_f32 v3, -v20, v68, v3
	s_lshl_b32 s9, s9, 2
	s_add_i32 s12, s9, 0xffffff90
	s_waitcnt lgkmcnt(0)
	v_mul_f32_e32 v3, v40, v3
	v_mul_f32_e32 v40, v7, v70
	v_mov_b32_e32 v35, s12
	s_add_i32 s12, s9, 0xffffff20
	v_fma_f32 v2, v2, s16, -v40
	v_mov_b32_e32 v36, s12
	s_add_i32 s12, s9, 0xfffffeb0
	v_fma_f32 v2, -v6, v72, v2
	v_mov_b32_e32 v38, s12
	v_fma_f32 v2, -v5, v74, v2
	ds_read2_b32 v[34:35], v35 offset1:1
	ds_read2_b32 v[36:37], v36 offset1:1
	;; [unrolled: 1-line block ×3, first 2 shown]
	v_fma_f32 v2, -v4, v76, v2
	v_fma_f32 v2, -v11, v78, v2
	;; [unrolled: 1-line block ×3, first 2 shown]
	s_add_i32 s12, s9, 0xfffffe40
	s_waitcnt lgkmcnt(2)
	v_fma_f32 v2, -v9, v35, v2
	v_mov_b32_e32 v35, s12
	s_add_i32 s12, s9, 0xfffffdd0
	s_waitcnt lgkmcnt(1)
	v_fma_f32 v2, -v8, v37, v2
	v_mov_b32_e32 v37, s12
	;; [unrolled: 4-line block ×3, first 2 shown]
	s_add_i32 s12, s9, 0xfffffcf0
	ds_read2_b32 v[40:41], v35 offset1:1
	ds_read2_b32 v[42:43], v37 offset1:1
	;; [unrolled: 1-line block ×3, first 2 shown]
	v_mov_b32_e32 v35, s12
	s_add_i32 s12, s9, 0xfffffc80
	ds_read2_b32 v[46:47], v35 offset1:1
	v_mov_b32_e32 v35, s12
	s_add_i32 s12, s9, 0xfffffc10
	v_mov_b32_e32 v37, s12
	s_add_i32 s12, s9, 0xfffffba0
	;; [unrolled: 2-line block ×3, first 2 shown]
	s_waitcnt lgkmcnt(3)
	v_fma_f32 v2, -v14, v41, v2
	v_mov_b32_e32 v41, s12
	s_add_i32 s12, s9, 0xfffffac0
	ds_read2_b32 v[48:49], v35 offset1:1
	ds_read2_b32 v[50:51], v37 offset1:1
	;; [unrolled: 1-line block ×4, first 2 shown]
	v_mov_b32_e32 v35, s12
	s_add_i32 s12, s9, 0xfffffa50
	v_mov_b32_e32 v37, s12
	s_add_i32 s12, s9, 0xfffff9e0
	;; [unrolled: 2-line block ×3, first 2 shown]
	ds_read2_b32 v[56:57], v35 offset1:1
	ds_read2_b32 v[58:59], v37 offset1:1
	;; [unrolled: 1-line block ×3, first 2 shown]
	v_mov_b32_e32 v35, s12
	s_add_i32 s12, s9, 0xfffff900
	ds_read2_b32 v[62:63], v35 offset1:1
	v_mov_b32_e32 v35, s12
	s_add_i32 s12, s9, 0xfffff890
	s_addk_i32 s7, 0xfd44
	v_mov_b32_e32 v37, s12
	s_add_i32 s12, s9, 0xfffff820
	s_addk_i32 s9, 0xf7b0
	s_add_i32 s11, s11, s7
	v_mov_b32_e32 v41, s9
	s_lshl_b32 s9, s11, 2
	v_mov_b32_e32 v39, s12
	ds_read2_b32 v[64:65], v35 offset1:1
	ds_read2_b32 v[66:67], v37 offset1:1
	ds_read2_b32 v[68:69], v39 offset1:1
	ds_read2_b32 v[70:71], v41 offset1:1
	v_mov_b32_e32 v35, s9
	s_sub_i32 s9, s18, 28
	s_add_i32 s7, s7, s9
	s_lshl_b32 s7, s7, 2
	s_add_i32 s9, s7, 0xaf0
	v_mov_b32_e32 v37, s9
	ds_read2_b32 v[72:73], v35 offset1:1
	ds_read2_b32 v[74:75], v37 offset1:1
	s_add_i32 s9, s7, 0xa80
	v_mov_b32_e32 v39, s9
	s_add_i32 s9, s7, 0xa10
	v_mov_b32_e32 v35, s9
	ds_read2_b32 v[76:77], v39 offset1:1
	ds_read2_b32 v[78:79], v35 offset1:1
	s_waitcnt lgkmcnt(2)
	v_mul_f32_e32 v35, v7, v75
	s_add_i32 s9, s7, 0x9a0
	v_fma_f32 v1, v1, s16, -v35
	v_mov_b32_e32 v35, s9
	s_add_i32 s9, s7, 0x930
	v_mov_b32_e32 v37, s9
	s_add_i32 s9, s7, 0x8c0
	v_mov_b32_e32 v39, s9
	ds_read2_b32 v[80:81], v35 offset1:1
	ds_read2_b32 v[82:83], v37 offset1:1
	;; [unrolled: 1-line block ×3, first 2 shown]
	s_waitcnt lgkmcnt(4)
	v_fma_f32 v1, -v6, v77, v1
	s_waitcnt lgkmcnt(3)
	v_fma_f32 v1, -v5, v79, v1
	;; [unrolled: 2-line block ×5, first 2 shown]
	v_fma_f32 v1, -v9, v34, v1
	v_fma_f32 v1, -v8, v36, v1
	;; [unrolled: 1-line block ×24, first 2 shown]
	s_add_i32 s9, s8, 0xfffff3c4
	v_fma_f32 v1, -v24, v60, v1
	v_fma_f32 v2, -v22, v65, v2
	v_mov_b32_e32 v35, s9
	v_fma_f32 v1, -v23, v62, v1
	v_mul_f32_e32 v7, v7, v74
	v_fma_f32 v2, -v21, v67, v2
	ds_read_b32 v35, v35
	v_fma_f32 v1, -v22, v64, v1
	v_fma_f32 v0, v0, s16, -v7
	v_fma_f32 v2, -v20, v69, v2
	v_fma_f32 v1, -v21, v66, v1
	;; [unrolled: 1-line block ×6, first 2 shown]
	v_mov_b32_e32 v34, s7
	v_mul_f32_e32 v2, v73, v2
	v_fma_f32 v1, -v3, v70, v1
	v_fma_f32 v0, -v4, v80, v0
	v_add_u32_e32 v4, 0x600, v34
	v_fma_f32 v1, -v2, v72, v1
	ds_read2_b32 v[4:5], v4 offset0:120 offset1:148
	s_waitcnt lgkmcnt(1)
	v_mul_f32_e32 v1, v35, v1
	v_add_u32_e32 v35, 0x400, v34
	ds_read2_b32 v[6:7], v35 offset0:192 offset1:220
	v_fma_f32 v0, -v11, v82, v0
	v_fma_f32 v0, -v10, v84, v0
	ds_read2_b32 v[10:11], v35 offset0:136 offset1:164
	s_waitcnt lgkmcnt(2)
	v_fma_f32 v0, -v9, v5, v0
	v_fma_f32 v0, -v8, v4, v0
	ds_read2_b32 v[4:5], v35 offset0:80 offset1:108
	s_waitcnt lgkmcnt(2)
	;; [unrolled: 4-line block ×7, first 2 shown]
	v_fma_f32 v0, -v25, v5, v0
	v_fma_f32 v0, -v24, v4, v0
	s_waitcnt lgkmcnt(1)
	v_fma_f32 v0, -v23, v7, v0
	ds_read2_b32 v[4:5], v34 offset1:28
	s_addk_i32 s7, 0xff90
	v_fma_f32 v0, -v22, v6, v0
	v_mov_b32_e32 v6, s7
	s_add_i32 s7, s8, 0xfffff350
	ds_read_b32 v6, v6
	v_mov_b32_e32 v7, s7
	s_waitcnt lgkmcnt(2)
	v_fma_f32 v0, -v21, v9, v0
	ds_read_b32 v7, v7
	v_fma_f32 v0, -v20, v8, v0
	s_waitcnt lgkmcnt(2)
	v_fma_f32 v0, -v3, v5, v0
	v_fma_f32 v0, -v2, v4, v0
	s_waitcnt lgkmcnt(1)
	v_fma_f32 v0, -v1, v6, v0
	s_waitcnt lgkmcnt(0)
	v_mul_f32_e32 v0, v7, v0
	s_sub_i32 s8, s18, 29
	global_store_dwordx4 v[32:33], v[0:3], off offset:-112
.LBB32_40:
	s_cmp_gt_i32 s8, -1
	s_cbranch_scc0 .LBB32_59
; %bb.41:
	s_cmp_lt_u32 s8, 23
	s_cbranch_scc1 .LBB32_46
; %bb.42:
	s_mov_b32 s9, 0
	s_lshl_b64 s[12:13], s[8:9], 2
	v_mov_b32_e32 v0, s13
	v_add_co_u32_e32 v16, vcc, s12, v28
	v_addc_co_u32_e32 v17, vcc, v29, v0, vcc
	global_load_dwordx4 v[0:3], v[16:17], off offset:-12
	global_load_dwordx4 v[4:7], v[16:17], off offset:-28
	;; [unrolled: 1-line block ×6, first 2 shown]
	s_cmp_le_i32 s6, s8
	s_waitcnt vmcnt(5)
	v_pk_mul_f32 v[18:19], v[2:3], s[16:17] op_sel_hi:[1,0]
	v_pk_mul_f32 v[26:27], v[0:1], s[16:17] op_sel_hi:[1,0]
	s_waitcnt vmcnt(4)
	v_pk_mul_f32 v[2:3], v[6:7], s[16:17] op_sel_hi:[1,0]
	v_pk_mul_f32 v[0:1], v[4:5], s[16:17] op_sel_hi:[1,0]
	;; [unrolled: 3-line block ×6, first 2 shown]
	s_cbranch_scc1 .LBB32_45
; %bb.43:
	s_mul_i32 s7, s18, 0x70
	s_lshl_b32 s9, s8, 2
	s_add_i32 s7, s7, s9
	s_add_i32 s9, s7, 0xffffff34
	s_ashr_i32 s7, s6, 31
	s_lshl_b64 s[12:13], s[6:7], 2
	s_add_u32 s7, s2, s12
	s_addc_u32 s11, s3, s13
	s_add_u32 s7, s7, s4
	s_addc_u32 s11, s11, s5
	;; [unrolled: 2-line block ×3, first 2 shown]
	v_mov_b32_e32 v25, s11
	v_add_co_u32_e32 v24, vcc, s7, v30
	v_addc_co_u32_e32 v25, vcc, v25, v31, vcc
	s_mov_b32 s7, s6
.LBB32_44:                              ; =>This Inner Loop Header: Depth=1
	global_load_dword v32, v[24:25], off
	v_mov_b32_e32 v33, s9
	ds_read2_b32 v[34:35], v33 offset0:22 offset1:23
	ds_read2_b32 v[36:37], v33 offset0:20 offset1:21
	;; [unrolled: 1-line block ×11, first 2 shown]
	ds_read2_b32 v[56:57], v33 offset1:1
	s_add_i32 s7, s7, -1
	s_addk_i32 s9, 0xff90
	v_add_co_u32_e32 v24, vcc, -4, v24
	v_addc_co_u32_e32 v25, vcc, -1, v25, vcc
	s_cmp_gt_i32 s7, s8
	s_waitcnt vmcnt(0) lgkmcnt(11)
	v_pk_fma_f32 v[18:19], v[32:33], v[34:35], v[18:19] op_sel_hi:[0,1,1] neg_lo:[1,0,0] neg_hi:[1,0,0]
	s_waitcnt lgkmcnt(10)
	v_pk_fma_f32 v[26:27], v[32:33], v[36:37], v[26:27] op_sel_hi:[0,1,1] neg_lo:[1,0,0] neg_hi:[1,0,0]
	s_waitcnt lgkmcnt(9)
	;; [unrolled: 2-line block ×11, first 2 shown]
	v_pk_fma_f32 v[20:21], v[32:33], v[56:57], v[20:21] op_sel_hi:[0,1,1] neg_lo:[1,0,0] neg_hi:[1,0,0]
	s_cbranch_scc1 .LBB32_44
.LBB32_45:
	s_mul_i32 s7, s8, 0x74
	s_add_i32 s9, s7, -4
	v_mov_b32_e32 v24, s9
	s_mul_i32 s11, s8, 28
	s_add_i32 s9, s7, 0xffffff8c
	s_add_i32 s13, s8, -3
	v_mov_b32_e32 v32, s9
	s_add_i32 s9, s13, s11
	s_lshl_b32 s9, s9, 2
	s_sub_i32 s12, s11, 28
	ds_read2_b32 v[24:25], v24 offset1:1
	v_mov_b32_e32 v33, s9
	s_add_i32 s9, s13, s12
	s_lshl_b32 s9, s9, 2
	v_mov_b32_e32 v34, s9
	ds_read_b32 v36, v32
	ds_read2_b32 v[32:33], v33 offset1:1
	ds_read2_b32 v[34:35], v34 offset1:1
	s_waitcnt lgkmcnt(3)
	v_mul_f32_e32 v19, v25, v19
	s_ashr_i32 s9, s8, 31
	global_store_dword v[16:17], v19, off
	v_fma_f32 v16, -v19, v24, v18
	s_lshl_b64 s[14:15], s[8:9], 2
	s_sub_i32 s9, s11, 56
	s_waitcnt lgkmcnt(2)
	v_mul_f32_e32 v18, v36, v16
	v_mov_b32_e32 v16, s15
	v_add_co_u32_e32 v24, vcc, s14, v28
	s_add_i32 s13, s13, s9
	v_addc_co_u32_e32 v25, vcc, v29, v16, vcc
	s_waitcnt lgkmcnt(1)
	v_fma_f32 v16, -v19, v33, v27
	s_lshl_b32 s13, s13, 2
	s_waitcnt lgkmcnt(0)
	v_fma_f32 v27, -v18, v35, v16
	v_mov_b32_e32 v16, s13
	s_add_i32 s13, s7, 0xfffffea4
	s_add_i32 s15, s8, -5
	v_mov_b32_e32 v33, s13
	s_add_i32 s13, s15, s11
	ds_read2_b32 v[16:17], v16 offset1:1
	s_lshl_b32 s13, s13, 2
	v_mov_b32_e32 v35, s13
	s_add_i32 s13, s15, s12
	s_lshl_b32 s13, s13, 2
	v_mov_b32_e32 v38, s13
	v_fma_f32 v26, -v19, v32, v26
	s_add_i32 s13, s15, s9
	s_waitcnt lgkmcnt(0)
	v_mul_f32_e32 v17, v17, v27
	v_fma_f32 v26, -v18, v34, v26
	s_lshl_b32 s13, s13, 2
	v_fma_f32 v16, -v17, v16, v26
	v_mov_b32_e32 v26, s13
	s_add_i32 s13, s11, 0xffffffac
	s_add_i32 s14, s15, s13
	ds_read_b32 v33, v33
	ds_read2_b32 v[36:37], v35 offset1:1
	ds_read2_b32 v[38:39], v38 offset1:1
	s_lshl_b32 s14, s14, 2
	v_mov_b32_e32 v32, s14
	s_add_i32 s14, s11, 0xffffff90
	s_add_i32 s15, s15, s14
	s_waitcnt lgkmcnt(2)
	v_mul_f32_e32 v16, v33, v16
	s_lshl_b32 s15, s15, 2
	global_store_dwordx3 v[24:25], v[16:18], off offset:-12
	v_mov_b32_e32 v34, s15
	s_add_i32 s15, s7, 0xfffffdbc
	ds_read2_b32 v[26:27], v26 offset1:1
	ds_read2_b32 v[32:33], v32 offset1:1
	ds_read2_b32 v[34:35], v34 offset1:1
	s_add_i32 s19, s8, -7
	s_waitcnt lgkmcnt(4)
	v_fma_f32 v3, -v19, v37, v3
	v_mov_b32_e32 v37, s15
	v_fma_f32 v2, -v19, v36, v2
	s_add_i32 s15, s19, s11
	s_waitcnt lgkmcnt(3)
	v_fma_f32 v2, -v18, v38, v2
	s_lshl_b32 s15, s15, 2
	v_fma_f32 v3, -v18, v39, v3
	s_waitcnt lgkmcnt(2)
	v_fma_f32 v2, -v17, v26, v2
	v_mov_b32_e32 v26, s15
	s_add_i32 s15, s19, s12
	v_fma_f32 v3, -v17, v27, v3
	s_lshl_b32 s15, s15, 2
	s_waitcnt lgkmcnt(1)
	v_fma_f32 v3, -v16, v33, v3
	v_fma_f32 v2, -v16, v32, v2
	v_mov_b32_e32 v32, s15
	s_add_i32 s15, s19, s9
	s_waitcnt lgkmcnt(0)
	v_mul_f32_e32 v3, v35, v3
	s_lshl_b32 s15, s15, 2
	ds_read_b32 v37, v37
	v_fma_f32 v2, -v3, v34, v2
	v_mov_b32_e32 v34, s15
	s_add_i32 s15, s19, s13
	ds_read2_b32 v[26:27], v26 offset1:1
	ds_read2_b32 v[32:33], v32 offset1:1
	s_lshl_b32 s15, s15, 2
	v_mov_b32_e32 v36, s15
	s_add_i32 s15, s19, s14
	s_lshl_b32 s15, s15, 2
	s_waitcnt lgkmcnt(1)
	v_fma_f32 v1, -v19, v27, v1
	v_mov_b32_e32 v27, s15
	s_add_i32 s15, s11, 0xffffff74
	s_add_i32 s17, s19, s15
	v_mul_f32_e32 v2, v37, v2
	ds_read2_b32 v[34:35], v34 offset1:1
	ds_read2_b32 v[36:37], v36 offset1:1
	s_lshl_b32 s17, s17, 2
	s_waitcnt lgkmcnt(2)
	v_fma_f32 v1, -v18, v33, v1
	v_mov_b32_e32 v33, s17
	s_add_i32 s17, s7, 0xfffffd48
	ds_read2_b32 v[38:39], v27 offset1:1
	ds_read2_b32 v[40:41], v33 offset1:1
	v_mov_b32_e32 v27, s17
	ds_read_b32 v27, v27
	s_waitcnt lgkmcnt(4)
	v_fma_f32 v1, -v17, v35, v1
	s_add_i32 s17, s11, 0xffffff58
	s_waitcnt lgkmcnt(3)
	v_fma_f32 v1, -v16, v37, v1
	s_add_i32 s19, s19, s17
	s_waitcnt lgkmcnt(2)
	v_fma_f32 v1, -v3, v39, v1
	s_lshl_b32 s19, s19, 2
	s_waitcnt lgkmcnt(1)
	v_fma_f32 v1, -v2, v41, v1
	v_fma_f32 v0, -v19, v26, v0
	v_mov_b32_e32 v26, s19
	s_add_i32 s19, s7, 0xfffffcd4
	s_add_i32 s21, s8, -9
	s_waitcnt lgkmcnt(0)
	v_mul_f32_e32 v1, v27, v1
	v_mov_b32_e32 v27, s19
	s_add_i32 s19, s21, s11
	s_lshl_b32 s19, s19, 2
	v_fma_f32 v0, -v18, v32, v0
	v_mov_b32_e32 v32, s19
	s_add_i32 s19, s21, s12
	s_lshl_b32 s19, s19, 2
	v_mov_b32_e32 v33, s19
	v_fma_f32 v0, -v17, v34, v0
	ds_read_b32 v34, v26
	ds_read_b32 v35, v27
	ds_read2_b32 v[26:27], v32 offset1:1
	ds_read2_b32 v[32:33], v33 offset1:1
	s_add_i32 s19, s21, s9
	s_lshl_b32 s19, s19, 2
	v_fma_f32 v0, -v16, v36, v0
	s_waitcnt lgkmcnt(1)
	v_fma_f32 v7, -v19, v27, v7
	v_mov_b32_e32 v27, s19
	s_add_i32 s19, s21, s13
	s_lshl_b32 s19, s19, 2
	v_mov_b32_e32 v36, s19
	s_add_i32 s19, s21, s14
	v_fma_f32 v0, -v3, v38, v0
	s_lshl_b32 s19, s19, 2
	v_fma_f32 v0, -v2, v40, v0
	v_mov_b32_e32 v38, s19
	s_add_i32 s19, s21, s15
	v_fma_f32 v0, -v1, v34, v0
	s_lshl_b32 s19, s19, 2
	v_mul_f32_e32 v0, v35, v0
	v_mov_b32_e32 v40, s19
	s_add_i32 s19, s21, s17
	global_store_dwordx4 v[24:25], v[0:3], off offset:-28
	s_lshl_b32 s19, s19, 2
	ds_read2_b32 v[34:35], v27 offset1:1
	ds_read2_b32 v[36:37], v36 offset1:1
	;; [unrolled: 1-line block ×4, first 2 shown]
	v_mov_b32_e32 v27, s19
	s_add_i32 s19, s11, 0xffffff3c
	s_add_i32 s20, s21, s19
	s_lshl_b32 s20, s20, 2
	s_waitcnt lgkmcnt(4)
	v_fma_f32 v7, -v18, v33, v7
	v_mov_b32_e32 v33, s20
	s_add_i32 s20, s11, 0xffffff20
	s_add_i32 s21, s21, s20
	s_lshl_b32 s21, s21, 2
	v_fma_f32 v6, -v19, v26, v6
	s_waitcnt lgkmcnt(3)
	v_fma_f32 v7, -v17, v35, v7
	v_mov_b32_e32 v35, s21
	s_add_i32 s21, s7, 0xfffffbec
	v_fma_f32 v6, -v18, v32, v6
	s_add_i32 s23, s8, -11
	s_waitcnt lgkmcnt(2)
	v_fma_f32 v7, -v16, v37, v7
	ds_read2_b32 v[42:43], v27 offset1:1
	ds_read2_b32 v[44:45], v33 offset1:1
	;; [unrolled: 1-line block ×3, first 2 shown]
	v_mov_b32_e32 v27, s21
	v_fma_f32 v6, -v17, v34, v6
	s_add_i32 s21, s23, s11
	s_waitcnt lgkmcnt(4)
	v_fma_f32 v7, -v3, v39, v7
	v_fma_f32 v6, -v16, v36, v6
	s_lshl_b32 s21, s21, 2
	s_waitcnt lgkmcnt(3)
	v_fma_f32 v7, -v2, v41, v7
	ds_read_b32 v27, v27
	v_fma_f32 v6, -v3, v38, v6
	v_mov_b32_e32 v26, s21
	s_add_i32 s21, s23, s12
	s_waitcnt lgkmcnt(3)
	v_fma_f32 v7, -v1, v43, v7
	v_fma_f32 v6, -v2, v40, v6
	s_lshl_b32 s21, s21, 2
	s_waitcnt lgkmcnt(2)
	v_fma_f32 v7, -v0, v45, v7
	v_fma_f32 v6, -v1, v42, v6
	v_mov_b32_e32 v32, s21
	s_add_i32 s21, s23, s9
	s_waitcnt lgkmcnt(1)
	v_mul_f32_e32 v7, v47, v7
	v_fma_f32 v6, -v0, v44, v6
	s_lshl_b32 s21, s21, 2
	v_fma_f32 v6, -v7, v46, v6
	v_mov_b32_e32 v34, s21
	s_add_i32 s21, s23, s13
	s_waitcnt lgkmcnt(0)
	v_mul_f32_e32 v6, v27, v6
	s_lshl_b32 s21, s21, 2
	ds_read2_b32 v[26:27], v26 offset1:1
	ds_read2_b32 v[32:33], v32 offset1:1
	;; [unrolled: 1-line block ×3, first 2 shown]
	v_mov_b32_e32 v36, s21
	s_add_i32 s21, s23, s14
	s_lshl_b32 s21, s21, 2
	s_waitcnt lgkmcnt(2)
	v_fma_f32 v5, -v19, v27, v5
	v_mov_b32_e32 v27, s21
	s_add_i32 s21, s23, s15
	s_lshl_b32 s21, s21, 2
	s_waitcnt lgkmcnt(1)
	v_fma_f32 v5, -v18, v33, v5
	;; [unrolled: 5-line block ×3, first 2 shown]
	v_mov_b32_e32 v35, s21
	s_add_i32 s21, s23, s19
	s_lshl_b32 s21, s21, 2
	v_mov_b32_e32 v44, s21
	s_add_i32 s21, s23, s20
	s_lshl_b32 s21, s21, 2
	s_add_i32 s22, s11, 0xffffff04
	ds_read2_b32 v[36:37], v36 offset1:1
	ds_read2_b32 v[38:39], v27 offset1:1
	;; [unrolled: 1-line block ×5, first 2 shown]
	v_mov_b32_e32 v27, s21
	s_add_i32 s21, s23, s22
	s_lshl_b32 s21, s21, 2
	v_mov_b32_e32 v33, s21
	s_add_i32 s21, s11, 0xfffffee8
	s_add_i32 s23, s23, s21
	s_lshl_b32 s23, s23, 2
	v_fma_f32 v4, -v19, v26, v4
	v_mov_b32_e32 v35, s23
	s_add_i32 s23, s7, 0xfffffb04
	v_fma_f32 v4, -v18, v32, v4
	s_add_i32 s25, s8, -13
	s_waitcnt lgkmcnt(4)
	v_fma_f32 v5, -v16, v37, v5
	ds_read2_b32 v[46:47], v27 offset1:1
	ds_read2_b32 v[48:49], v33 offset1:1
	;; [unrolled: 1-line block ×3, first 2 shown]
	v_mov_b32_e32 v27, s23
	v_fma_f32 v4, -v17, v34, v4
	s_add_i32 s23, s25, s11
	s_waitcnt lgkmcnt(6)
	v_fma_f32 v5, -v3, v39, v5
	v_fma_f32 v4, -v16, v36, v4
	s_lshl_b32 s23, s23, 2
	s_waitcnt lgkmcnt(5)
	v_fma_f32 v5, -v2, v41, v5
	v_fma_f32 v4, -v3, v38, v4
	v_mov_b32_e32 v26, s23
	s_add_i32 s23, s25, s12
	s_waitcnt lgkmcnt(4)
	v_fma_f32 v5, -v1, v43, v5
	v_fma_f32 v4, -v2, v40, v4
	s_lshl_b32 s23, s23, 2
	s_waitcnt lgkmcnt(3)
	v_fma_f32 v5, -v0, v45, v5
	ds_read_b32 v27, v27
	v_fma_f32 v4, -v1, v42, v4
	v_mov_b32_e32 v32, s23
	s_add_i32 s23, s25, s9
	s_waitcnt lgkmcnt(3)
	v_fma_f32 v5, -v7, v47, v5
	v_fma_f32 v4, -v0, v44, v4
	s_lshl_b32 s23, s23, 2
	s_waitcnt lgkmcnt(2)
	v_fma_f32 v5, -v6, v49, v5
	v_fma_f32 v4, -v7, v46, v4
	v_mov_b32_e32 v34, s23
	s_add_i32 s23, s25, s13
	s_waitcnt lgkmcnt(1)
	v_mul_f32_e32 v5, v51, v5
	v_fma_f32 v4, -v6, v48, v4
	s_lshl_b32 s23, s23, 2
	v_fma_f32 v4, -v5, v50, v4
	v_mov_b32_e32 v36, s23
	s_waitcnt lgkmcnt(0)
	v_mul_f32_e32 v4, v27, v4
	ds_read2_b32 v[26:27], v26 offset1:1
	ds_read2_b32 v[32:33], v32 offset1:1
	;; [unrolled: 1-line block ×4, first 2 shown]
	s_add_i32 s23, s25, s14
	s_lshl_b32 s23, s23, 2
	s_waitcnt lgkmcnt(3)
	v_fma_f32 v11, -v19, v27, v11
	v_mov_b32_e32 v27, s23
	s_add_i32 s23, s25, s15
	s_lshl_b32 s23, s23, 2
	s_waitcnt lgkmcnt(2)
	v_fma_f32 v11, -v18, v33, v11
	v_mov_b32_e32 v33, s23
	;; [unrolled: 5-line block ×3, first 2 shown]
	s_add_i32 s23, s25, s19
	global_store_dwordx4 v[24:25], v[4:7], off offset:-44
	s_lshl_b32 s23, s23, 2
	ds_read2_b32 v[38:39], v27 offset1:1
	ds_read2_b32 v[40:41], v33 offset1:1
	;; [unrolled: 1-line block ×3, first 2 shown]
	v_mov_b32_e32 v27, s23
	s_add_i32 s23, s25, s20
	s_lshl_b32 s23, s23, 2
	ds_read2_b32 v[44:45], v27 offset1:1
	v_mov_b32_e32 v27, s23
	s_add_i32 s23, s25, s22
	s_lshl_b32 s23, s23, 2
	v_mov_b32_e32 v33, s23
	s_add_i32 s23, s25, s21
	s_lshl_b32 s23, s23, 2
	v_mov_b32_e32 v35, s23
	s_add_i32 s23, s11, 0xfffffecc
	s_add_i32 s24, s25, s23
	s_lshl_b32 s24, s24, 2
	s_waitcnt lgkmcnt(4)
	v_fma_f32 v11, -v16, v37, v11
	v_mov_b32_e32 v37, s24
	s_add_i32 s24, s11, 0xfffffeb0
	s_add_i32 s25, s25, s24
	s_lshl_b32 s25, s25, 2
	ds_read2_b32 v[46:47], v27 offset1:1
	ds_read2_b32 v[48:49], v33 offset1:1
	;; [unrolled: 1-line block ×4, first 2 shown]
	v_mov_b32_e32 v27, s25
	s_add_i32 s25, s7, 0xfffffa1c
	s_add_i32 s27, s8, -15
	v_mov_b32_e32 v33, s25
	s_add_i32 s25, s27, s11
	v_fma_f32 v10, -v19, v26, v10
	s_lshl_b32 s25, s25, 2
	v_fma_f32 v10, -v18, v32, v10
	v_mov_b32_e32 v35, s25
	s_add_i32 s25, s27, s12
	v_fma_f32 v10, -v17, v34, v10
	s_waitcnt lgkmcnt(7)
	v_fma_f32 v11, -v3, v39, v11
	s_lshl_b32 s25, s25, 2
	v_fma_f32 v10, -v16, v36, v10
	s_waitcnt lgkmcnt(6)
	v_fma_f32 v11, -v2, v41, v11
	ds_read2_b32 v[54:55], v27 offset1:1
	v_mov_b32_e32 v27, s25
	v_fma_f32 v10, -v3, v38, v10
	s_add_i32 s25, s27, s9
	s_waitcnt lgkmcnt(6)
	v_fma_f32 v11, -v1, v43, v11
	v_fma_f32 v10, -v2, v40, v10
	s_lshl_b32 s25, s25, 2
	s_waitcnt lgkmcnt(5)
	v_fma_f32 v11, -v0, v45, v11
	v_fma_f32 v10, -v1, v42, v10
	v_mov_b32_e32 v26, s25
	s_add_i32 s25, s27, s13
	s_waitcnt lgkmcnt(4)
	v_fma_f32 v11, -v7, v47, v11
	v_fma_f32 v10, -v0, v44, v10
	s_lshl_b32 s25, s25, 2
	s_waitcnt lgkmcnt(3)
	v_fma_f32 v11, -v6, v49, v11
	v_fma_f32 v10, -v7, v46, v10
	v_mov_b32_e32 v32, s25
	s_add_i32 s25, s27, s14
	s_waitcnt lgkmcnt(2)
	v_fma_f32 v11, -v5, v51, v11
	ds_read_b32 v33, v33
	ds_read2_b32 v[56:57], v35 offset1:1
	ds_read2_b32 v[58:59], v27 offset1:1
	v_fma_f32 v10, -v6, v48, v10
	s_lshl_b32 s25, s25, 2
	s_waitcnt lgkmcnt(4)
	v_fma_f32 v11, -v4, v53, v11
	v_fma_f32 v10, -v5, v50, v10
	v_mov_b32_e32 v34, s25
	s_add_i32 s25, s27, s15
	s_waitcnt lgkmcnt(3)
	v_mul_f32_e32 v11, v55, v11
	v_fma_f32 v10, -v4, v52, v10
	s_lshl_b32 s25, s25, 2
	v_fma_f32 v10, -v11, v54, v10
	v_mov_b32_e32 v36, s25
	s_waitcnt lgkmcnt(2)
	v_mul_f32_e32 v10, v33, v10
	s_waitcnt lgkmcnt(1)
	v_fma_f32 v9, -v19, v57, v9
	ds_read2_b32 v[26:27], v26 offset1:1
	ds_read2_b32 v[32:33], v32 offset1:1
	;; [unrolled: 1-line block ×4, first 2 shown]
	s_add_i32 s25, s27, s17
	s_waitcnt lgkmcnt(4)
	v_fma_f32 v9, -v18, v59, v9
	s_lshl_b32 s25, s25, 2
	s_waitcnt lgkmcnt(3)
	v_fma_f32 v9, -v17, v27, v9
	v_mov_b32_e32 v27, s25
	s_add_i32 s25, s27, s19
	s_lshl_b32 s25, s25, 2
	s_waitcnt lgkmcnt(2)
	v_fma_f32 v9, -v16, v33, v9
	v_mov_b32_e32 v33, s25
	s_add_i32 s25, s27, s20
	;; [unrolled: 5-line block ×3, first 2 shown]
	s_lshl_b32 s25, s25, 2
	ds_read2_b32 v[38:39], v27 offset1:1
	ds_read2_b32 v[40:41], v33 offset1:1
	;; [unrolled: 1-line block ×3, first 2 shown]
	v_mov_b32_e32 v27, s25
	s_add_i32 s25, s27, s21
	s_lshl_b32 s25, s25, 2
	ds_read2_b32 v[44:45], v27 offset1:1
	v_mov_b32_e32 v27, s25
	s_add_i32 s25, s27, s23
	s_lshl_b32 s25, s25, 2
	v_mov_b32_e32 v33, s25
	s_add_i32 s25, s27, s24
	s_lshl_b32 s25, s25, 2
	v_mov_b32_e32 v35, s25
	s_add_i32 s25, s11, 0xfffffe94
	s_add_i32 s26, s27, s25
	s_lshl_b32 s26, s26, 2
	s_waitcnt lgkmcnt(4)
	v_fma_f32 v9, -v2, v37, v9
	v_mov_b32_e32 v37, s26
	s_add_i32 s26, s11, 0xfffffe78
	v_fma_f32 v8, -v19, v56, v8
	s_add_i32 s27, s27, s26
	v_fma_f32 v8, -v18, v58, v8
	s_lshl_b32 s27, s27, 2
	v_fma_f32 v8, -v17, v26, v8
	ds_read2_b32 v[46:47], v27 offset1:1
	ds_read2_b32 v[48:49], v33 offset1:1
	;; [unrolled: 1-line block ×4, first 2 shown]
	v_mov_b32_e32 v27, s27
	s_add_i32 s27, s7, 0xfffff934
	s_sub_i32 s29, s8, 17
	v_fma_f32 v8, -v16, v32, v8
	v_mov_b32_e32 v33, s27
	s_add_i32 s27, s29, s11
	v_fma_f32 v8, -v3, v34, v8
	s_waitcnt lgkmcnt(7)
	v_fma_f32 v9, -v1, v39, v9
	s_lshl_b32 s27, s27, 2
	v_fma_f32 v8, -v2, v36, v8
	s_waitcnt lgkmcnt(6)
	v_fma_f32 v9, -v0, v41, v9
	v_mov_b32_e32 v35, s27
	s_add_i32 s27, s29, s12
	v_fma_f32 v8, -v1, v38, v8
	s_waitcnt lgkmcnt(5)
	v_fma_f32 v9, -v7, v43, v9
	s_lshl_b32 s27, s27, 2
	v_fma_f32 v8, -v0, v40, v8
	s_waitcnt lgkmcnt(4)
	v_fma_f32 v9, -v6, v45, v9
	ds_read2_b32 v[54:55], v27 offset1:1
	v_mov_b32_e32 v27, s27
	v_fma_f32 v8, -v7, v42, v8
	s_add_i32 s27, s29, s9
	s_waitcnt lgkmcnt(4)
	v_fma_f32 v9, -v5, v47, v9
	v_fma_f32 v8, -v6, v44, v8
	s_lshl_b32 s27, s27, 2
	s_waitcnt lgkmcnt(3)
	v_fma_f32 v9, -v4, v49, v9
	v_fma_f32 v8, -v5, v46, v8
	v_mov_b32_e32 v26, s27
	s_add_i32 s27, s29, s13
	s_waitcnt lgkmcnt(2)
	v_fma_f32 v9, -v11, v51, v9
	v_fma_f32 v8, -v4, v48, v8
	s_lshl_b32 s27, s27, 2
	s_waitcnt lgkmcnt(1)
	v_fma_f32 v9, -v10, v53, v9
	ds_read_b32 v33, v33
	ds_read2_b32 v[60:61], v35 offset1:1
	ds_read2_b32 v[62:63], v27 offset1:1
	v_fma_f32 v8, -v11, v50, v8
	v_mov_b32_e32 v32, s27
	s_add_i32 s27, s29, s14
	s_waitcnt lgkmcnt(3)
	v_mul_f32_e32 v9, v55, v9
	v_fma_f32 v8, -v10, v52, v8
	s_lshl_b32 s27, s27, 2
	v_fma_f32 v8, -v9, v54, v8
	v_mov_b32_e32 v34, s27
	s_add_i32 s27, s29, s15
	s_waitcnt lgkmcnt(2)
	v_mul_f32_e32 v8, v33, v8
	s_lshl_b32 s27, s27, 2
	global_store_dwordx4 v[24:25], v[8:11], off offset:-60
	v_mov_b32_e32 v36, s27
	s_waitcnt lgkmcnt(1)
	v_fma_f32 v15, -v19, v61, v15
	ds_read2_b32 v[26:27], v26 offset1:1
	ds_read2_b32 v[32:33], v32 offset1:1
	;; [unrolled: 1-line block ×4, first 2 shown]
	s_add_i32 s27, s29, s17
	s_waitcnt lgkmcnt(4)
	v_fma_f32 v15, -v18, v63, v15
	s_lshl_b32 s27, s27, 2
	s_waitcnt lgkmcnt(3)
	v_fma_f32 v15, -v17, v27, v15
	v_mov_b32_e32 v27, s27
	s_add_i32 s27, s29, s19
	s_lshl_b32 s27, s27, 2
	s_waitcnt lgkmcnt(2)
	v_fma_f32 v15, -v16, v33, v15
	v_mov_b32_e32 v33, s27
	s_add_i32 s27, s29, s20
	;; [unrolled: 5-line block ×3, first 2 shown]
	s_lshl_b32 s27, s27, 2
	ds_read2_b32 v[38:39], v27 offset1:1
	ds_read2_b32 v[40:41], v33 offset1:1
	;; [unrolled: 1-line block ×3, first 2 shown]
	v_mov_b32_e32 v27, s27
	s_add_i32 s27, s29, s21
	s_lshl_b32 s27, s27, 2
	ds_read2_b32 v[44:45], v27 offset1:1
	v_mov_b32_e32 v27, s27
	s_add_i32 s27, s29, s23
	s_lshl_b32 s27, s27, 2
	v_mov_b32_e32 v33, s27
	s_add_i32 s27, s29, s24
	s_lshl_b32 s27, s27, 2
	;; [unrolled: 3-line block ×3, first 2 shown]
	v_fma_f32 v14, -v19, v60, v14
	s_waitcnt lgkmcnt(4)
	v_fma_f32 v15, -v2, v37, v15
	v_mov_b32_e32 v37, s27
	s_add_i32 s27, s29, s26
	v_fma_f32 v14, -v18, v62, v14
	s_lshl_b32 s27, s27, 2
	v_fma_f32 v14, -v17, v26, v14
	ds_read2_b32 v[46:47], v27 offset1:1
	ds_read2_b32 v[48:49], v33 offset1:1
	;; [unrolled: 1-line block ×4, first 2 shown]
	v_mov_b32_e32 v27, s27
	s_add_i32 s27, s11, 0xfffffe5c
	v_fma_f32 v14, -v16, v32, v14
	s_add_i32 s28, s29, s27
	v_fma_f32 v14, -v3, v34, v14
	s_waitcnt lgkmcnt(7)
	v_fma_f32 v15, -v1, v39, v15
	s_lshl_b32 s28, s28, 2
	v_fma_f32 v14, -v2, v36, v14
	s_waitcnt lgkmcnt(6)
	v_fma_f32 v15, -v0, v41, v15
	v_mov_b32_e32 v33, s28
	s_add_i32 s28, s11, 0xfffffe40
	v_fma_f32 v14, -v1, v38, v14
	s_waitcnt lgkmcnt(5)
	v_fma_f32 v15, -v7, v43, v15
	s_add_i32 s29, s29, s28
	v_fma_f32 v14, -v0, v40, v14
	s_waitcnt lgkmcnt(4)
	v_fma_f32 v15, -v6, v45, v15
	s_lshl_b32 s29, s29, 2
	v_fma_f32 v14, -v7, v42, v14
	s_waitcnt lgkmcnt(3)
	v_fma_f32 v15, -v5, v47, v15
	v_mov_b32_e32 v35, s29
	s_add_i32 s29, s7, 0xfffff84c
	v_fma_f32 v14, -v6, v44, v14
	s_sub_i32 s31, s8, 19
	s_waitcnt lgkmcnt(2)
	v_fma_f32 v15, -v4, v49, v15
	ds_read2_b32 v[54:55], v27 offset1:1
	ds_read2_b32 v[56:57], v33 offset1:1
	;; [unrolled: 1-line block ×3, first 2 shown]
	v_mov_b32_e32 v27, s29
	v_fma_f32 v14, -v5, v46, v14
	s_add_i32 s29, s31, s11
	s_waitcnt lgkmcnt(4)
	v_fma_f32 v15, -v11, v51, v15
	v_fma_f32 v14, -v4, v48, v14
	s_lshl_b32 s29, s29, 2
	s_waitcnt lgkmcnt(3)
	v_fma_f32 v15, -v10, v53, v15
	ds_read_b32 v27, v27
	v_fma_f32 v14, -v11, v50, v14
	v_mov_b32_e32 v26, s29
	s_add_i32 s29, s31, s12
	s_waitcnt lgkmcnt(3)
	v_fma_f32 v15, -v9, v55, v15
	v_fma_f32 v14, -v10, v52, v14
	s_lshl_b32 s29, s29, 2
	s_waitcnt lgkmcnt(2)
	v_fma_f32 v15, -v8, v57, v15
	v_fma_f32 v14, -v9, v54, v14
	v_mov_b32_e32 v32, s29
	s_add_i32 s29, s31, s9
	s_waitcnt lgkmcnt(1)
	v_mul_f32_e32 v15, v59, v15
	v_fma_f32 v14, -v8, v56, v14
	s_lshl_b32 s29, s29, 2
	v_fma_f32 v14, -v15, v58, v14
	v_mov_b32_e32 v34, s29
	s_add_i32 s29, s31, s13
	s_waitcnt lgkmcnt(0)
	v_mul_f32_e32 v14, v27, v14
	s_lshl_b32 s29, s29, 2
	ds_read2_b32 v[26:27], v26 offset1:1
	ds_read2_b32 v[32:33], v32 offset1:1
	;; [unrolled: 1-line block ×3, first 2 shown]
	v_mov_b32_e32 v36, s29
	s_add_i32 s29, s31, s14
	s_lshl_b32 s29, s29, 2
	s_waitcnt lgkmcnt(2)
	v_fma_f32 v13, -v19, v27, v13
	v_mov_b32_e32 v27, s29
	s_add_i32 s29, s31, s15
	s_lshl_b32 s29, s29, 2
	s_waitcnt lgkmcnt(1)
	v_fma_f32 v13, -v18, v33, v13
	;; [unrolled: 5-line block ×3, first 2 shown]
	v_mov_b32_e32 v35, s29
	s_add_i32 s29, s31, s19
	s_lshl_b32 s29, s29, 2
	v_mov_b32_e32 v44, s29
	s_add_i32 s29, s31, s20
	s_lshl_b32 s29, s29, 2
	ds_read2_b32 v[36:37], v36 offset1:1
	ds_read2_b32 v[38:39], v27 offset1:1
	;; [unrolled: 1-line block ×5, first 2 shown]
	v_mov_b32_e32 v27, s29
	s_add_i32 s29, s31, s22
	s_lshl_b32 s29, s29, 2
	v_mov_b32_e32 v33, s29
	s_add_i32 s29, s31, s21
	s_lshl_b32 s29, s29, 2
	;; [unrolled: 3-line block ×3, first 2 shown]
	ds_read2_b32 v[46:47], v27 offset1:1
	ds_read2_b32 v[48:49], v33 offset1:1
	;; [unrolled: 1-line block ×3, first 2 shown]
	v_mov_b32_e32 v27, s29
	s_add_i32 s29, s31, s24
	s_lshl_b32 s29, s29, 2
	ds_read2_b32 v[52:53], v27 offset1:1
	v_mov_b32_e32 v27, s29
	s_add_i32 s29, s31, s25
	s_lshl_b32 s29, s29, 2
	v_mov_b32_e32 v33, s29
	s_add_i32 s29, s31, s26
	s_lshl_b32 s29, s29, 2
	;; [unrolled: 3-line block ×3, first 2 shown]
	v_fma_f32 v12, -v19, v26, v12
	s_waitcnt lgkmcnt(8)
	v_fma_f32 v13, -v16, v37, v13
	v_mov_b32_e32 v37, s29
	s_add_i32 s29, s31, s28
	v_fma_f32 v12, -v18, v32, v12
	s_lshl_b32 s29, s29, 2
	s_add_i32 s30, s11, 0xfffffe24
	v_fma_f32 v12, -v17, v34, v12
	s_waitcnt lgkmcnt(7)
	v_fma_f32 v13, -v3, v39, v13
	ds_read2_b32 v[54:55], v27 offset1:1
	ds_read2_b32 v[56:57], v33 offset1:1
	;; [unrolled: 1-line block ×4, first 2 shown]
	v_mov_b32_e32 v27, s29
	s_add_i32 s29, s31, s30
	v_fma_f32 v12, -v16, v36, v12
	s_waitcnt lgkmcnt(10)
	v_fma_f32 v13, -v2, v41, v13
	s_lshl_b32 s29, s29, 2
	v_fma_f32 v12, -v3, v38, v12
	s_waitcnt lgkmcnt(9)
	v_fma_f32 v13, -v1, v43, v13
	v_mov_b32_e32 v33, s29
	s_add_i32 s29, s11, 0xfffffe08
	v_fma_f32 v12, -v2, v40, v12
	s_waitcnt lgkmcnt(8)
	v_fma_f32 v13, -v0, v45, v13
	s_add_i32 s31, s31, s29
	v_fma_f32 v12, -v1, v42, v12
	s_waitcnt lgkmcnt(7)
	v_fma_f32 v13, -v7, v47, v13
	s_lshl_b32 s31, s31, 2
	v_fma_f32 v12, -v0, v44, v12
	s_waitcnt lgkmcnt(6)
	v_fma_f32 v13, -v6, v49, v13
	v_mov_b32_e32 v35, s31
	s_add_i32 s31, s7, 0xfffff764
	v_fma_f32 v12, -v7, v46, v12
	s_waitcnt lgkmcnt(5)
	v_fma_f32 v13, -v5, v51, v13
	ds_read2_b32 v[62:63], v27 offset1:1
	ds_read2_b32 v[64:65], v33 offset1:1
	;; [unrolled: 1-line block ×3, first 2 shown]
	v_mov_b32_e32 v27, s31
	v_fma_f32 v12, -v6, v48, v12
	s_sub_i32 s31, s8, 21
	s_waitcnt lgkmcnt(7)
	v_fma_f32 v13, -v4, v53, v13
	v_fma_f32 v12, -v5, v50, v12
	s_add_i32 s33, s31, s11
	s_waitcnt lgkmcnt(6)
	v_fma_f32 v13, -v11, v55, v13
	v_fma_f32 v12, -v4, v52, v12
	s_lshl_b32 s33, s33, 2
	s_waitcnt lgkmcnt(5)
	v_fma_f32 v13, -v10, v57, v13
	v_fma_f32 v12, -v11, v54, v12
	v_mov_b32_e32 v26, s33
	s_add_i32 s33, s31, s12
	s_waitcnt lgkmcnt(4)
	v_fma_f32 v13, -v9, v59, v13
	v_fma_f32 v12, -v10, v56, v12
	s_lshl_b32 s33, s33, 2
	s_waitcnt lgkmcnt(3)
	v_fma_f32 v13, -v8, v61, v13
	ds_read_b32 v27, v27
	v_fma_f32 v12, -v9, v58, v12
	v_mov_b32_e32 v32, s33
	s_add_i32 s33, s31, s9
	s_waitcnt lgkmcnt(3)
	v_fma_f32 v13, -v15, v63, v13
	v_fma_f32 v12, -v8, v60, v12
	s_lshl_b32 s33, s33, 2
	s_waitcnt lgkmcnt(2)
	v_fma_f32 v13, -v14, v65, v13
	v_fma_f32 v12, -v15, v62, v12
	v_mov_b32_e32 v34, s33
	s_add_i32 s33, s31, s13
	s_waitcnt lgkmcnt(1)
	v_mul_f32_e32 v13, v67, v13
	v_fma_f32 v12, -v14, v64, v12
	s_lshl_b32 s33, s33, 2
	v_fma_f32 v12, -v13, v66, v12
	v_mov_b32_e32 v36, s33
	s_waitcnt lgkmcnt(0)
	v_mul_f32_e32 v12, v27, v12
	ds_read2_b32 v[26:27], v26 offset1:1
	ds_read2_b32 v[32:33], v32 offset1:1
	;; [unrolled: 1-line block ×4, first 2 shown]
	s_add_i32 s33, s31, s14
	s_lshl_b32 s33, s33, 2
	s_waitcnt lgkmcnt(3)
	v_fma_f32 v23, -v19, v27, v23
	v_mov_b32_e32 v27, s33
	s_add_i32 s33, s31, s15
	s_lshl_b32 s33, s33, 2
	s_waitcnt lgkmcnt(2)
	v_fma_f32 v23, -v18, v33, v23
	v_mov_b32_e32 v33, s33
	s_add_i32 s33, s31, s17
	s_lshl_b32 s33, s33, 2
	s_waitcnt lgkmcnt(1)
	v_fma_f32 v23, -v17, v35, v23
	v_mov_b32_e32 v35, s33
	s_add_i32 s33, s31, s19
	global_store_dwordx4 v[24:25], v[12:15], off offset:-76
	s_lshl_b32 s33, s33, 2
	ds_read2_b32 v[38:39], v27 offset1:1
	ds_read2_b32 v[40:41], v33 offset1:1
	;; [unrolled: 1-line block ×3, first 2 shown]
	v_mov_b32_e32 v27, s33
	s_add_i32 s33, s31, s20
	s_lshl_b32 s33, s33, 2
	ds_read2_b32 v[44:45], v27 offset1:1
	v_mov_b32_e32 v27, s33
	s_add_i32 s33, s31, s22
	s_lshl_b32 s33, s33, 2
	v_mov_b32_e32 v33, s33
	s_add_i32 s33, s31, s21
	s_lshl_b32 s33, s33, 2
	;; [unrolled: 3-line block ×3, first 2 shown]
	s_waitcnt lgkmcnt(4)
	v_fma_f32 v23, -v16, v37, v23
	v_mov_b32_e32 v37, s33
	s_add_i32 s33, s31, s24
	s_lshl_b32 s33, s33, 2
	ds_read2_b32 v[46:47], v27 offset1:1
	ds_read2_b32 v[48:49], v33 offset1:1
	;; [unrolled: 1-line block ×4, first 2 shown]
	v_mov_b32_e32 v27, s33
	s_add_i32 s33, s31, s25
	s_lshl_b32 s33, s33, 2
	v_mov_b32_e32 v33, s33
	s_add_i32 s33, s31, s26
	s_lshl_b32 s33, s33, 2
	;; [unrolled: 3-line block ×3, first 2 shown]
	ds_read2_b32 v[54:55], v27 offset1:1
	ds_read2_b32 v[56:57], v33 offset1:1
	ds_read2_b32 v[58:59], v35 offset1:1
	v_mov_b32_e32 v27, s33
	s_add_i32 s33, s31, s28
	v_fma_f32 v22, -v19, v26, v22
	s_lshl_b32 s33, s33, 2
	v_fma_f32 v22, -v18, v32, v22
	ds_read2_b32 v[60:61], v27 offset1:1
	v_mov_b32_e32 v27, s33
	s_add_i32 s33, s31, s30
	v_fma_f32 v22, -v17, v34, v22
	s_waitcnt lgkmcnt(11)
	v_fma_f32 v23, -v3, v39, v23
	s_lshl_b32 s33, s33, 2
	v_fma_f32 v22, -v16, v36, v22
	s_waitcnt lgkmcnt(10)
	v_fma_f32 v23, -v2, v41, v23
	v_mov_b32_e32 v33, s33
	s_add_i32 s33, s31, s29
	v_fma_f32 v22, -v3, v38, v22
	s_waitcnt lgkmcnt(9)
	v_fma_f32 v23, -v1, v43, v23
	s_lshl_b32 s33, s33, 2
	v_fma_f32 v22, -v2, v40, v22
	s_waitcnt lgkmcnt(8)
	v_fma_f32 v23, -v0, v45, v23
	v_mov_b32_e32 v35, s33
	s_add_i32 s33, s11, 0xfffffdec
	v_fma_f32 v22, -v1, v42, v22
	s_waitcnt lgkmcnt(7)
	v_fma_f32 v23, -v7, v47, v23
	s_add_i32 s34, s31, s33
	v_fma_f32 v22, -v0, v44, v22
	s_waitcnt lgkmcnt(6)
	v_fma_f32 v23, -v6, v49, v23
	s_lshl_b32 s34, s34, 2
	v_fma_f32 v22, -v7, v46, v22
	s_waitcnt lgkmcnt(5)
	v_fma_f32 v23, -v5, v51, v23
	v_mov_b32_e32 v37, s34
	s_add_i32 s34, s11, 0xfffffdd0
	v_fma_f32 v22, -v6, v48, v22
	s_waitcnt lgkmcnt(4)
	v_fma_f32 v23, -v4, v53, v23
	s_add_i32 s31, s31, s34
	v_fma_f32 v22, -v5, v50, v22
	s_waitcnt lgkmcnt(3)
	v_fma_f32 v23, -v11, v55, v23
	s_lshl_b32 s31, s31, 2
	v_fma_f32 v22, -v4, v52, v22
	s_waitcnt lgkmcnt(2)
	v_fma_f32 v23, -v10, v57, v23
	ds_read2_b32 v[62:63], v27 offset1:1
	ds_read2_b32 v[64:65], v33 offset1:1
	;; [unrolled: 1-line block ×4, first 2 shown]
	v_mov_b32_e32 v27, s31
	s_add_i32 s31, s7, 0xfffff67c
	v_fma_f32 v22, -v11, v54, v22
	s_waitcnt lgkmcnt(5)
	v_fma_f32 v23, -v9, v59, v23
	v_mov_b32_e32 v33, s31
	s_sub_i32 s31, s8, 23
	v_fma_f32 v22, -v10, v56, v22
	s_waitcnt lgkmcnt(4)
	v_fma_f32 v23, -v8, v61, v23
	s_add_i32 s11, s31, s11
	ds_read2_b32 v[70:71], v27 offset1:1
	v_fma_f32 v22, -v9, v58, v22
	s_add_i32 s9, s31, s9
	s_waitcnt lgkmcnt(4)
	v_fma_f32 v23, -v15, v63, v23
	s_lshl_b32 s11, s11, 2
	v_fma_f32 v22, -v8, v60, v22
	s_lshl_b32 s9, s9, 2
	s_waitcnt lgkmcnt(3)
	v_fma_f32 v23, -v14, v65, v23
	v_mov_b32_e32 v35, s11
	s_add_i32 s11, s31, s12
	v_fma_f32 v22, -v15, v62, v22
	v_mov_b32_e32 v26, s9
	s_add_i32 s9, s31, s13
	s_waitcnt lgkmcnt(2)
	v_fma_f32 v23, -v13, v67, v23
	s_lshl_b32 s11, s11, 2
	v_fma_f32 v22, -v14, v64, v22
	s_lshl_b32 s9, s9, 2
	s_waitcnt lgkmcnt(1)
	v_fma_f32 v23, -v12, v69, v23
	v_mov_b32_e32 v27, s11
	ds_read_b32 v33, v33
	ds_read2_b32 v[72:73], v35 offset1:1
	ds_read2_b32 v[74:75], v27 offset1:1
	v_fma_f32 v22, -v13, v66, v22
	v_mov_b32_e32 v32, s9
	s_add_i32 s9, s31, s14
	s_waitcnt lgkmcnt(3)
	v_mul_f32_e32 v23, v71, v23
	v_fma_f32 v22, -v12, v68, v22
	s_lshl_b32 s9, s9, 2
	v_fma_f32 v22, -v23, v70, v22
	v_mov_b32_e32 v34, s9
	s_add_i32 s9, s31, s15
	s_waitcnt lgkmcnt(2)
	v_mul_f32_e32 v22, v33, v22
	s_lshl_b32 s9, s9, 2
	ds_read2_b32 v[26:27], v26 offset1:1
	ds_read2_b32 v[32:33], v32 offset1:1
	;; [unrolled: 1-line block ×3, first 2 shown]
	s_waitcnt lgkmcnt(4)
	v_fma_f32 v21, -v19, v73, v21
	v_mov_b32_e32 v36, s9
	s_add_i32 s9, s31, s17
	s_waitcnt lgkmcnt(3)
	v_fma_f32 v21, -v18, v75, v21
	s_lshl_b32 s9, s9, 2
	s_waitcnt lgkmcnt(2)
	v_fma_f32 v21, -v17, v27, v21
	v_mov_b32_e32 v27, s9
	s_add_i32 s9, s31, s19
	s_lshl_b32 s9, s9, 2
	s_waitcnt lgkmcnt(1)
	v_fma_f32 v21, -v16, v33, v21
	v_mov_b32_e32 v33, s9
	s_add_i32 s9, s31, s20
	;; [unrolled: 5-line block ×3, first 2 shown]
	s_lshl_b32 s9, s9, 2
	v_mov_b32_e32 v44, s9
	s_add_i32 s9, s31, s21
	s_lshl_b32 s9, s9, 2
	ds_read2_b32 v[36:37], v36 offset1:1
	ds_read2_b32 v[38:39], v27 offset1:1
	;; [unrolled: 1-line block ×5, first 2 shown]
	v_mov_b32_e32 v27, s9
	s_add_i32 s9, s31, s23
	s_lshl_b32 s9, s9, 2
	v_mov_b32_e32 v33, s9
	s_add_i32 s9, s31, s24
	s_lshl_b32 s9, s9, 2
	;; [unrolled: 3-line block ×3, first 2 shown]
	ds_read2_b32 v[46:47], v27 offset1:1
	ds_read2_b32 v[48:49], v33 offset1:1
	;; [unrolled: 1-line block ×3, first 2 shown]
	v_mov_b32_e32 v27, s9
	s_add_i32 s9, s31, s26
	v_fma_f32 v19, -v19, v72, v20
	s_lshl_b32 s9, s9, 2
	v_fma_f32 v18, -v18, v74, v19
	ds_read2_b32 v[52:53], v27 offset1:1
	v_mov_b32_e32 v27, s9
	s_add_i32 s9, s31, s27
	v_fma_f32 v17, -v17, v26, v18
	s_lshl_b32 s9, s9, 2
	v_fma_f32 v16, -v16, v32, v17
	s_waitcnt lgkmcnt(8)
	v_fma_f32 v21, -v2, v37, v21
	v_mov_b32_e32 v33, s9
	s_add_i32 s9, s31, s28
	v_fma_f32 v3, -v3, v34, v16
	s_waitcnt lgkmcnt(7)
	v_fma_f32 v21, -v1, v39, v21
	s_lshl_b32 s9, s9, 2
	v_fma_f32 v2, -v2, v36, v3
	s_waitcnt lgkmcnt(6)
	v_fma_f32 v21, -v0, v41, v21
	v_mov_b32_e32 v35, s9
	s_add_i32 s9, s31, s30
	v_fma_f32 v1, -v1, v38, v2
	s_waitcnt lgkmcnt(5)
	;; [unrolled: 9-line block ×3, first 2 shown]
	v_fma_f32 v21, -v5, v47, v21
	s_lshl_b32 s9, s9, 2
	v_fma_f32 v0, -v6, v44, v0
	s_waitcnt lgkmcnt(2)
	v_fma_f32 v21, -v4, v49, v21
	ds_read2_b32 v[54:55], v27 offset1:1
	ds_read2_b32 v[56:57], v33 offset1:1
	;; [unrolled: 1-line block ×4, first 2 shown]
	v_mov_b32_e32 v27, s9
	s_add_i32 s9, s31, s33
	v_fma_f32 v0, -v5, v46, v0
	s_waitcnt lgkmcnt(5)
	v_fma_f32 v21, -v11, v51, v21
	s_lshl_b32 s9, s9, 2
	s_add_i32 s31, s31, s34
	v_fma_f32 v0, -v4, v48, v0
	s_waitcnt lgkmcnt(4)
	v_fma_f32 v21, -v10, v53, v21
	v_mov_b32_e32 v33, s9
	s_lshl_b32 s9, s31, 2
	v_fma_f32 v0, -v11, v50, v0
	s_waitcnt lgkmcnt(3)
	v_fma_f32 v21, -v9, v55, v21
	s_add_i32 s11, s9, 0xffffff90
	v_fma_f32 v0, -v10, v52, v0
	s_waitcnt lgkmcnt(2)
	v_fma_f32 v21, -v8, v57, v21
	v_mov_b32_e32 v35, s9
	ds_read2_b32 v[62:63], v27 offset1:1
	ds_read2_b32 v[64:65], v33 offset1:1
	;; [unrolled: 1-line block ×3, first 2 shown]
	v_mov_b32_e32 v27, s11
	s_addk_i32 s9, 0xff20
	v_fma_f32 v0, -v9, v54, v0
	s_waitcnt lgkmcnt(4)
	v_fma_f32 v21, -v15, v59, v21
	ds_read2_b32 v[68:69], v27 offset1:1
	v_mov_b32_e32 v27, s9
	v_fma_f32 v0, -v8, v56, v0
	s_waitcnt lgkmcnt(4)
	v_fma_f32 v21, -v14, v61, v21
	ds_read2_b32 v[70:71], v27 offset1:1
	s_addk_i32 s7, 0xf594
	v_fma_f32 v0, -v15, v58, v0
	s_waitcnt lgkmcnt(4)
	v_fma_f32 v21, -v13, v63, v21
	v_mov_b32_e32 v27, s7
	v_fma_f32 v0, -v14, v60, v0
	s_waitcnt lgkmcnt(3)
	v_fma_f32 v21, -v12, v65, v21
	ds_read_b32 v27, v27
	v_fma_f32 v0, -v13, v62, v0
	s_waitcnt lgkmcnt(3)
	v_fma_f32 v21, -v23, v67, v21
	v_fma_f32 v0, -v12, v64, v0
	s_waitcnt lgkmcnt(2)
	v_fma_f32 v21, -v22, v69, v21
	v_fma_f32 v0, -v23, v66, v0
	s_waitcnt lgkmcnt(1)
	v_mul_f32_e32 v21, v71, v21
	v_fma_f32 v0, -v22, v68, v0
	v_fma_f32 v0, -v21, v70, v0
	s_waitcnt lgkmcnt(0)
	v_mul_f32_e32 v20, v27, v0
	s_sub_i32 s8, s8, 24
	global_store_dwordx4 v[24:25], v[20:23], off offset:-92
.LBB32_46:
	s_cmp_lt_i32 s8, 0
	s_cbranch_scc1 .LBB32_59
; %bb.47:
	s_bitcmp1_b32 s8, 0
	s_cselect_b64 s[12:13], -1, 0
	s_and_b64 vcc, exec, s[12:13]
	s_mov_b32 s12, s8
	s_cbranch_vccnz .LBB32_52
; %bb.48:
	s_mov_b32 s9, 0
	s_lshl_b64 s[12:13], s[8:9], 2
	v_mov_b32_e32 v1, s13
	v_add_co_u32_e32 v0, vcc, s12, v28
	v_addc_co_u32_e32 v1, vcc, v29, v1, vcc
	global_load_dword v2, v[0:1], off
	s_cmp_le_i32 s6, s8
	s_waitcnt vmcnt(0)
	v_mul_f32_e32 v4, s16, v2
	s_cbranch_scc1 .LBB32_51
; %bb.49:
	s_mul_i32 s7, s18, 0x70
	s_lshl_b32 s9, s8, 2
	s_add_i32 s7, s7, s9
	s_add_i32 s9, s7, 0xffffff90
	s_ashr_i32 s7, s6, 31
	s_lshl_b64 s[12:13], s[6:7], 2
	s_add_u32 s7, s2, s12
	s_addc_u32 s11, s3, s13
	s_add_u32 s7, s7, s4
	s_addc_u32 s11, s11, s5
	;; [unrolled: 2-line block ×3, first 2 shown]
	v_mov_b32_e32 v3, s11
	v_add_co_u32_e32 v2, vcc, s7, v30
	v_addc_co_u32_e32 v3, vcc, v3, v31, vcc
	s_mov_b32 s7, s6
.LBB32_50:                              ; =>This Inner Loop Header: Depth=1
	global_load_dword v5, v[2:3], off
	v_mov_b32_e32 v6, s9
	ds_read_b32 v6, v6
	s_add_i32 s7, s7, -1
	s_addk_i32 s9, 0xff90
	v_add_co_u32_e32 v2, vcc, -4, v2
	v_addc_co_u32_e32 v3, vcc, -1, v3, vcc
	s_cmp_gt_i32 s7, s8
	s_waitcnt vmcnt(0) lgkmcnt(0)
	v_fma_f32 v4, -v5, v6, v4
	s_cbranch_scc1 .LBB32_50
.LBB32_51:
	s_mul_i32 s7, s8, 0x74
	v_mov_b32_e32 v2, s7
	ds_read_b32 v2, v2
	s_add_i32 s12, s8, -1
	s_waitcnt lgkmcnt(0)
	v_mul_f32_e32 v2, v2, v4
	global_store_dword v[0:1], v2, off
.LBB32_52:
	s_cmp_eq_u32 s8, 0
	s_mov_b32 s13, 0
	s_cbranch_scc1 .LBB32_59
; %bb.53:
	s_mul_i32 s7, s18, 0x70
	s_lshl_b32 s8, s12, 2
	s_add_i32 s9, s7, s8
	s_add_i32 s8, s9, 0xffffff90
	s_add_u32 s0, s4, s0
	s_addc_u32 s1, s5, s1
	s_ashr_i32 s7, s6, 31
	v_mov_b32_e32 v0, s1
	v_add_co_u32_e32 v2, vcc, s0, v30
	s_lshl_b64 s[0:1], s[6:7], 2
	s_add_u32 s0, s2, s0
	v_addc_co_u32_e32 v3, vcc, v0, v31, vcc
	s_addc_u32 s1, s3, s1
	s_ashr_i32 s11, s10, 31
	v_add_co_u32_e32 v0, vcc, s0, v2
	s_add_i32 s0, s9, 0xffffff8c
	v_cmp_lt_i64_e64 s[4:5], s[10:11], 28
	s_and_b64 s[4:5], s[4:5], exec
	s_cselect_b32 s5, s11, 0
	s_cselect_b32 s4, s10, 28
	s_lshl_b64 s[4:5], s[4:5], 2
	v_mov_b32_e32 v1, s1
	s_add_u32 s1, s2, s4
	v_addc_co_u32_e32 v1, vcc, v1, v3, vcc
	s_addc_u32 s2, s3, s5
	v_mov_b32_e32 v4, s2
	v_add_co_u32_e32 v2, vcc, s1, v2
	v_addc_co_u32_e32 v3, vcc, v4, v3, vcc
	v_add_co_u32_e32 v2, vcc, -4, v2
	v_addc_co_u32_e32 v3, vcc, -1, v3, vcc
	s_branch .LBB32_55
.LBB32_54:                              ;   in Loop: Header=BB32_55 Depth=1
	s_addk_i32 s1, 0xff8c
	v_mov_b32_e32 v6, s1
	ds_read_b32 v6, v6
	s_add_i32 s1, s12, -2
	s_add_i32 s8, s8, -8
	;; [unrolled: 1-line block ×3, first 2 shown]
	s_cmp_lt_i32 s12, 2
	s_waitcnt lgkmcnt(0)
	v_mul_f32_e32 v6, v6, v8
	s_mov_b32 s12, s1
	global_store_dword v[4:5], v6, off offset:-4
	s_cbranch_scc1 .LBB32_59
.LBB32_55:                              ; =>This Loop Header: Depth=1
                                        ;     Child Loop BB32_56 Depth 2
                                        ;     Child Loop BB32_58 Depth 2
	s_lshl_b64 s[2:3], s[12:13], 2
	v_mov_b32_e32 v5, s3
	v_add_co_u32_e32 v4, vcc, s2, v28
	v_addc_co_u32_e32 v5, vcc, v29, v5, vcc
	global_load_dword v6, v[4:5], off
	v_pk_mov_b32 v[4:5], v[0:1], v[0:1] op_sel:[0,1]
	s_mov_b32 s1, s8
	s_cmp_le_i32 s6, s12
	s_mov_b32 s2, s6
	s_waitcnt vmcnt(0)
	v_mul_f32_e32 v8, s16, v6
	s_cbranch_scc1 .LBB32_57
.LBB32_56:                              ;   Parent Loop BB32_55 Depth=1
                                        ; =>  This Inner Loop Header: Depth=2
	global_load_dword v6, v[4:5], off
	v_mov_b32_e32 v7, s1
	ds_read_b32 v7, v7
	s_add_i32 s2, s2, -1
	s_addk_i32 s1, 0xff90
	v_add_co_u32_e32 v4, vcc, -4, v4
	v_addc_co_u32_e32 v5, vcc, -1, v5, vcc
	s_cmp_gt_i32 s2, s12
	s_waitcnt vmcnt(0) lgkmcnt(0)
	v_fma_f32 v8, -v6, v7, v8
	s_cbranch_scc1 .LBB32_56
.LBB32_57:                              ;   in Loop: Header=BB32_55 Depth=1
	s_add_i32 s2, s12, -1
	s_mov_b32 s3, s13
	s_lshl_b64 s[2:3], s[2:3], 2
	v_mov_b32_e32 v5, s3
	v_add_co_u32_e32 v4, vcc, s2, v28
	v_addc_co_u32_e32 v5, vcc, v29, v5, vcc
	global_load_dword v9, v[4:5], off
	s_mul_i32 s1, s12, 0x74
	v_mov_b32_e32 v4, s1
	ds_read_b32 v10, v4
	s_ashr_i32 s5, s12, 31
	s_mov_b32 s4, s12
	s_lshl_b64 s[4:5], s[4:5], 2
	v_mov_b32_e32 v5, s5
	v_add_co_u32_e32 v4, vcc, s4, v28
	v_addc_co_u32_e32 v5, vcc, v29, v5, vcc
	s_waitcnt lgkmcnt(0)
	v_mul_f32_e32 v8, v10, v8
	v_pk_mov_b32 v[6:7], v[2:3], v[2:3] op_sel:[0,1]
	s_mov_b32 s2, s0
	s_cmp_le_i32 s18, s12
	global_store_dword v[4:5], v8, off
	s_mov_b32 s3, s18
	s_waitcnt vmcnt(1)
	v_mul_f32_e32 v8, s16, v9
	s_cbranch_scc1 .LBB32_54
.LBB32_58:                              ;   Parent Loop BB32_55 Depth=1
                                        ; =>  This Inner Loop Header: Depth=2
	global_load_dword v9, v[6:7], off
	v_mov_b32_e32 v10, s2
	ds_read_b32 v10, v10
	s_add_i32 s3, s3, -1
	s_addk_i32 s2, 0xff90
	v_add_co_u32_e32 v6, vcc, -4, v6
	v_addc_co_u32_e32 v7, vcc, -1, v7, vcc
	s_cmp_gt_i32 s3, s12
	s_waitcnt vmcnt(0) lgkmcnt(0)
	v_fma_f32 v8, -v9, v10, v8
	s_cbranch_scc1 .LBB32_58
	s_branch .LBB32_54
.LBB32_59:
	s_endpgm
	.section	.rodata,"a",@progbits
	.p2align	6, 0x0
	.amdhsa_kernel _ZL30rocblas_trsm_small_left_deviceILi28ELi28ELb0EffPKfPfEv13rocblas_fill_18rocblas_operation_17rocblas_diagonal_iiT3_T4_lilT5_lili
		.amdhsa_group_segment_fixed_size 3136
		.amdhsa_private_segment_fixed_size 0
		.amdhsa_kernarg_size 352
		.amdhsa_user_sgpr_count 6
		.amdhsa_user_sgpr_private_segment_buffer 1
		.amdhsa_user_sgpr_dispatch_ptr 0
		.amdhsa_user_sgpr_queue_ptr 0
		.amdhsa_user_sgpr_kernarg_segment_ptr 1
		.amdhsa_user_sgpr_dispatch_id 0
		.amdhsa_user_sgpr_flat_scratch_init 0
		.amdhsa_user_sgpr_kernarg_preload_length 0
		.amdhsa_user_sgpr_kernarg_preload_offset 0
		.amdhsa_user_sgpr_private_segment_size 0
		.amdhsa_uses_dynamic_stack 0
		.amdhsa_system_sgpr_private_segment_wavefront_offset 0
		.amdhsa_system_sgpr_workgroup_id_x 1
		.amdhsa_system_sgpr_workgroup_id_y 0
		.amdhsa_system_sgpr_workgroup_id_z 1
		.amdhsa_system_sgpr_workgroup_info 0
		.amdhsa_system_vgpr_workitem_id 0
		.amdhsa_next_free_vgpr 86
		.amdhsa_next_free_sgpr 43
		.amdhsa_accum_offset 88
		.amdhsa_reserve_vcc 1
		.amdhsa_reserve_flat_scratch 0
		.amdhsa_float_round_mode_32 0
		.amdhsa_float_round_mode_16_64 0
		.amdhsa_float_denorm_mode_32 3
		.amdhsa_float_denorm_mode_16_64 3
		.amdhsa_dx10_clamp 1
		.amdhsa_ieee_mode 1
		.amdhsa_fp16_overflow 0
		.amdhsa_tg_split 0
		.amdhsa_exception_fp_ieee_invalid_op 0
		.amdhsa_exception_fp_denorm_src 0
		.amdhsa_exception_fp_ieee_div_zero 0
		.amdhsa_exception_fp_ieee_overflow 0
		.amdhsa_exception_fp_ieee_underflow 0
		.amdhsa_exception_fp_ieee_inexact 0
		.amdhsa_exception_int_div_zero 0
	.end_amdhsa_kernel
	.section	.text._ZL30rocblas_trsm_small_left_deviceILi28ELi28ELb0EffPKfPfEv13rocblas_fill_18rocblas_operation_17rocblas_diagonal_iiT3_T4_lilT5_lili,"axG",@progbits,_ZL30rocblas_trsm_small_left_deviceILi28ELi28ELb0EffPKfPfEv13rocblas_fill_18rocblas_operation_17rocblas_diagonal_iiT3_T4_lilT5_lili,comdat
.Lfunc_end32:
	.size	_ZL30rocblas_trsm_small_left_deviceILi28ELi28ELb0EffPKfPfEv13rocblas_fill_18rocblas_operation_17rocblas_diagonal_iiT3_T4_lilT5_lili, .Lfunc_end32-_ZL30rocblas_trsm_small_left_deviceILi28ELi28ELb0EffPKfPfEv13rocblas_fill_18rocblas_operation_17rocblas_diagonal_iiT3_T4_lilT5_lili
                                        ; -- End function
	.section	.AMDGPU.csdata,"",@progbits
; Kernel info:
; codeLenInByte = 26704
; NumSgprs: 47
; NumVgprs: 86
; NumAgprs: 0
; TotalNumVgprs: 86
; ScratchSize: 0
; MemoryBound: 1
; FloatMode: 240
; IeeeMode: 1
; LDSByteSize: 3136 bytes/workgroup (compile time only)
; SGPRBlocks: 5
; VGPRBlocks: 10
; NumSGPRsForWavesPerEU: 47
; NumVGPRsForWavesPerEU: 86
; AccumOffset: 88
; Occupancy: 5
; WaveLimiterHint : 0
; COMPUTE_PGM_RSRC2:SCRATCH_EN: 0
; COMPUTE_PGM_RSRC2:USER_SGPR: 6
; COMPUTE_PGM_RSRC2:TRAP_HANDLER: 0
; COMPUTE_PGM_RSRC2:TGID_X_EN: 1
; COMPUTE_PGM_RSRC2:TGID_Y_EN: 0
; COMPUTE_PGM_RSRC2:TGID_Z_EN: 1
; COMPUTE_PGM_RSRC2:TIDIG_COMP_CNT: 0
; COMPUTE_PGM_RSRC3_GFX90A:ACCUM_OFFSET: 21
; COMPUTE_PGM_RSRC3_GFX90A:TG_SPLIT: 0
	.section	.text._ZL38rocblas_trsm_small_left_device_sharedBILi28ELi28ELb1EffPKfPfEv13rocblas_fill_18rocblas_operation_17rocblas_diagonal_iiT3_T4_lilT5_lili,"axG",@progbits,_ZL38rocblas_trsm_small_left_device_sharedBILi28ELi28ELb1EffPKfPfEv13rocblas_fill_18rocblas_operation_17rocblas_diagonal_iiT3_T4_lilT5_lili,comdat
	.globl	_ZL38rocblas_trsm_small_left_device_sharedBILi28ELi28ELb1EffPKfPfEv13rocblas_fill_18rocblas_operation_17rocblas_diagonal_iiT3_T4_lilT5_lili ; -- Begin function _ZL38rocblas_trsm_small_left_device_sharedBILi28ELi28ELb1EffPKfPfEv13rocblas_fill_18rocblas_operation_17rocblas_diagonal_iiT3_T4_lilT5_lili
	.p2align	8
	.type	_ZL38rocblas_trsm_small_left_device_sharedBILi28ELi28ELb1EffPKfPfEv13rocblas_fill_18rocblas_operation_17rocblas_diagonal_iiT3_T4_lilT5_lili,@function
_ZL38rocblas_trsm_small_left_device_sharedBILi28ELi28ELb1EffPKfPfEv13rocblas_fill_18rocblas_operation_17rocblas_diagonal_iiT3_T4_lilT5_lili: ; @_ZL38rocblas_trsm_small_left_device_sharedBILi28ELi28ELb1EffPKfPfEv13rocblas_fill_18rocblas_operation_17rocblas_diagonal_iiT3_T4_lilT5_lili
; %bb.0:
	s_load_dwordx4 s[8:11], s[4:5], 0x4
	s_load_dword s18, s[4:5], 0x14
	s_load_dwordx4 s[0:3], s[4:5], 0x30
	s_load_dwordx2 s[16:17], s[4:5], 0x40
	s_mov_b32 s27, 0
	s_waitcnt lgkmcnt(0)
	s_min_i32 s26, s10, 28
	v_cmp_gt_i32_e32 vcc, s26, v0
	s_and_saveexec_b64 s[20:21], vcc
	s_cbranch_execz .LBB33_15
; %bb.1:
	s_load_dword s22, s[4:5], 0x28
	s_load_dwordx4 s[12:15], s[4:5], 0x18
	s_cmp_gt_u32 s26, 1
	s_cselect_b64 s[24:25], -1, 0
	s_mov_b32 s19, 1
	s_waitcnt lgkmcnt(0)
	s_cmp_eq_u32 s22, 1
	s_cselect_b64 s[28:29], -1, 0
	s_and_b64 s[28:29], s[24:25], s[28:29]
	s_mov_b64 s[24:25], -1
	s_and_b64 vcc, exec, s[28:29]
	s_cbranch_vccz .LBB33_9
; %bb.2:
	s_add_i32 s24, s26, -2
	s_lshr_b32 s25, s24, 1
	s_add_i32 s25, s25, 1
	s_mov_b32 s23, 0
	s_cmp_lt_u32 s24, 14
	s_mov_b32 s24, s23
	s_cbranch_scc1 .LBB33_5
; %bb.3:
	s_mul_i32 s19, s1, s7
	s_mul_hi_u32 s23, s0, s7
	s_add_i32 s29, s23, s19
	s_mul_i32 s28, s0, s7
	s_and_b32 s27, s25, -8
	s_lshl_b64 s[28:29], s[28:29], 2
	s_lshl_b64 s[30:31], s[14:15], 2
	s_add_u32 s19, s28, s30
	s_addc_u32 s23, s29, s31
	s_add_u32 s19, s12, s19
	v_lshlrev_b32_e32 v1, 2, v0
	s_addc_u32 s23, s13, s23
	v_mov_b32_e32 v2, s23
	v_add_co_u32_e32 v1, vcc, s19, v1
	v_addc_co_u32_e32 v3, vcc, 0, v2, vcc
	v_add_co_u32_e32 v2, vcc, 56, v1
	v_addc_co_u32_e32 v3, vcc, 0, v3, vcc
	s_mov_b32 s19, 1
	s_mov_b32 s24, 0
	;; [unrolled: 1-line block ×3, first 2 shown]
.LBB33_4:                               ; =>This Inner Loop Header: Depth=1
	global_load_dwordx4 v[4:7], v[2:3], off offset:-56
	global_load_dwordx4 v[8:11], v[2:3], off offset:-40
	;; [unrolled: 1-line block ×4, first 2 shown]
	s_mul_i32 s28, s19, 28
	s_mul_i32 s29, s23, 28
	s_add_i32 s24, s24, 16
	s_add_i32 s19, s19, 16
	;; [unrolled: 1-line block ×3, first 2 shown]
	s_add_i32 s27, s27, -8
	v_add_co_u32_e32 v2, vcc, 64, v2
	v_add_lshl_u32 v1, s29, v0, 2
	v_add_lshl_u32 v20, s28, v0, 2
	s_add_i32 s30, s28, 56
	s_add_i32 s31, s29, 56
	;; [unrolled: 1-line block ×12, first 2 shown]
	s_addk_i32 s28, 0x188
	s_addk_i32 s29, 0x188
	v_addc_co_u32_e32 v3, vcc, 0, v3, vcc
	s_cmp_lg_u32 s27, 0
	v_add_lshl_u32 v21, s31, v0, 2
	v_add_lshl_u32 v22, s30, v0, 2
	v_add_lshl_u32 v23, s34, v0, 2
	v_add_lshl_u32 v24, s33, v0, 2
	v_add_lshl_u32 v25, s36, v0, 2
	v_add_lshl_u32 v26, s35, v0, 2
	v_add_lshl_u32 v27, s38, v0, 2
	v_add_lshl_u32 v28, s37, v0, 2
	v_add_lshl_u32 v29, s40, v0, 2
	v_add_lshl_u32 v30, s39, v0, 2
	v_add_lshl_u32 v31, s42, v0, 2
	v_add_lshl_u32 v32, s41, v0, 2
	v_add_lshl_u32 v33, s29, v0, 2
	v_add_lshl_u32 v34, s28, v0, 2
	s_waitcnt vmcnt(3)
	ds_write_b32 v1, v4
	ds_write_b32 v20, v5
	ds_write_b32 v21, v6
	ds_write_b32 v22, v7
	s_waitcnt vmcnt(2)
	ds_write_b32 v23, v8
	ds_write_b32 v24, v9
	ds_write_b32 v25, v10
	ds_write_b32 v26, v11
	s_waitcnt vmcnt(1)
	ds_write_b32 v27, v12
	ds_write_b32 v28, v13
	ds_write_b32 v29, v14
	ds_write_b32 v30, v15
	s_waitcnt vmcnt(0)
	ds_write_b32 v31, v16
	ds_write_b32 v32, v17
	ds_write_b32 v33, v18
	ds_write_b32 v34, v19
	s_cbranch_scc1 .LBB33_4
.LBB33_5:
	s_and_b32 s27, s25, 7
	s_cmp_eq_u32 s27, 0
	s_mov_b32 s25, 0
	s_cbranch_scc1 .LBB33_8
; %bb.6:
	s_mul_i32 s28, s1, s7
	s_mul_hi_u32 s29, s0, s7
	s_add_i32 s29, s29, s28
	s_mul_i32 s28, s0, s7
	s_lshl_b64 s[28:29], s[28:29], 2
	s_lshl_b64 s[30:31], s[14:15], 2
	s_add_u32 s28, s28, s30
	s_addc_u32 s29, s29, s31
	s_lshl_b64 s[24:25], s[24:25], 2
	s_add_u32 s24, s12, s24
	s_addc_u32 s25, s13, s25
	s_add_u32 s24, s24, s28
	v_lshlrev_b32_e32 v1, 2, v0
	s_addc_u32 s25, s25, s29
	v_mov_b32_e32 v3, s25
	v_add_co_u32_e32 v2, vcc, s24, v1
	v_addc_co_u32_e32 v3, vcc, 0, v3, vcc
	s_lshl_b32 s24, s27, 3
.LBB33_7:                               ; =>This Inner Loop Header: Depth=1
	global_load_dwordx2 v[4:5], v[2:3], off
	s_mul_i32 s25, s19, 28
	s_mul_i32 s27, s23, 28
	s_add_i32 s19, s19, 2
	s_add_i32 s23, s23, 2
	v_add_co_u32_e32 v2, vcc, 8, v2
	s_add_i32 s24, s24, -8
	v_addc_co_u32_e32 v3, vcc, 0, v3, vcc
	v_add_lshl_u32 v1, s27, v0, 2
	s_cmp_lg_u32 s24, 0
	v_add_lshl_u32 v6, s25, v0, 2
	s_waitcnt vmcnt(0)
	ds_write_b32 v1, v4
	ds_write_b32 v6, v5
	s_cbranch_scc1 .LBB33_7
.LBB33_8:
	s_and_b32 s27, s26, -2
	s_cmp_lg_u32 s26, s27
	s_cselect_b64 s[24:25], -1, 0
.LBB33_9:
	s_and_b64 vcc, exec, s[24:25]
	s_cbranch_vccz .LBB33_12
; %bb.10:
	s_ashr_i32 s23, s22, 31
	s_mul_i32 s1, s1, s7
	s_mul_hi_u32 s19, s0, s7
	s_add_i32 s1, s19, s1
	s_mul_hi_u32 s19, s22, s27
	s_mul_i32 s24, s23, s27
	s_mul_i32 s0, s0, s7
	s_add_i32 s25, s19, s24
	s_mul_i32 s24, s22, s27
	s_lshl_b64 s[0:1], s[0:1], 2
	s_lshl_b64 s[24:25], s[24:25], 2
	s_add_u32 s19, s0, s24
	s_addc_u32 s24, s1, s25
	s_lshl_b64 s[0:1], s[14:15], 2
	s_add_u32 s0, s19, s0
	s_addc_u32 s1, s24, s1
	s_add_u32 s0, s12, s0
	v_lshlrev_b32_e32 v1, 2, v0
	s_addc_u32 s1, s13, s1
	v_mov_b32_e32 v3, s1
	v_add_co_u32_e32 v2, vcc, s0, v1
	s_lshl_b64 s[0:1], s[22:23], 2
	s_mul_i32 s13, s27, 0x70
	v_addc_co_u32_e32 v3, vcc, 0, v3, vcc
	s_sub_i32 s12, s26, s27
	v_lshl_add_u32 v1, v0, 2, s13
	v_mov_b32_e32 v4, s1
.LBB33_11:                              ; =>This Inner Loop Header: Depth=1
	global_load_dword v5, v[2:3], off
	v_add_co_u32_e32 v2, vcc, s0, v2
	s_add_i32 s12, s12, -1
	v_addc_co_u32_e32 v3, vcc, v3, v4, vcc
	s_cmp_eq_u32 s12, 0
	s_waitcnt vmcnt(0)
	ds_write_b32 v1, v5
	v_add_u32_e32 v1, 0x70, v1
	s_cbranch_scc0 .LBB33_11
.LBB33_12:
	v_mul_u32_u24_e32 v1, 29, v0
	s_cmpk_lg_i32 s9, 0x84
	v_lshlrev_b32_e32 v1, 2, v1
	v_mov_b32_e32 v2, 1.0
	s_cbranch_scc0 .LBB33_14
; %bb.13:
	ds_read_b32 v2, v1
	s_waitcnt lgkmcnt(0)
	v_div_scale_f32 v3, s[0:1], v2, v2, 1.0
	v_rcp_f32_e32 v4, v3
	v_div_scale_f32 v5, vcc, 1.0, v2, 1.0
	v_fma_f32 v6, -v3, v4, 1.0
	v_fmac_f32_e32 v4, v6, v4
	v_mul_f32_e32 v6, v5, v4
	v_fma_f32 v7, -v3, v6, v5
	v_fmac_f32_e32 v6, v7, v4
	v_fma_f32 v3, -v3, v6, v5
	v_div_fmas_f32 v3, v3, v4, v6
	v_div_fixup_f32 v2, v3, v2, 1.0
.LBB33_14:
	ds_write_b32 v1, v2
.LBB33_15:
	s_or_b64 exec, exec, s[20:21]
	s_load_dword s9, s[4:5], 0x60
	s_load_dword s22, s[4:5], 0x48
	s_load_dwordx2 s[0:1], s[4:5], 0x50
	s_mul_i32 s4, s6, 0xffffffe4
	s_add_i32 s4, s4, s11
	s_waitcnt lgkmcnt(0)
	s_add_i32 s9, s9, -1
	s_ashr_i32 s11, s22, 31
	s_cmp_ge_u32 s6, s9
	s_cselect_b32 s9, s4, 28
	s_mul_i32 s4, s6, 28
	s_ashr_i32 s5, s4, 31
	s_cmp_gt_i32 s10, 0
	v_cmp_gt_i32_e32 vcc, s9, v0
	s_cselect_b64 s[12:13], -1, 0
	s_mov_b32 s9, 0
	s_and_b64 s[12:13], vcc, s[12:13]
	s_and_saveexec_b64 s[14:15], s[12:13]
	s_cbranch_execz .LBB33_27
; %bb.16:
	s_cmp_lt_i32 s10, 2
	s_mov_b64 s[20:21], -1
	s_cbranch_scc1 .LBB33_24
; %bb.17:
	s_add_i32 s20, s26, -2
	s_lshr_b32 s21, s20, 1
	s_add_i32 s21, s21, 1
	s_mov_b32 s19, s18
	s_mov_b32 s6, 1
	s_cmp_lt_u32 s20, 14
	s_mov_b32 s20, s9
	s_cbranch_scc1 .LBB33_20
; %bb.18:
	s_mul_i32 s9, s1, s7
	s_mul_hi_u32 s20, s0, s7
	s_add_i32 s25, s20, s9
	s_mul_i32 s24, s0, s7
	s_lshl_b64 s[28:29], s[4:5], 2
	v_lshlrev_b32_e32 v1, 2, v0
	s_and_b32 s23, s21, -8
	s_lshl_b64 s[24:25], s[24:25], 2
	v_mov_b32_e32 v2, s29
	v_add_co_u32_e32 v1, vcc, s28, v1
	s_lshl_b64 s[28:29], s[16:17], 2
	s_add_u32 s9, s2, s28
	s_addc_u32 s20, s3, s29
	s_add_u32 s24, s9, s24
	s_addc_u32 s25, s20, s25
	v_addc_co_u32_e32 v4, vcc, 0, v2, vcc
	v_pk_mov_b32 v[2:3], s[24:25], s[24:25] op_sel:[0,1]
	v_mad_u64_u32 v[2:3], s[24:25], v1, s22, v[2:3]
	v_mul_lo_u32 v1, v1, s11
	v_mul_lo_u32 v4, v4, s22
	v_add3_u32 v1, v4, v3, v1
	v_add_co_u32_e32 v2, vcc, 56, v2
	v_addc_co_u32_e32 v3, vcc, 0, v1, vcc
	s_mov_b32 s20, 0
	s_mov_b32 s9, 0
.LBB33_19:                              ; =>This Inner Loop Header: Depth=1
	global_load_dwordx4 v[4:7], v[2:3], off offset:-56
	global_load_dwordx4 v[8:11], v[2:3], off offset:-40
	;; [unrolled: 1-line block ×4, first 2 shown]
	s_mul_i32 s24, s6, 28
	s_mul_i32 s25, s9, 28
	s_add_i32 s20, s20, 16
	s_add_i32 s6, s6, 16
	;; [unrolled: 1-line block ×3, first 2 shown]
	s_add_i32 s23, s23, -8
	v_add_co_u32_e32 v2, vcc, 64, v2
	v_add_lshl_u32 v1, s25, v0, 2
	v_add_lshl_u32 v20, s24, v0, 2
	s_add_i32 s27, s24, 56
	s_add_i32 s28, s25, 56
	;; [unrolled: 1-line block ×12, first 2 shown]
	s_addk_i32 s24, 0x188
	s_addk_i32 s25, 0x188
	v_addc_co_u32_e32 v3, vcc, 0, v3, vcc
	s_cmp_lg_u32 s23, 0
	v_add_lshl_u32 v21, s28, v0, 2
	v_add_lshl_u32 v22, s27, v0, 2
	;; [unrolled: 1-line block ×14, first 2 shown]
	s_waitcnt vmcnt(3)
	v_pk_mul_f32 v[4:5], v[4:5], s[18:19]
	v_pk_mul_f32 v[6:7], v[6:7], s[18:19]
	s_waitcnt vmcnt(2)
	v_pk_mul_f32 v[8:9], v[8:9], s[18:19]
	v_pk_mul_f32 v[10:11], v[10:11], s[18:19]
	;; [unrolled: 3-line block ×4, first 2 shown]
	ds_write_b32 v1, v4 offset:3136
	ds_write_b32 v20, v5 offset:3136
	;; [unrolled: 1-line block ×16, first 2 shown]
	s_cbranch_scc1 .LBB33_19
.LBB33_20:
	s_and_b32 s23, s21, 7
	s_cmp_eq_u32 s23, 0
	s_mov_b32 s21, 0
	s_cbranch_scc1 .LBB33_23
; %bb.21:
	s_mul_i32 s24, s1, s7
	s_mul_hi_u32 s25, s0, s7
	s_add_i32 s25, s25, s24
	s_mul_i32 s24, s0, s7
	s_lshl_b64 s[28:29], s[4:5], 2
	v_lshlrev_b32_e32 v1, 2, v0
	s_lshl_b64 s[24:25], s[24:25], 2
	v_mov_b32_e32 v2, s29
	v_add_co_u32_e32 v1, vcc, s28, v1
	s_lshl_b64 s[28:29], s[16:17], 2
	s_lshl_b64 s[20:21], s[20:21], 2
	s_add_u32 s20, s2, s20
	s_addc_u32 s21, s3, s21
	s_add_u32 s20, s20, s28
	s_addc_u32 s21, s21, s29
	;; [unrolled: 2-line block ×3, first 2 shown]
	v_addc_co_u32_e32 v4, vcc, 0, v2, vcc
	v_pk_mov_b32 v[2:3], s[20:21], s[20:21] op_sel:[0,1]
	v_mad_u64_u32 v[2:3], s[20:21], v1, s22, v[2:3]
	v_mul_lo_u32 v1, v1, s11
	v_mul_lo_u32 v4, v4, s22
	v_add3_u32 v3, v4, v3, v1
	s_lshl_b32 s20, s23, 3
.LBB33_22:                              ; =>This Inner Loop Header: Depth=1
	global_load_dwordx2 v[4:5], v[2:3], off
	s_mul_i32 s21, s6, 28
	s_mul_i32 s23, s9, 28
	s_add_i32 s6, s6, 2
	s_add_i32 s9, s9, 2
	v_add_co_u32_e32 v2, vcc, 8, v2
	s_add_i32 s20, s20, -8
	v_addc_co_u32_e32 v3, vcc, 0, v3, vcc
	v_add_lshl_u32 v1, s23, v0, 2
	s_cmp_lg_u32 s20, 0
	v_add_lshl_u32 v6, s21, v0, 2
	s_waitcnt vmcnt(0)
	v_pk_mul_f32 v[4:5], v[4:5], s[18:19]
	ds_write_b32 v1, v4 offset:3136
	ds_write_b32 v6, v5 offset:3136
	s_cbranch_scc1 .LBB33_22
.LBB33_23:
	s_and_b32 s9, s26, 30
	s_cmp_lg_u32 s26, s9
	s_cselect_b64 s[20:21], -1, 0
.LBB33_24:
	s_and_b64 vcc, exec, s[20:21]
	s_cbranch_vccz .LBB33_27
; %bb.25:
	s_mul_i32 s19, s9, 0x70
	v_lshl_add_u32 v1, v0, 2, s19
	s_mul_i32 s19, s1, s7
	s_mul_hi_u32 s20, s0, s7
	s_add_i32 s21, s20, s19
	s_mul_i32 s20, s0, s7
	s_lshl_b64 s[24:25], s[4:5], 2
	v_lshlrev_b32_e32 v2, 2, v0
	s_sub_i32 s6, s26, s9
	s_lshl_b64 s[20:21], s[20:21], 2
	v_mov_b32_e32 v3, s25
	v_add_co_u32_e32 v4, vcc, s24, v2
	s_lshl_b64 s[24:25], s[16:17], 2
	s_lshl_b32 s9, s9, 2
	s_add_u32 s9, s2, s9
	s_addc_u32 s19, s3, 0
	s_add_u32 s9, s9, s24
	s_addc_u32 s19, s19, s25
	;; [unrolled: 2-line block ×3, first 2 shown]
	v_addc_co_u32_e32 v5, vcc, 0, v3, vcc
	v_pk_mov_b32 v[2:3], s[20:21], s[20:21] op_sel:[0,1]
	v_mad_u64_u32 v[2:3], s[20:21], v4, s22, v[2:3]
	v_mul_lo_u32 v4, v4, s11
	v_mul_lo_u32 v5, v5, s22
	v_add_u32_e32 v1, 0xc40, v1
	v_add3_u32 v3, v5, v3, v4
.LBB33_26:                              ; =>This Inner Loop Header: Depth=1
	global_load_dword v4, v[2:3], off
	s_add_i32 s6, s6, -1
	v_add_co_u32_e32 v2, vcc, 4, v2
	v_addc_co_u32_e32 v3, vcc, 0, v3, vcc
	s_cmp_lg_u32 s6, 0
	s_waitcnt vmcnt(0)
	v_mul_f32_e32 v4, s18, v4
	ds_write_b32 v1, v4
	v_add_u32_e32 v1, 0x70, v1
	s_cbranch_scc1 .LBB33_26
.LBB33_27:
	s_or_b64 exec, exec, s[14:15]
	s_cmpk_eq_i32 s8, 0x6f
	s_mov_b64 s[8:9], -1
	s_waitcnt lgkmcnt(0)
	; wave barrier
	s_waitcnt lgkmcnt(0)
	s_cbranch_scc1 .LBB33_50
; %bb.28:
	s_add_i32 s6, s26, -1
	s_cmp_gt_i32 s10, 27
	s_mov_b32 s8, s6
	s_cbranch_scc0 .LBB33_30
; %bb.29:
	s_mul_i32 s8, s6, 28
	s_mul_i32 s37, s26, 28
	v_add_lshl_u32 v1, s8, v0, 2
	s_sub_i32 s8, s37, 56
	s_add_i32 s39, s37, 0xffffffac
	s_add_i32 s36, s37, 0xffffff04
	;; [unrolled: 1-line block ×4, first 2 shown]
	v_add_lshl_u32 v8, s8, v0, 2
	v_add_lshl_u32 v11, s39, v0, 2
	s_add_i32 s40, s37, 0xffffff90
	s_add_i32 s41, s37, 0xffffff74
	s_add_i32 s42, s37, 0xffffff58
	s_add_i32 s43, s37, 0xffffff3c
	s_add_i32 s38, s37, 0xffffff20
	v_add_lshl_u32 v54, s36, v0, 2
	s_add_i32 s35, s37, 0xfffffee8
	s_add_i32 s14, s37, 0xfffffecc
	s_add_i32 s34, s37, 0xfffffeb0
	s_add_i32 s33, s37, 0xfffffe94
	s_add_i32 s31, s37, 0xfffffe78
	s_add_i32 s30, s37, 0xfffffe5c
	s_add_i32 s29, s37, 0xfffffe40
	v_add_lshl_u32 v35, s28, v0, 2
	s_add_i32 s27, s37, 0xfffffe08
	s_add_i32 s25, s37, 0xfffffdec
	;; [unrolled: 8-line block ×3, first 2 shown]
	s_add_i32 s8, s37, 0xfffffcf0
	s_sub_i32 s44, s37, 28
	s_mul_i32 s37, s6, 0x74
	s_add_i32 s39, s39, s6
	v_add_lshl_u32 v13, s40, v0, 2
	v_add_lshl_u32 v14, s41, v0, 2
	v_add_lshl_u32 v17, s42, v0, 2
	v_add_lshl_u32 v19, s43, v0, 2
	v_add_lshl_u32 v21, s38, v0, 2
	ds_read_b32 v4, v1 offset:3136
	ds_read_b32 v5, v8 offset:3136
	ds_read_b32 v9, v11 offset:3136
	ds_read_b32 v22, v13 offset:3136
	ds_read_b32 v25, v14 offset:3136
	ds_read_b32 v43, v17 offset:3136
	ds_read_b32 v52, v19 offset:3136
	ds_read_b32 v53, v21 offset:3136
	v_add_lshl_u32 v55, s35, v0, 2
	v_add_lshl_u32 v56, s14, v0, 2
	v_add_lshl_u32 v57, s34, v0, 2
	v_add_lshl_u32 v58, s33, v0, 2
	v_add_lshl_u32 v28, s31, v0, 2
	v_add_lshl_u32 v29, s30, v0, 2
	v_add_lshl_u32 v32, s29, v0, 2
	ds_read_b32 v59, v54 offset:3136
	ds_read_b32 v60, v55 offset:3136
	ds_read_b32 v61, v56 offset:3136
	ds_read_b32 v62, v57 offset:3136
	ds_read_b32 v63, v58 offset:3136
	ds_read_b32 v64, v28 offset:3136
	ds_read_b32 v65, v29 offset:3136
	ds_read_b32 v42, v32 offset:3136
	v_add_lshl_u32 v39, s27, v0, 2
	v_add_lshl_u32 v36, s25, v0, 2
	;; [unrolled: 15-line block ×3, first 2 shown]
	v_add_lshl_u32 v1, s8, v0, 2
	v_mov_b32_e32 v6, s37
	s_add_i32 s45, s37, 0xffffff8c
	ds_read_b32 v20, v15 offset:3136
	ds_read_b32 v16, v10 offset:3136
	;; [unrolled: 1-line block ×4, first 2 shown]
	ds_read_b32 v44, v6
	s_lshl_b32 s39, s39, 2
	v_mov_b32_e32 v7, s45
	v_mov_b32_e32 v45, s39
	ds_read2_b32 v[6:7], v7 offset1:1
	ds_read_b32 v45, v45
	s_waitcnt lgkmcnt(2)
	v_mul_f32_e32 v4, v44, v4
	s_add_i32 s39, s37, 0xffffff18
	s_add_i32 s40, s40, s6
	s_waitcnt lgkmcnt(1)
	v_fma_f32 v5, -v4, v7, v5
	v_mul_f32_e32 v5, v6, v5
	v_mov_b32_e32 v6, s39
	s_lshl_b32 s39, s40, 2
	s_add_i32 s39, s39, -4
	v_add_lshl_u32 v44, s44, v0, 2
	ds_write_b32 v8, v5 offset:3136
	v_mov_b32_e32 v8, s39
	s_add_i32 s39, s37, 0xfffffea4
	s_add_i32 s41, s41, s6
	ds_read2_b32 v[6:7], v6 offset1:1
	ds_write_b32 v44, v4 offset:3136
	v_mov_b32_e32 v44, s39
	s_lshl_b32 s39, s41, 2
	v_mov_b32_e32 v47, s39
	s_waitcnt lgkmcnt(3)
	v_fma_f32 v46, -v4, v45, v9
	ds_read2_b32 v[8:9], v8 offset1:1
	ds_read2_b32 v[44:45], v44 offset1:1
	ds_read_b32 v47, v47
	s_waitcnt lgkmcnt(4)
	v_fma_f32 v7, -v5, v7, v46
	v_mul_f32_e32 v6, v6, v7
	s_waitcnt lgkmcnt(2)
	v_fma_f32 v7, -v4, v9, v22
	v_fma_f32 v7, -v5, v8, v7
	s_add_i32 s39, s39, -8
	s_waitcnt lgkmcnt(1)
	v_fma_f32 v7, -v6, v45, v7
	v_mov_b32_e32 v8, s39
	v_mul_f32_e32 v7, v44, v7
	s_add_i32 s39, s37, 0xfffffe30
	s_add_i32 s42, s42, s6
	ds_read2_b32 v[8:9], v8 offset1:1
	ds_write_b32 v13, v7 offset:3136
	v_mov_b32_e32 v13, s39
	s_lshl_b32 s39, s42, 2
	ds_write_b32 v11, v6 offset:3136
	s_add_i32 s40, s39, -4
	s_add_i32 s39, s39, -12
	s_waitcnt lgkmcnt(3)
	v_fma_f32 v11, -v4, v47, v25
	v_mov_b32_e32 v22, s40
	v_mov_b32_e32 v25, s39
	ds_read2_b32 v[44:45], v13 offset1:1
	ds_read2_b32 v[46:47], v22 offset1:1
	ds_read2_b32 v[48:49], v25 offset1:1
	s_waitcnt lgkmcnt(5)
	v_fma_f32 v9, -v5, v9, v11
	v_fma_f32 v8, -v6, v8, v9
	s_add_i32 s39, s37, 0xfffffdbc
	s_add_i32 s43, s43, s6
	s_waitcnt lgkmcnt(2)
	v_fma_f32 v8, -v7, v45, v8
	s_waitcnt lgkmcnt(1)
	v_fma_f32 v9, -v4, v47, v43
	v_mov_b32_e32 v11, s39
	s_lshl_b32 s39, s43, 2
	v_mul_f32_e32 v8, v44, v8
	v_fma_f32 v9, -v5, v46, v9
	s_add_i32 s40, s39, -4
	ds_write_b32 v14, v8 offset:3136
	s_waitcnt lgkmcnt(1)
	v_fma_f32 v9, -v6, v49, v9
	v_mov_b32_e32 v13, s40
	s_add_i32 s40, s39, -12
	s_sub_i32 s39, s39, 20
	v_fma_f32 v9, -v7, v48, v9
	v_mov_b32_e32 v14, s40
	ds_read2_b32 v[44:45], v11 offset1:1
	v_mov_b32_e32 v11, s39
	ds_read2_b32 v[46:47], v13 offset1:1
	ds_read2_b32 v[48:49], v14 offset1:1
	;; [unrolled: 1-line block ×3, first 2 shown]
	s_add_i32 s39, s37, 0xfffffd48
	v_mov_b32_e32 v13, s39
	s_waitcnt lgkmcnt(2)
	v_fma_f32 v11, -v4, v47, v52
	v_fma_f32 v11, -v5, v46, v11
	ds_read_b32 v13, v13
	s_waitcnt lgkmcnt(2)
	v_fma_f32 v11, -v6, v49, v11
	v_fma_f32 v9, -v8, v45, v9
	;; [unrolled: 1-line block ×3, first 2 shown]
	v_mul_f32_e32 v9, v44, v9
	s_waitcnt lgkmcnt(1)
	v_fma_f32 v11, -v8, v51, v11
	v_fma_f32 v11, -v9, v50, v11
	s_add_i32 s38, s38, s6
	s_waitcnt lgkmcnt(0)
	v_mul_f32_e32 v11, v13, v11
	s_lshl_b32 s38, s38, 2
	ds_write_b32 v17, v9 offset:3136
	ds_write_b32 v19, v11 offset:3136
	v_mov_b32_e32 v13, s38
	s_add_i32 s39, s38, -8
	v_mov_b32_e32 v14, s39
	ds_read_b32 v13, v13
	ds_read2_b32 v[44:45], v14 offset1:1
	s_add_i32 s39, s38, -16
	v_mov_b32_e32 v17, s39
	s_sub_i32 s38, s38, 24
	v_mov_b32_e32 v14, s38
	ds_read2_b32 v[46:47], v17 offset1:1
	ds_read2_b32 v[48:49], v14 offset1:1
	s_waitcnt lgkmcnt(3)
	v_fma_f32 v13, -v4, v13, v53
	s_add_i32 s38, s37, 0xfffffcd4
	s_waitcnt lgkmcnt(2)
	v_fma_f32 v13, -v5, v45, v13
	v_mov_b32_e32 v14, s38
	v_fma_f32 v13, -v6, v44, v13
	ds_read_b32 v14, v14
	s_waitcnt lgkmcnt(2)
	v_fma_f32 v13, -v7, v47, v13
	v_fma_f32 v13, -v8, v46, v13
	s_add_i32 s36, s36, s6
	s_waitcnt lgkmcnt(1)
	v_fma_f32 v13, -v9, v49, v13
	s_lshl_b32 s36, s36, 2
	v_fma_f32 v13, -v11, v48, v13
	s_add_i32 s38, s36, -4
	s_waitcnt lgkmcnt(0)
	v_mul_f32_e32 v13, v14, v13
	v_mov_b32_e32 v14, s38
	ds_read2_b32 v[44:45], v14 offset1:1
	s_add_i32 s38, s36, -12
	ds_write_b32 v21, v13 offset:3136
	v_mov_b32_e32 v17, s38
	s_sub_i32 s38, s36, 20
	s_sub_i32 s36, s36, 28
	v_mov_b32_e32 v19, s38
	v_mov_b32_e32 v14, s36
	ds_read2_b32 v[46:47], v17 offset1:1
	ds_read2_b32 v[48:49], v19 offset1:1
	;; [unrolled: 1-line block ×3, first 2 shown]
	s_waitcnt lgkmcnt(4)
	v_fma_f32 v14, -v4, v45, v59
	v_fma_f32 v14, -v5, v44, v14
	s_add_i32 s36, s37, 0xfffffc60
	s_waitcnt lgkmcnt(2)
	v_fma_f32 v14, -v6, v47, v14
	v_mov_b32_e32 v17, s36
	v_fma_f32 v14, -v7, v46, v14
	ds_read_b32 v17, v17
	s_waitcnt lgkmcnt(2)
	v_fma_f32 v14, -v8, v49, v14
	v_fma_f32 v14, -v9, v48, v14
	s_waitcnt lgkmcnt(1)
	v_fma_f32 v14, -v11, v51, v14
	v_fma_f32 v14, -v13, v50, v14
	s_add_i32 s35, s35, s6
	s_waitcnt lgkmcnt(0)
	v_mul_f32_e32 v14, v17, v14
	s_lshl_b32 s35, s35, 2
	ds_write_b32 v54, v14 offset:3136
	v_mov_b32_e32 v17, s35
	s_add_i32 s36, s35, -8
	v_mov_b32_e32 v19, s36
	ds_read_b32 v17, v17
	ds_read2_b32 v[44:45], v19 offset1:1
	s_add_i32 s36, s35, -16
	v_mov_b32_e32 v21, s36
	s_sub_i32 s36, s35, 24
	v_mov_b32_e32 v19, s36
	ds_read2_b32 v[46:47], v21 offset1:1
	ds_read2_b32 v[48:49], v19 offset1:1
	s_waitcnt lgkmcnt(3)
	v_fma_f32 v17, -v4, v17, v60
	s_sub_i32 s35, s35, 32
	s_waitcnt lgkmcnt(2)
	v_fma_f32 v17, -v5, v45, v17
	v_mov_b32_e32 v19, s35
	v_fma_f32 v17, -v6, v44, v17
	ds_read2_b32 v[44:45], v19 offset1:1
	s_add_i32 s35, s37, 0xfffffbec
	s_waitcnt lgkmcnt(2)
	v_fma_f32 v17, -v7, v47, v17
	v_mov_b32_e32 v19, s35
	v_fma_f32 v17, -v8, v46, v17
	ds_read_b32 v19, v19
	s_waitcnt lgkmcnt(2)
	v_fma_f32 v17, -v9, v49, v17
	v_fma_f32 v17, -v11, v48, v17
	s_waitcnt lgkmcnt(1)
	v_fma_f32 v17, -v13, v45, v17
	v_fma_f32 v17, -v14, v44, v17
	s_add_i32 s14, s14, s6
	s_waitcnt lgkmcnt(0)
	v_mul_f32_e32 v17, v19, v17
	s_lshl_b32 s14, s14, 2
	ds_write_b32 v55, v17 offset:3136
	v_mov_b32_e32 v19, s14
	s_add_i32 s35, s14, -8
	v_mov_b32_e32 v21, s35
	ds_read_b32 v19, v19
	ds_read2_b32 v[44:45], v21 offset1:1
	s_add_i32 s35, s14, -16
	v_mov_b32_e32 v22, s35
	s_sub_i32 s35, s14, 24
	v_mov_b32_e32 v21, s35
	ds_read2_b32 v[46:47], v22 offset1:1
	ds_read2_b32 v[48:49], v21 offset1:1
	s_waitcnt lgkmcnt(3)
	v_fma_f32 v19, -v4, v19, v61
	s_waitcnt lgkmcnt(2)
	v_fma_f32 v19, -v5, v45, v19
	s_sub_i32 s14, s14, 32
	v_fma_f32 v19, -v6, v44, v19
	v_mov_b32_e32 v21, s14
	s_mul_i32 s14, s26, 0x74
	s_add_i32 s34, s34, s6
	s_waitcnt lgkmcnt(1)
	v_fma_f32 v19, -v7, v47, v19
	s_add_i32 s35, s14, 0xfffffb04
	s_lshl_b32 s34, s34, 2
	ds_read2_b32 v[44:45], v21 offset1:1
	v_fma_f32 v19, -v8, v46, v19
	v_mov_b32_e32 v22, s35
	s_add_i32 s35, s34, -4
	s_waitcnt lgkmcnt(1)
	v_fma_f32 v19, -v9, v49, v19
	v_mov_b32_e32 v25, s35
	s_add_i32 s35, s34, -12
	v_fma_f32 v19, -v11, v48, v19
	v_mov_b32_e32 v21, s35
	ds_read2_b32 v[46:47], v22 offset1:1
	ds_read2_b32 v[48:49], v25 offset1:1
	;; [unrolled: 1-line block ×3, first 2 shown]
	s_sub_i32 s35, s34, 20
	s_waitcnt lgkmcnt(3)
	v_fma_f32 v19, -v13, v45, v19
	v_mov_b32_e32 v22, s35
	v_fma_f32 v19, -v14, v44, v19
	ds_read2_b32 v[44:45], v22 offset1:1
	s_waitcnt lgkmcnt(3)
	v_fma_f32 v19, -v17, v47, v19
	s_waitcnt lgkmcnt(2)
	v_fma_f32 v21, -v4, v49, v62
	v_mul_f32_e32 v19, v46, v19
	v_fma_f32 v21, -v5, v48, v21
	s_sub_i32 s35, s34, 28
	s_sub_i32 s34, s34, 36
	ds_write_b32 v56, v19 offset:3136
	s_waitcnt lgkmcnt(2)
	v_fma_f32 v21, -v6, v51, v21
	v_mov_b32_e32 v25, s35
	v_mov_b32_e32 v43, s34
	s_add_i32 s34, s14, 0xfffffa90
	v_fma_f32 v21, -v7, v50, v21
	v_mov_b32_e32 v22, s34
	ds_read2_b32 v[46:47], v25 offset1:1
	ds_read2_b32 v[48:49], v43 offset1:1
	;; [unrolled: 1-line block ×3, first 2 shown]
	s_waitcnt lgkmcnt(4)
	v_fma_f32 v21, -v8, v45, v21
	v_fma_f32 v21, -v9, v44, v21
	s_waitcnt lgkmcnt(2)
	v_fma_f32 v21, -v11, v47, v21
	v_fma_f32 v21, -v13, v46, v21
	s_waitcnt lgkmcnt(1)
	v_fma_f32 v21, -v14, v49, v21
	v_fma_f32 v21, -v17, v48, v21
	s_waitcnt lgkmcnt(0)
	v_fma_f32 v21, -v19, v51, v21
	s_add_i32 s33, s33, s6
	v_mul_f32_e32 v21, v50, v21
	s_lshl_b32 s33, s33, 2
	ds_write_b32 v57, v21 offset:3136
	v_mov_b32_e32 v22, s33
	s_add_i32 s34, s33, -8
	v_mov_b32_e32 v25, s34
	ds_read_b32 v22, v22
	ds_read2_b32 v[44:45], v25 offset1:1
	s_add_i32 s34, s33, -16
	v_mov_b32_e32 v43, s34
	s_sub_i32 s34, s33, 24
	v_mov_b32_e32 v25, s34
	ds_read2_b32 v[46:47], v43 offset1:1
	ds_read2_b32 v[48:49], v25 offset1:1
	s_waitcnt lgkmcnt(3)
	v_fma_f32 v22, -v4, v22, v63
	s_waitcnt lgkmcnt(2)
	v_fma_f32 v22, -v5, v45, v22
	s_sub_i32 s34, s33, 32
	v_fma_f32 v22, -v6, v44, v22
	v_mov_b32_e32 v25, s34
	s_waitcnt lgkmcnt(1)
	v_fma_f32 v22, -v7, v47, v22
	ds_read2_b32 v[44:45], v25 offset1:1
	v_fma_f32 v22, -v8, v46, v22
	s_sub_i32 s33, s33, 40
	s_add_i32 s31, s31, s6
	s_waitcnt lgkmcnt(1)
	v_fma_f32 v22, -v9, v49, v22
	v_mov_b32_e32 v43, s33
	s_add_i32 s33, s14, 0xfffffa1c
	s_lshl_b32 s31, s31, 2
	v_fma_f32 v22, -v11, v48, v22
	v_mov_b32_e32 v48, s33
	s_add_i32 s33, s31, -4
	v_mov_b32_e32 v25, s33
	ds_read2_b32 v[46:47], v43 offset1:1
	ds_read2_b32 v[48:49], v48 offset1:1
	;; [unrolled: 1-line block ×3, first 2 shown]
	s_waitcnt lgkmcnt(3)
	v_fma_f32 v22, -v13, v45, v22
	v_fma_f32 v22, -v14, v44, v22
	s_add_i32 s33, s31, -12
	s_waitcnt lgkmcnt(2)
	v_fma_f32 v22, -v17, v47, v22
	v_mov_b32_e32 v43, s33
	v_fma_f32 v22, -v19, v46, v22
	ds_read2_b32 v[44:45], v43 offset1:1
	s_waitcnt lgkmcnt(2)
	v_fma_f32 v22, -v21, v49, v22
	s_sub_i32 s33, s31, 20
	v_mul_f32_e32 v22, v48, v22
	v_mov_b32_e32 v46, s33
	s_sub_i32 s33, s31, 28
	ds_write_b32 v58, v22 offset:3136
	s_waitcnt lgkmcnt(2)
	v_fma_f32 v25, -v4, v51, v64
	v_mov_b32_e32 v48, s33
	s_sub_i32 s33, s31, 36
	v_fma_f32 v25, -v5, v50, v25
	v_mov_b32_e32 v43, s33
	ds_read2_b32 v[46:47], v46 offset1:1
	ds_read2_b32 v[48:49], v48 offset1:1
	;; [unrolled: 1-line block ×3, first 2 shown]
	s_waitcnt lgkmcnt(4)
	v_fma_f32 v25, -v6, v45, v25
	v_fma_f32 v25, -v7, v44, v25
	s_sub_i32 s31, s31, 44
	s_waitcnt lgkmcnt(2)
	v_fma_f32 v25, -v8, v47, v25
	v_mov_b32_e32 v43, s31
	v_fma_f32 v25, -v9, v46, v25
	ds_read2_b32 v[44:45], v43 offset1:1
	s_waitcnt lgkmcnt(2)
	v_fma_f32 v25, -v11, v49, v25
	s_add_i32 s30, s30, s6
	v_fma_f32 v25, -v13, v48, v25
	s_add_i32 s31, s14, 0xfffff9a8
	s_lshl_b32 s30, s30, 2
	s_waitcnt lgkmcnt(1)
	v_fma_f32 v25, -v14, v51, v25
	v_mov_b32_e32 v46, s31
	v_mov_b32_e32 v48, s30
	s_add_i32 s31, s30, -8
	v_fma_f32 v25, -v17, v50, v25
	v_mov_b32_e32 v43, s31
	ds_read2_b32 v[46:47], v46 offset1:1
	ds_read_b32 v50, v48
	ds_read2_b32 v[48:49], v43 offset1:1
	s_waitcnt lgkmcnt(3)
	v_fma_f32 v25, -v19, v45, v25
	v_fma_f32 v25, -v21, v44, v25
	s_add_i32 s31, s30, -16
	s_waitcnt lgkmcnt(2)
	v_fma_f32 v25, -v22, v47, v25
	v_mov_b32_e32 v43, s31
	v_mul_f32_e32 v25, v46, v25
	ds_read2_b32 v[44:45], v43 offset1:1
	ds_write_b32 v28, v25 offset:3136
	s_waitcnt lgkmcnt(3)
	v_fma_f32 v28, -v4, v50, v65
	s_sub_i32 s31, s30, 24
	s_waitcnt lgkmcnt(2)
	v_fma_f32 v28, -v5, v49, v28
	v_mov_b32_e32 v46, s31
	s_sub_i32 s31, s30, 32
	v_fma_f32 v28, -v6, v48, v28
	v_mov_b32_e32 v48, s31
	s_sub_i32 s31, s30, 40
	v_mov_b32_e32 v43, s31
	ds_read2_b32 v[46:47], v46 offset1:1
	ds_read2_b32 v[48:49], v48 offset1:1
	;; [unrolled: 1-line block ×3, first 2 shown]
	s_waitcnt lgkmcnt(4)
	v_fma_f32 v28, -v7, v45, v28
	v_fma_f32 v28, -v8, v44, v28
	s_sub_i32 s30, s30, 48
	s_waitcnt lgkmcnt(2)
	v_fma_f32 v28, -v9, v47, v28
	v_mov_b32_e32 v43, s30
	v_fma_f32 v28, -v11, v46, v28
	s_add_i32 s29, s29, s6
	ds_read2_b32 v[44:45], v43 offset1:1
	s_waitcnt lgkmcnt(2)
	v_fma_f32 v28, -v13, v49, v28
	s_add_i32 s30, s14, 0xfffff934
	s_lshl_b32 s29, s29, 2
	v_fma_f32 v28, -v14, v48, v28
	v_mov_b32_e32 v46, s30
	s_add_i32 s30, s29, -4
	s_waitcnt lgkmcnt(1)
	v_fma_f32 v28, -v17, v51, v28
	v_mov_b32_e32 v48, s30
	s_add_i32 s30, s29, -12
	v_fma_f32 v28, -v19, v50, v28
	v_mov_b32_e32 v43, s30
	ds_read2_b32 v[46:47], v46 offset1:1
	ds_read2_b32 v[48:49], v48 offset1:1
	;; [unrolled: 1-line block ×3, first 2 shown]
	s_waitcnt lgkmcnt(3)
	v_fma_f32 v28, -v21, v45, v28
	v_fma_f32 v28, -v22, v44, v28
	s_waitcnt lgkmcnt(2)
	v_fma_f32 v28, -v25, v47, v28
	v_mul_f32_e32 v28, v46, v28
	s_sub_i32 s30, s29, 20
	ds_write_b32 v29, v28 offset:3136
	s_waitcnt lgkmcnt(2)
	v_fma_f32 v29, -v4, v49, v42
	v_mov_b32_e32 v42, s30
	s_sub_i32 s30, s29, 28
	ds_read2_b32 v[42:43], v42 offset1:1
	v_mov_b32_e32 v44, s30
	s_sub_i32 s30, s29, 36
	v_fma_f32 v29, -v5, v48, v29
	v_mov_b32_e32 v46, s30
	s_sub_i32 s30, s29, 44
	s_waitcnt lgkmcnt(2)
	v_fma_f32 v29, -v6, v51, v29
	v_mov_b32_e32 v48, s30
	v_fma_f32 v29, -v7, v50, v29
	ds_read2_b32 v[44:45], v44 offset1:1
	ds_read2_b32 v[46:47], v46 offset1:1
	;; [unrolled: 1-line block ×3, first 2 shown]
	s_waitcnt lgkmcnt(3)
	v_fma_f32 v29, -v8, v43, v29
	v_fma_f32 v29, -v9, v42, v29
	s_sub_i32 s29, s29, 52
	s_waitcnt lgkmcnt(2)
	v_fma_f32 v29, -v11, v45, v29
	v_mov_b32_e32 v42, s29
	v_fma_f32 v29, -v13, v44, v29
	s_add_i32 s28, s28, s6
	ds_read2_b32 v[42:43], v42 offset1:1
	s_waitcnt lgkmcnt(2)
	v_fma_f32 v29, -v14, v47, v29
	s_add_i32 s29, s14, 0xfffff8c0
	s_lshl_b32 s28, s28, 2
	v_fma_f32 v29, -v17, v46, v29
	v_mov_b32_e32 v44, s29
	s_add_i32 s29, s28, -8
	s_waitcnt lgkmcnt(1)
	v_fma_f32 v29, -v19, v49, v29
	v_mov_b32_e32 v46, s28
	v_mov_b32_e32 v47, s29
	v_fma_f32 v29, -v21, v48, v29
	ds_read2_b32 v[44:45], v44 offset1:1
	ds_read_b32 v48, v46
	ds_read2_b32 v[46:47], v47 offset1:1
	s_waitcnt lgkmcnt(3)
	v_fma_f32 v29, -v22, v43, v29
	v_fma_f32 v29, -v25, v42, v29
	s_waitcnt lgkmcnt(2)
	v_fma_f32 v29, -v28, v45, v29
	v_mul_f32_e32 v29, v44, v29
	s_add_i32 s29, s28, -16
	ds_write_b32 v32, v29 offset:3136
	s_waitcnt lgkmcnt(2)
	v_fma_f32 v32, -v4, v48, v41
	v_mov_b32_e32 v41, s29
	ds_read2_b32 v[42:43], v41 offset1:1
	s_sub_i32 s29, s28, 24
	s_waitcnt lgkmcnt(2)
	v_fma_f32 v32, -v5, v47, v32
	v_mov_b32_e32 v44, s29
	s_sub_i32 s29, s28, 32
	v_fma_f32 v32, -v6, v46, v32
	v_mov_b32_e32 v46, s29
	s_sub_i32 s29, s28, 40
	v_mov_b32_e32 v41, s29
	ds_read2_b32 v[44:45], v44 offset1:1
	ds_read2_b32 v[46:47], v46 offset1:1
	;; [unrolled: 1-line block ×3, first 2 shown]
	s_waitcnt lgkmcnt(3)
	v_fma_f32 v32, -v7, v43, v32
	v_fma_f32 v32, -v8, v42, v32
	s_sub_i32 s29, s28, 48
	s_waitcnt lgkmcnt(2)
	v_fma_f32 v32, -v9, v45, v32
	v_mov_b32_e32 v41, s29
	v_fma_f32 v32, -v11, v44, v32
	ds_read2_b32 v[42:43], v41 offset1:1
	s_waitcnt lgkmcnt(2)
	v_fma_f32 v32, -v13, v47, v32
	s_sub_i32 s28, s28, 56
	s_add_i32 s27, s27, s6
	v_fma_f32 v32, -v14, v46, v32
	v_mov_b32_e32 v44, s28
	s_add_i32 s28, s14, 0xfffff84c
	s_lshl_b32 s27, s27, 2
	s_waitcnt lgkmcnt(1)
	v_fma_f32 v32, -v17, v49, v32
	v_mov_b32_e32 v46, s28
	s_add_i32 s28, s27, -4
	v_fma_f32 v32, -v19, v48, v32
	v_mov_b32_e32 v41, s28
	ds_read2_b32 v[44:45], v44 offset1:1
	ds_read2_b32 v[46:47], v46 offset1:1
	;; [unrolled: 1-line block ×3, first 2 shown]
	s_waitcnt lgkmcnt(3)
	v_fma_f32 v32, -v21, v43, v32
	v_fma_f32 v32, -v22, v42, v32
	s_waitcnt lgkmcnt(2)
	v_fma_f32 v32, -v25, v45, v32
	v_fma_f32 v32, -v28, v44, v32
	s_waitcnt lgkmcnt(1)
	v_fma_f32 v32, -v29, v47, v32
	v_mul_f32_e32 v32, v46, v32
	s_add_i32 s28, s27, -12
	ds_write_b32 v35, v32 offset:3136
	s_waitcnt lgkmcnt(1)
	v_fma_f32 v35, -v4, v49, v40
	v_mov_b32_e32 v40, s28
	s_sub_i32 s28, s27, 20
	ds_read2_b32 v[40:41], v40 offset1:1
	v_mov_b32_e32 v42, s28
	s_sub_i32 s28, s27, 28
	v_mov_b32_e32 v44, s28
	s_sub_i32 s28, s27, 36
	v_mov_b32_e32 v46, s28
	v_fma_f32 v35, -v5, v48, v35
	ds_read2_b32 v[42:43], v42 offset1:1
	ds_read2_b32 v[44:45], v44 offset1:1
	;; [unrolled: 1-line block ×3, first 2 shown]
	s_waitcnt lgkmcnt(3)
	v_fma_f32 v35, -v6, v41, v35
	v_fma_f32 v35, -v7, v40, v35
	s_waitcnt lgkmcnt(2)
	v_fma_f32 v35, -v8, v43, v35
	s_sub_i32 s28, s27, 44
	v_fma_f32 v35, -v9, v42, v35
	v_mov_b32_e32 v40, s28
	s_waitcnt lgkmcnt(1)
	v_fma_f32 v35, -v11, v45, v35
	ds_read2_b32 v[40:41], v40 offset1:1
	v_fma_f32 v35, -v13, v44, v35
	s_sub_i32 s28, s27, 52
	s_sub_i32 s27, s27, 60
	s_waitcnt lgkmcnt(1)
	v_fma_f32 v35, -v14, v47, v35
	v_mov_b32_e32 v44, s27
	s_add_i32 s27, s14, 0xfffff7d8
	v_fma_f32 v35, -v17, v46, v35
	v_mov_b32_e32 v42, s28
	v_mov_b32_e32 v46, s27
	ds_read2_b32 v[42:43], v42 offset1:1
	ds_read2_b32 v[44:45], v44 offset1:1
	;; [unrolled: 1-line block ×3, first 2 shown]
	s_waitcnt lgkmcnt(3)
	v_fma_f32 v35, -v19, v41, v35
	v_fma_f32 v35, -v21, v40, v35
	s_waitcnt lgkmcnt(2)
	v_fma_f32 v35, -v22, v43, v35
	v_fma_f32 v35, -v25, v42, v35
	s_waitcnt lgkmcnt(1)
	v_fma_f32 v35, -v28, v45, v35
	v_fma_f32 v35, -v29, v44, v35
	s_add_i32 s25, s25, s6
	s_waitcnt lgkmcnt(0)
	v_fma_f32 v35, -v32, v47, v35
	s_lshl_b32 s25, s25, 2
	v_mul_f32_e32 v35, v46, v35
	s_add_i32 s27, s25, -8
	ds_write_b32 v39, v35 offset:3136
	v_mov_b32_e32 v39, s25
	v_mov_b32_e32 v40, s27
	s_add_i32 s27, s25, -16
	ds_read_b32 v39, v39
	ds_read2_b32 v[40:41], v40 offset1:1
	v_mov_b32_e32 v42, s27
	s_sub_i32 s27, s25, 24
	v_mov_b32_e32 v44, s27
	ds_read2_b32 v[42:43], v42 offset1:1
	ds_read2_b32 v[44:45], v44 offset1:1
	s_waitcnt lgkmcnt(3)
	v_fma_f32 v38, -v4, v39, v38
	s_waitcnt lgkmcnt(2)
	v_fma_f32 v38, -v5, v41, v38
	v_fma_f32 v38, -v6, v40, v38
	s_waitcnt lgkmcnt(1)
	v_fma_f32 v38, -v7, v43, v38
	v_fma_f32 v38, -v8, v42, v38
	s_waitcnt lgkmcnt(0)
	v_fma_f32 v38, -v9, v45, v38
	s_sub_i32 s27, s25, 32
	v_fma_f32 v46, -v11, v44, v38
	v_mov_b32_e32 v38, s27
	s_sub_i32 s27, s25, 40
	ds_read2_b32 v[38:39], v38 offset1:1
	v_mov_b32_e32 v40, s27
	s_sub_i32 s27, s25, 48
	v_mov_b32_e32 v42, s27
	s_sub_i32 s27, s25, 56
	v_mov_b32_e32 v44, s27
	ds_read2_b32 v[40:41], v40 offset1:1
	ds_read2_b32 v[42:43], v42 offset1:1
	;; [unrolled: 1-line block ×3, first 2 shown]
	s_waitcnt lgkmcnt(3)
	v_fma_f32 v39, -v13, v39, v46
	v_fma_f32 v38, -v14, v38, v39
	s_waitcnt lgkmcnt(2)
	v_fma_f32 v38, -v17, v41, v38
	v_fma_f32 v38, -v19, v40, v38
	;; [unrolled: 3-line block ×3, first 2 shown]
	s_waitcnt lgkmcnt(0)
	v_fma_f32 v38, -v25, v45, v38
	s_sub_i32 s25, s25, 64
	v_fma_f32 v46, -v28, v44, v38
	v_mov_b32_e32 v38, s25
	s_add_i32 s24, s24, s6
	s_add_i32 s25, s14, 0xfffff764
	s_lshl_b32 s24, s24, 2
	ds_read2_b32 v[38:39], v38 offset1:1
	v_mov_b32_e32 v40, s25
	s_add_i32 s25, s24, -4
	v_mov_b32_e32 v42, s25
	s_add_i32 s25, s24, -12
	v_mov_b32_e32 v44, s25
	ds_read2_b32 v[40:41], v40 offset1:1
	ds_read2_b32 v[42:43], v42 offset1:1
	;; [unrolled: 1-line block ×3, first 2 shown]
	s_waitcnt lgkmcnt(3)
	v_fma_f32 v39, -v29, v39, v46
	v_fma_f32 v38, -v32, v38, v39
	s_waitcnt lgkmcnt(2)
	v_fma_f32 v38, -v35, v41, v38
	v_mul_f32_e32 v38, v40, v38
	ds_write_b32 v36, v38 offset:3136
	s_waitcnt lgkmcnt(2)
	v_fma_f32 v36, -v4, v43, v37
	v_fma_f32 v36, -v5, v42, v36
	s_waitcnt lgkmcnt(1)
	v_fma_f32 v36, -v6, v45, v36
	s_sub_i32 s25, s24, 20
	v_fma_f32 v39, -v7, v44, v36
	v_mov_b32_e32 v36, s25
	s_sub_i32 s25, s24, 28
	ds_read2_b32 v[36:37], v36 offset1:1
	v_mov_b32_e32 v40, s25
	s_sub_i32 s25, s24, 36
	v_mov_b32_e32 v42, s25
	s_sub_i32 s25, s24, 44
	v_mov_b32_e32 v44, s25
	ds_read2_b32 v[40:41], v40 offset1:1
	ds_read2_b32 v[42:43], v42 offset1:1
	;; [unrolled: 1-line block ×3, first 2 shown]
	s_waitcnt lgkmcnt(3)
	v_fma_f32 v37, -v8, v37, v39
	v_fma_f32 v36, -v9, v36, v37
	s_waitcnt lgkmcnt(2)
	v_fma_f32 v36, -v11, v41, v36
	v_fma_f32 v36, -v13, v40, v36
	;; [unrolled: 3-line block ×3, first 2 shown]
	s_waitcnt lgkmcnt(0)
	v_fma_f32 v36, -v19, v45, v36
	s_sub_i32 s25, s24, 52
	v_fma_f32 v39, -v21, v44, v36
	v_mov_b32_e32 v36, s25
	ds_read2_b32 v[36:37], v36 offset1:1
	s_sub_i32 s25, s24, 60
	s_addk_i32 s24, 0xffbc
	v_mov_b32_e32 v42, s24
	s_add_i32 s24, s14, 0xfffff6f0
	v_mov_b32_e32 v40, s25
	v_mov_b32_e32 v44, s24
	ds_read2_b32 v[40:41], v40 offset1:1
	ds_read2_b32 v[42:43], v42 offset1:1
	ds_read2_b32 v[44:45], v44 offset1:1
	s_waitcnt lgkmcnt(3)
	v_fma_f32 v37, -v22, v37, v39
	v_fma_f32 v36, -v25, v36, v37
	s_waitcnt lgkmcnt(2)
	v_fma_f32 v36, -v28, v41, v36
	v_fma_f32 v36, -v29, v40, v36
	;; [unrolled: 3-line block ×3, first 2 shown]
	s_waitcnt lgkmcnt(0)
	v_fma_f32 v36, -v38, v45, v36
	s_add_i32 s23, s23, s6
	v_mul_f32_e32 v36, v44, v36
	s_lshl_b32 s23, s23, 2
	ds_write_b32 v34, v36 offset:3136
	v_mov_b32_e32 v34, s23
	s_add_i32 s24, s23, -8
	v_mov_b32_e32 v37, s24
	ds_read_b32 v34, v34
	ds_read2_b32 v[40:41], v37 offset1:1
	s_add_i32 s24, s23, -16
	v_mov_b32_e32 v39, s24
	s_sub_i32 s24, s23, 24
	v_mov_b32_e32 v37, s24
	ds_read2_b32 v[42:43], v39 offset1:1
	ds_read2_b32 v[44:45], v37 offset1:1
	s_waitcnt lgkmcnt(3)
	v_fma_f32 v33, -v4, v34, v33
	s_sub_i32 s24, s23, 32
	s_waitcnt lgkmcnt(2)
	v_fma_f32 v33, -v5, v41, v33
	v_mov_b32_e32 v34, s24
	v_fma_f32 v33, -v6, v40, v33
	ds_read2_b32 v[40:41], v34 offset1:1
	s_waitcnt lgkmcnt(2)
	v_fma_f32 v33, -v7, v43, v33
	s_sub_i32 s24, s23, 40
	v_fma_f32 v33, -v8, v42, v33
	v_mov_b32_e32 v37, s24
	s_sub_i32 s24, s23, 48
	s_waitcnt lgkmcnt(1)
	v_fma_f32 v33, -v9, v45, v33
	v_mov_b32_e32 v39, s24
	s_sub_i32 s24, s23, 56
	v_fma_f32 v33, -v11, v44, v33
	v_mov_b32_e32 v34, s24
	ds_read2_b32 v[42:43], v37 offset1:1
	ds_read2_b32 v[44:45], v39 offset1:1
	;; [unrolled: 1-line block ×3, first 2 shown]
	s_waitcnt lgkmcnt(3)
	v_fma_f32 v33, -v13, v41, v33
	v_fma_f32 v33, -v14, v40, v33
	s_sub_i32 s24, s23, 64
	s_waitcnt lgkmcnt(2)
	v_fma_f32 v33, -v17, v43, v33
	v_mov_b32_e32 v34, s24
	v_fma_f32 v33, -v19, v42, v33
	ds_read2_b32 v[40:41], v34 offset1:1
	s_waitcnt lgkmcnt(2)
	v_fma_f32 v33, -v21, v45, v33
	s_addk_i32 s23, 0xffb8
	s_add_i32 s21, s21, s6
	v_fma_f32 v33, -v22, v44, v33
	v_mov_b32_e32 v37, s23
	s_add_i32 s23, s14, 0xfffff67c
	s_lshl_b32 s21, s21, 2
	s_waitcnt lgkmcnt(1)
	v_fma_f32 v33, -v25, v47, v33
	v_mov_b32_e32 v39, s23
	s_add_i32 s23, s21, -4
	v_fma_f32 v33, -v28, v46, v33
	v_mov_b32_e32 v34, s23
	ds_read2_b32 v[42:43], v37 offset1:1
	ds_read2_b32 v[44:45], v39 offset1:1
	;; [unrolled: 1-line block ×3, first 2 shown]
	s_waitcnt lgkmcnt(3)
	v_fma_f32 v33, -v29, v41, v33
	v_fma_f32 v33, -v32, v40, v33
	s_waitcnt lgkmcnt(2)
	v_fma_f32 v33, -v35, v43, v33
	v_fma_f32 v33, -v38, v42, v33
	s_waitcnt lgkmcnt(1)
	v_fma_f32 v33, -v36, v45, v33
	v_mul_f32_e32 v33, v44, v33
	ds_write_b32 v30, v33 offset:3136
	s_waitcnt lgkmcnt(1)
	v_fma_f32 v30, -v4, v47, v31
	s_add_i32 s23, s21, -12
	v_fma_f32 v34, -v5, v46, v30
	v_mov_b32_e32 v30, s23
	s_sub_i32 s23, s21, 20
	ds_read2_b32 v[30:31], v30 offset1:1
	v_mov_b32_e32 v37, s23
	s_sub_i32 s23, s21, 28
	v_mov_b32_e32 v39, s23
	s_sub_i32 s23, s21, 36
	v_mov_b32_e32 v44, s23
	ds_read2_b32 v[40:41], v37 offset1:1
	ds_read2_b32 v[42:43], v39 offset1:1
	;; [unrolled: 1-line block ×3, first 2 shown]
	s_waitcnt lgkmcnt(3)
	v_fma_f32 v31, -v6, v31, v34
	v_fma_f32 v30, -v7, v30, v31
	s_waitcnt lgkmcnt(2)
	v_fma_f32 v30, -v8, v41, v30
	v_fma_f32 v30, -v9, v40, v30
	;; [unrolled: 3-line block ×3, first 2 shown]
	s_waitcnt lgkmcnt(0)
	v_fma_f32 v30, -v14, v45, v30
	s_sub_i32 s23, s21, 44
	v_fma_f32 v34, -v17, v44, v30
	v_mov_b32_e32 v30, s23
	s_sub_i32 s23, s21, 52
	ds_read2_b32 v[30:31], v30 offset1:1
	v_mov_b32_e32 v37, s23
	s_sub_i32 s23, s21, 60
	v_mov_b32_e32 v39, s23
	s_add_i32 s23, s21, 0xffffffbc
	v_mov_b32_e32 v44, s23
	ds_read2_b32 v[40:41], v37 offset1:1
	ds_read2_b32 v[42:43], v39 offset1:1
	;; [unrolled: 1-line block ×3, first 2 shown]
	s_waitcnt lgkmcnt(3)
	v_fma_f32 v31, -v19, v31, v34
	v_fma_f32 v30, -v21, v30, v31
	s_waitcnt lgkmcnt(2)
	v_fma_f32 v30, -v22, v41, v30
	v_fma_f32 v30, -v25, v40, v30
	;; [unrolled: 3-line block ×3, first 2 shown]
	s_waitcnt lgkmcnt(0)
	v_fma_f32 v30, -v32, v45, v30
	s_addk_i32 s21, 0xffb4
	v_fma_f32 v34, -v35, v44, v30
	v_mov_b32_e32 v30, s21
	s_add_i32 s20, s20, s6
	ds_read2_b32 v[30:31], v30 offset1:1
	s_add_i32 s21, s14, 0xfffff608
	s_lshl_b32 s20, s20, 2
	v_mov_b32_e32 v37, s21
	s_add_i32 s21, s20, -8
	v_mov_b32_e32 v42, s21
	v_mov_b32_e32 v39, s20
	ds_read2_b32 v[40:41], v37 offset1:1
	ds_read_b32 v37, v39
	ds_read2_b32 v[42:43], v42 offset1:1
	s_waitcnt lgkmcnt(3)
	v_fma_f32 v31, -v38, v31, v34
	v_fma_f32 v30, -v36, v30, v31
	s_waitcnt lgkmcnt(2)
	v_fma_f32 v30, -v33, v41, v30
	v_mul_f32_e32 v30, v40, v30
	ds_write_b32 v26, v30 offset:3136
	s_waitcnt lgkmcnt(2)
	v_fma_f32 v26, -v4, v37, v27
	s_waitcnt lgkmcnt(1)
	v_fma_f32 v26, -v5, v43, v26
	s_add_i32 s21, s20, -16
	v_fma_f32 v31, -v6, v42, v26
	v_mov_b32_e32 v26, s21
	ds_read2_b32 v[26:27], v26 offset1:1
	s_sub_i32 s21, s20, 24
	v_mov_b32_e32 v34, s21
	s_sub_i32 s21, s20, 32
	v_mov_b32_e32 v37, s21
	;; [unrolled: 2-line block ×3, first 2 shown]
	ds_read2_b32 v[40:41], v34 offset1:1
	ds_read2_b32 v[42:43], v37 offset1:1
	;; [unrolled: 1-line block ×3, first 2 shown]
	s_waitcnt lgkmcnt(3)
	v_fma_f32 v27, -v7, v27, v31
	v_fma_f32 v26, -v8, v26, v27
	s_waitcnt lgkmcnt(2)
	v_fma_f32 v26, -v9, v41, v26
	v_fma_f32 v26, -v11, v40, v26
	;; [unrolled: 3-line block ×3, first 2 shown]
	s_waitcnt lgkmcnt(0)
	v_fma_f32 v26, -v17, v45, v26
	s_sub_i32 s21, s20, 48
	v_fma_f32 v31, -v19, v44, v26
	v_mov_b32_e32 v26, s21
	ds_read2_b32 v[26:27], v26 offset1:1
	s_sub_i32 s21, s20, 56
	v_mov_b32_e32 v34, s21
	s_sub_i32 s21, s20, 64
	v_mov_b32_e32 v37, s21
	s_add_i32 s21, s20, 0xffffffb8
	v_mov_b32_e32 v39, s21
	ds_read2_b32 v[40:41], v34 offset1:1
	ds_read2_b32 v[42:43], v37 offset1:1
	;; [unrolled: 1-line block ×3, first 2 shown]
	s_waitcnt lgkmcnt(3)
	v_fma_f32 v27, -v21, v27, v31
	v_fma_f32 v26, -v22, v26, v27
	s_waitcnt lgkmcnt(2)
	v_fma_f32 v26, -v25, v41, v26
	v_fma_f32 v26, -v28, v40, v26
	;; [unrolled: 3-line block ×3, first 2 shown]
	s_waitcnt lgkmcnt(0)
	v_fma_f32 v26, -v35, v45, v26
	s_addk_i32 s20, 0xffb0
	v_fma_f32 v31, -v38, v44, v26
	v_mov_b32_e32 v26, s20
	s_add_i32 s19, s19, s6
	ds_read2_b32 v[26:27], v26 offset1:1
	s_add_i32 s20, s14, 0xfffff594
	s_lshl_b32 s19, s19, 2
	v_mov_b32_e32 v34, s20
	s_add_i32 s20, s19, -4
	v_mov_b32_e32 v37, s20
	s_add_i32 s20, s19, -12
	v_mov_b32_e32 v39, s20
	ds_read2_b32 v[40:41], v34 offset1:1
	ds_read2_b32 v[42:43], v37 offset1:1
	;; [unrolled: 1-line block ×3, first 2 shown]
	s_waitcnt lgkmcnt(3)
	v_fma_f32 v27, -v36, v27, v31
	v_fma_f32 v26, -v33, v26, v27
	s_waitcnt lgkmcnt(2)
	v_fma_f32 v26, -v30, v41, v26
	v_mul_f32_e32 v31, v40, v26
	s_sub_i32 s20, s19, 20
	ds_write_b32 v23, v31 offset:3136
	s_waitcnt lgkmcnt(2)
	v_fma_f32 v23, -v4, v43, v24
	v_mov_b32_e32 v24, s20
	ds_read2_b32 v[26:27], v24 offset1:1
	s_sub_i32 s20, s19, 28
	v_fma_f32 v23, -v5, v42, v23
	v_mov_b32_e32 v34, s20
	s_sub_i32 s20, s19, 36
	s_waitcnt lgkmcnt(2)
	v_fma_f32 v23, -v6, v45, v23
	v_mov_b32_e32 v37, s20
	s_sub_i32 s20, s19, 44
	v_fma_f32 v23, -v7, v44, v23
	v_mov_b32_e32 v24, s20
	ds_read2_b32 v[40:41], v34 offset1:1
	ds_read2_b32 v[42:43], v37 offset1:1
	;; [unrolled: 1-line block ×3, first 2 shown]
	s_waitcnt lgkmcnt(3)
	v_fma_f32 v23, -v8, v27, v23
	v_fma_f32 v23, -v9, v26, v23
	s_sub_i32 s20, s19, 52
	s_waitcnt lgkmcnt(2)
	v_fma_f32 v23, -v11, v41, v23
	v_mov_b32_e32 v24, s20
	v_fma_f32 v23, -v13, v40, v23
	ds_read2_b32 v[26:27], v24 offset1:1
	s_waitcnt lgkmcnt(2)
	v_fma_f32 v23, -v14, v43, v23
	s_sub_i32 s20, s19, 60
	v_fma_f32 v23, -v17, v42, v23
	v_mov_b32_e32 v34, s20
	s_add_i32 s20, s19, 0xffffffbc
	s_waitcnt lgkmcnt(1)
	v_fma_f32 v23, -v19, v45, v23
	v_mov_b32_e32 v37, s20
	s_add_i32 s20, s19, 0xffffffb4
	v_fma_f32 v23, -v21, v44, v23
	v_mov_b32_e32 v24, s20
	ds_read2_b32 v[40:41], v34 offset1:1
	ds_read2_b32 v[42:43], v37 offset1:1
	;; [unrolled: 1-line block ×3, first 2 shown]
	s_waitcnt lgkmcnt(3)
	v_fma_f32 v23, -v22, v27, v23
	v_fma_f32 v23, -v25, v26, v23
	s_addk_i32 s19, 0xffac
	s_waitcnt lgkmcnt(2)
	v_fma_f32 v23, -v28, v41, v23
	v_mov_b32_e32 v24, s19
	v_fma_f32 v23, -v29, v40, v23
	ds_read2_b32 v[26:27], v24 offset1:1
	s_waitcnt lgkmcnt(2)
	v_fma_f32 v23, -v32, v43, v23
	s_add_i32 s18, s18, s6
	v_fma_f32 v23, -v35, v42, v23
	s_add_i32 s19, s14, 0xfffff520
	s_lshl_b32 s18, s18, 2
	s_waitcnt lgkmcnt(1)
	v_fma_f32 v23, -v38, v45, v23
	v_mov_b32_e32 v34, s19
	s_add_i32 s19, s18, -8
	v_fma_f32 v23, -v36, v44, v23
	v_mov_b32_e32 v37, s18
	v_mov_b32_e32 v24, s19
	ds_read2_b32 v[40:41], v34 offset1:1
	ds_read_b32 v34, v37
	ds_read2_b32 v[42:43], v24 offset1:1
	s_waitcnt lgkmcnt(3)
	v_fma_f32 v23, -v33, v27, v23
	v_fma_f32 v23, -v30, v26, v23
	s_waitcnt lgkmcnt(2)
	v_fma_f32 v23, -v31, v41, v23
	v_mul_f32_e32 v23, v40, v23
	s_add_i32 s19, s18, -16
	ds_write_b32 v18, v23 offset:3136
	s_waitcnt lgkmcnt(2)
	v_fma_f32 v18, -v4, v34, v20
	v_mov_b32_e32 v20, s19
	ds_read2_b32 v[26:27], v20 offset1:1
	s_sub_i32 s19, s18, 24
	v_mov_b32_e32 v24, s19
	s_sub_i32 s19, s18, 32
	s_waitcnt lgkmcnt(2)
	v_fma_f32 v18, -v5, v43, v18
	v_mov_b32_e32 v34, s19
	s_sub_i32 s19, s18, 40
	v_fma_f32 v18, -v6, v42, v18
	v_mov_b32_e32 v20, s19
	ds_read2_b32 v[40:41], v24 offset1:1
	ds_read2_b32 v[42:43], v34 offset1:1
	;; [unrolled: 1-line block ×3, first 2 shown]
	s_waitcnt lgkmcnt(3)
	v_fma_f32 v18, -v7, v27, v18
	v_fma_f32 v18, -v8, v26, v18
	s_sub_i32 s19, s18, 48
	s_waitcnt lgkmcnt(2)
	v_fma_f32 v18, -v9, v41, v18
	v_mov_b32_e32 v20, s19
	v_fma_f32 v18, -v11, v40, v18
	ds_read2_b32 v[26:27], v20 offset1:1
	s_waitcnt lgkmcnt(2)
	v_fma_f32 v18, -v13, v43, v18
	s_sub_i32 s19, s18, 56
	v_fma_f32 v18, -v14, v42, v18
	v_mov_b32_e32 v24, s19
	s_sub_i32 s19, s18, 64
	s_waitcnt lgkmcnt(1)
	v_fma_f32 v18, -v17, v45, v18
	v_mov_b32_e32 v34, s19
	s_add_i32 s19, s18, 0xffffffb8
	v_fma_f32 v18, -v19, v44, v18
	v_mov_b32_e32 v20, s19
	ds_read2_b32 v[40:41], v24 offset1:1
	ds_read2_b32 v[42:43], v34 offset1:1
	ds_read2_b32 v[44:45], v20 offset1:1
	s_waitcnt lgkmcnt(3)
	v_fma_f32 v18, -v21, v27, v18
	v_fma_f32 v18, -v22, v26, v18
	s_add_i32 s19, s18, 0xffffffb0
	s_waitcnt lgkmcnt(2)
	v_fma_f32 v18, -v25, v41, v18
	v_mov_b32_e32 v20, s19
	v_fma_f32 v18, -v28, v40, v18
	ds_read2_b32 v[26:27], v20 offset1:1
	s_waitcnt lgkmcnt(2)
	v_fma_f32 v18, -v29, v43, v18
	s_addk_i32 s18, 0xffa8
	s_add_i32 s15, s15, s6
	v_fma_f32 v18, -v32, v42, v18
	v_mov_b32_e32 v24, s18
	s_add_i32 s18, s14, 0xfffff4ac
	s_lshl_b32 s15, s15, 2
	s_waitcnt lgkmcnt(1)
	v_fma_f32 v18, -v35, v45, v18
	v_mov_b32_e32 v34, s18
	s_add_i32 s18, s15, -4
	v_fma_f32 v18, -v38, v44, v18
	v_mov_b32_e32 v20, s18
	ds_read2_b32 v[40:41], v24 offset1:1
	ds_read2_b32 v[42:43], v34 offset1:1
	;; [unrolled: 1-line block ×3, first 2 shown]
	s_waitcnt lgkmcnt(3)
	v_fma_f32 v18, -v36, v27, v18
	v_fma_f32 v18, -v33, v26, v18
	s_waitcnt lgkmcnt(2)
	v_fma_f32 v18, -v30, v41, v18
	v_fma_f32 v18, -v31, v40, v18
	s_waitcnt lgkmcnt(1)
	v_fma_f32 v18, -v23, v43, v18
	v_mul_f32_e32 v18, v42, v18
	s_add_i32 s18, s15, -12
	ds_write_b32 v15, v18 offset:3136
	s_waitcnt lgkmcnt(1)
	v_fma_f32 v15, -v4, v45, v16
	v_mov_b32_e32 v16, s18
	ds_read2_b32 v[26:27], v16 offset1:1
	s_sub_i32 s18, s15, 20
	v_mov_b32_e32 v20, s18
	s_sub_i32 s18, s15, 28
	v_mov_b32_e32 v24, s18
	s_sub_i32 s18, s15, 36
	v_fma_f32 v15, -v5, v44, v15
	v_mov_b32_e32 v16, s18
	ds_read2_b32 v[40:41], v20 offset1:1
	ds_read2_b32 v[42:43], v24 offset1:1
	;; [unrolled: 1-line block ×3, first 2 shown]
	s_waitcnt lgkmcnt(3)
	v_fma_f32 v15, -v6, v27, v15
	v_fma_f32 v15, -v7, v26, v15
	s_sub_i32 s18, s15, 44
	s_waitcnt lgkmcnt(2)
	v_fma_f32 v15, -v8, v41, v15
	v_mov_b32_e32 v16, s18
	v_fma_f32 v15, -v9, v40, v15
	ds_read2_b32 v[26:27], v16 offset1:1
	s_waitcnt lgkmcnt(2)
	v_fma_f32 v15, -v11, v43, v15
	s_sub_i32 s18, s15, 52
	v_fma_f32 v15, -v13, v42, v15
	v_mov_b32_e32 v20, s18
	s_sub_i32 s18, s15, 60
	s_waitcnt lgkmcnt(1)
	v_fma_f32 v15, -v14, v45, v15
	v_mov_b32_e32 v24, s18
	s_add_i32 s18, s15, 0xffffffbc
	v_fma_f32 v15, -v17, v44, v15
	v_mov_b32_e32 v16, s18
	ds_read2_b32 v[40:41], v20 offset1:1
	ds_read2_b32 v[42:43], v24 offset1:1
	;; [unrolled: 1-line block ×3, first 2 shown]
	s_waitcnt lgkmcnt(3)
	v_fma_f32 v15, -v19, v27, v15
	v_fma_f32 v15, -v21, v26, v15
	s_add_i32 s18, s15, 0xffffffb4
	s_waitcnt lgkmcnt(2)
	v_fma_f32 v15, -v22, v41, v15
	v_mov_b32_e32 v16, s18
	v_fma_f32 v15, -v25, v40, v15
	ds_read2_b32 v[26:27], v16 offset1:1
	s_waitcnt lgkmcnt(2)
	v_fma_f32 v15, -v28, v43, v15
	v_fma_f32 v15, -v29, v42, v15
	s_add_i32 s18, s15, 0xffffffac
	s_addk_i32 s15, 0xffa4
	s_waitcnt lgkmcnt(1)
	v_fma_f32 v15, -v32, v45, v15
	v_mov_b32_e32 v20, s18
	v_mov_b32_e32 v24, s15
	s_add_i32 s15, s14, 0xfffff438
	v_fma_f32 v15, -v35, v44, v15
	v_mov_b32_e32 v16, s15
	ds_read2_b32 v[40:41], v20 offset1:1
	ds_read2_b32 v[42:43], v24 offset1:1
	;; [unrolled: 1-line block ×3, first 2 shown]
	s_waitcnt lgkmcnt(3)
	v_fma_f32 v15, -v38, v27, v15
	v_fma_f32 v15, -v36, v26, v15
	s_waitcnt lgkmcnt(2)
	v_fma_f32 v15, -v33, v41, v15
	v_fma_f32 v15, -v30, v40, v15
	;; [unrolled: 3-line block ×3, first 2 shown]
	s_waitcnt lgkmcnt(0)
	v_fma_f32 v15, -v18, v45, v15
	s_add_i32 s9, s9, s6
	v_mul_f32_e32 v15, v44, v15
	s_lshl_b32 s9, s9, 2
	ds_write_b32 v10, v15 offset:3136
	v_mov_b32_e32 v10, s9
	s_add_i32 s15, s9, -8
	v_mov_b32_e32 v16, s15
	ds_read_b32 v10, v10
	ds_read2_b32 v[26:27], v16 offset1:1
	s_add_i32 s15, s9, -16
	v_mov_b32_e32 v20, s15
	s_sub_i32 s15, s9, 24
	v_mov_b32_e32 v16, s15
	ds_read2_b32 v[40:41], v20 offset1:1
	ds_read2_b32 v[42:43], v16 offset1:1
	s_waitcnt lgkmcnt(3)
	v_fma_f32 v10, -v4, v10, v12
	s_sub_i32 s15, s9, 32
	s_waitcnt lgkmcnt(2)
	v_fma_f32 v10, -v5, v27, v10
	v_mov_b32_e32 v12, s15
	v_fma_f32 v10, -v6, v26, v10
	ds_read2_b32 v[26:27], v12 offset1:1
	s_waitcnt lgkmcnt(2)
	v_fma_f32 v10, -v7, v41, v10
	s_sub_i32 s15, s9, 40
	v_fma_f32 v10, -v8, v40, v10
	v_mov_b32_e32 v16, s15
	s_sub_i32 s15, s9, 48
	s_waitcnt lgkmcnt(1)
	v_fma_f32 v10, -v9, v43, v10
	v_mov_b32_e32 v20, s15
	s_sub_i32 s15, s9, 56
	v_fma_f32 v10, -v11, v42, v10
	v_mov_b32_e32 v12, s15
	ds_read2_b32 v[40:41], v16 offset1:1
	ds_read2_b32 v[42:43], v20 offset1:1
	;; [unrolled: 1-line block ×3, first 2 shown]
	s_waitcnt lgkmcnt(3)
	v_fma_f32 v10, -v13, v27, v10
	v_fma_f32 v10, -v14, v26, v10
	s_sub_i32 s15, s9, 64
	s_waitcnt lgkmcnt(2)
	v_fma_f32 v10, -v17, v41, v10
	v_mov_b32_e32 v12, s15
	v_fma_f32 v10, -v19, v40, v10
	ds_read2_b32 v[26:27], v12 offset1:1
	s_waitcnt lgkmcnt(2)
	v_fma_f32 v10, -v21, v43, v10
	s_add_i32 s15, s9, 0xffffffb8
	v_fma_f32 v10, -v22, v42, v10
	v_mov_b32_e32 v16, s15
	s_add_i32 s15, s9, 0xffffffb0
	s_waitcnt lgkmcnt(1)
	v_fma_f32 v10, -v25, v45, v10
	v_mov_b32_e32 v20, s15
	s_add_i32 s15, s9, 0xffffffa8
	v_fma_f32 v10, -v28, v44, v10
	v_mov_b32_e32 v12, s15
	ds_read2_b32 v[40:41], v16 offset1:1
	ds_read2_b32 v[42:43], v20 offset1:1
	;; [unrolled: 1-line block ×3, first 2 shown]
	s_waitcnt lgkmcnt(3)
	v_fma_f32 v10, -v29, v27, v10
	v_fma_f32 v10, -v32, v26, v10
	s_addk_i32 s9, 0xffa0
	s_waitcnt lgkmcnt(2)
	v_fma_f32 v10, -v35, v41, v10
	v_mov_b32_e32 v12, s9
	v_fma_f32 v10, -v38, v40, v10
	s_add_i32 s8, s8, s6
	ds_read2_b32 v[26:27], v12 offset1:1
	s_waitcnt lgkmcnt(2)
	v_fma_f32 v10, -v36, v43, v10
	s_add_i32 s9, s14, 0xfffff3c4
	s_lshl_b32 s8, s8, 2
	v_fma_f32 v10, -v33, v42, v10
	v_mov_b32_e32 v16, s9
	s_add_i32 s9, s8, -4
	s_waitcnt lgkmcnt(1)
	v_fma_f32 v10, -v30, v45, v10
	v_mov_b32_e32 v20, s9
	s_add_i32 s9, s8, -12
	v_fma_f32 v10, -v31, v44, v10
	v_mov_b32_e32 v12, s9
	ds_read2_b32 v[40:41], v16 offset1:1
	ds_read2_b32 v[42:43], v20 offset1:1
	;; [unrolled: 1-line block ×3, first 2 shown]
	s_waitcnt lgkmcnt(3)
	v_fma_f32 v10, -v23, v27, v10
	v_fma_f32 v10, -v18, v26, v10
	s_waitcnt lgkmcnt(2)
	v_fma_f32 v10, -v15, v41, v10
	v_mul_f32_e32 v10, v40, v10
	ds_write_b32 v2, v10 offset:3136
	s_waitcnt lgkmcnt(2)
	v_fma_f32 v2, -v4, v43, v3
	v_fma_f32 v2, -v5, v42, v2
	s_waitcnt lgkmcnt(1)
	v_fma_f32 v2, -v6, v45, v2
	s_sub_i32 s9, s8, 20
	v_fma_f32 v12, -v7, v44, v2
	v_mov_b32_e32 v2, s9
	ds_read2_b32 v[2:3], v2 offset1:1
	s_sub_i32 s9, s8, 28
	v_mov_b32_e32 v4, s9
	s_sub_i32 s9, s8, 36
	v_mov_b32_e32 v6, s9
	;; [unrolled: 2-line block ×3, first 2 shown]
	ds_read2_b32 v[4:5], v4 offset1:1
	ds_read2_b32 v[6:7], v6 offset1:1
	;; [unrolled: 1-line block ×3, first 2 shown]
	s_waitcnt lgkmcnt(3)
	v_fma_f32 v3, -v8, v3, v12
	v_fma_f32 v2, -v9, v2, v3
	s_waitcnt lgkmcnt(2)
	v_fma_f32 v2, -v11, v5, v2
	v_fma_f32 v2, -v13, v4, v2
	s_waitcnt lgkmcnt(1)
	v_fma_f32 v2, -v14, v7, v2
	v_fma_f32 v2, -v17, v6, v2
	s_waitcnt lgkmcnt(0)
	v_fma_f32 v2, -v19, v27, v2
	s_sub_i32 s9, s8, 52
	v_fma_f32 v11, -v21, v26, v2
	v_mov_b32_e32 v2, s9
	s_sub_i32 s9, s8, 60
	ds_read2_b32 v[2:3], v2 offset1:1
	v_mov_b32_e32 v4, s9
	s_add_i32 s9, s8, 0xffffffbc
	v_mov_b32_e32 v6, s9
	s_add_i32 s9, s8, 0xffffffb4
	v_mov_b32_e32 v8, s9
	ds_read2_b32 v[4:5], v4 offset1:1
	ds_read2_b32 v[6:7], v6 offset1:1
	;; [unrolled: 1-line block ×3, first 2 shown]
	s_waitcnt lgkmcnt(3)
	v_fma_f32 v3, -v22, v3, v11
	v_fma_f32 v2, -v25, v2, v3
	s_waitcnt lgkmcnt(2)
	v_fma_f32 v2, -v28, v5, v2
	v_fma_f32 v2, -v29, v4, v2
	;; [unrolled: 3-line block ×3, first 2 shown]
	s_waitcnt lgkmcnt(0)
	v_fma_f32 v2, -v38, v9, v2
	s_add_i32 s9, s8, 0xffffffac
	v_fma_f32 v11, -v36, v8, v2
	v_mov_b32_e32 v2, s9
	ds_read2_b32 v[2:3], v2 offset1:1
	s_add_i32 s9, s8, 0xffffffa4
	s_addk_i32 s8, 0xff9c
	v_mov_b32_e32 v6, s8
	s_add_i32 s8, s14, 0xfffff350
	v_mov_b32_e32 v4, s9
	v_mov_b32_e32 v8, s8
	ds_read2_b32 v[4:5], v4 offset1:1
	ds_read2_b32 v[6:7], v6 offset1:1
	;; [unrolled: 1-line block ×3, first 2 shown]
	s_waitcnt lgkmcnt(3)
	v_fma_f32 v3, -v33, v3, v11
	v_fma_f32 v2, -v30, v2, v3
	s_waitcnt lgkmcnt(2)
	v_fma_f32 v2, -v31, v5, v2
	v_fma_f32 v2, -v23, v4, v2
	;; [unrolled: 3-line block ×3, first 2 shown]
	s_waitcnt lgkmcnt(0)
	v_fma_f32 v2, -v10, v9, v2
	v_mul_f32_e32 v2, v8, v2
	s_sub_i32 s8, s26, 29
	ds_write_b32 v1, v2 offset:3136
.LBB33_30:
	s_cmp_gt_i32 s8, -1
	s_cbranch_scc0 .LBB33_49
; %bb.31:
	s_cmp_lt_u32 s8, 23
	s_cbranch_scc1 .LBB33_36
; %bb.32:
	s_mul_i32 s9, s8, 28
	s_sub_i32 s14, s9, 56
	v_add_lshl_u32 v1, s14, v0, 2
	s_add_i32 s14, s9, 0xffffffac
	v_add_lshl_u32 v2, s14, v0, 2
	s_add_i32 s14, s9, 0xffffff90
	;; [unrolled: 2-line block ×5, first 2 shown]
	v_add_lshl_u32 v38, s9, v0, 2
	s_sub_i32 s31, s9, 28
	v_add_lshl_u32 v6, s14, v0, 2
	s_add_i32 s14, s9, 0xffffff20
	v_add_lshl_u32 v39, s31, v0, 2
	ds_read_b32 v10, v38 offset:3136
	ds_read_b32 v11, v39 offset:3136
	;; [unrolled: 1-line block ×8, first 2 shown]
	v_add_lshl_u32 v1, s14, v0, 2
	s_add_i32 s14, s9, 0xffffff04
	v_add_lshl_u32 v2, s14, v0, 2
	s_add_i32 s14, s9, 0xfffffee8
	s_add_i32 s24, s9, 0xfffffe40
	v_add_lshl_u32 v3, s14, v0, 2
	s_add_i32 s30, s9, 0xfffffecc
	s_add_i32 s29, s9, 0xfffffeb0
	;; [unrolled: 1-line block ×5, first 2 shown]
	v_add_lshl_u32 v23, s24, v0, 2
	s_add_i32 s23, s9, 0xfffffe24
	s_add_i32 s21, s9, 0xfffffe08
	;; [unrolled: 1-line block ×6, first 2 shown]
	s_addk_i32 s9, 0xfd7c
	v_add_lshl_u32 v37, s30, v0, 2
	v_add_lshl_u32 v35, s29, v0, 2
	;; [unrolled: 1-line block ×5, first 2 shown]
	ds_read_b32 v22, v1 offset:3136
	ds_read_b32 v25, v2 offset:3136
	;; [unrolled: 1-line block ×8, first 2 shown]
	v_add_lshl_u32 v20, s23, v0, 2
	v_add_lshl_u32 v13, s21, v0, 2
	;; [unrolled: 1-line block ×7, first 2 shown]
	ds_read_b32 v27, v23 offset:3136
	ds_read_b32 v24, v20 offset:3136
	;; [unrolled: 1-line block ×8, first 2 shown]
	s_cmp_le_i32 s6, s8
	s_cbranch_scc1 .LBB33_35
; %bb.33:
	s_mul_i32 s18, s8, 0x70
	s_lshl_b32 s33, s26, 2
	s_add_i32 s18, s18, s33
	s_mul_i32 s33, s26, 0x70
	v_lshl_add_u32 v40, v0, 2, s33
	s_addk_i32 s18, 0xf5ec
	v_add_u32_e32 v40, 0xbd0, v40
	s_mov_b32 s33, s6
.LBB33_34:                              ; =>This Inner Loop Header: Depth=1
	v_mov_b32_e32 v50, s18
	v_add_u32_e32 v54, 0x800, v50
	v_add_u32_e32 v56, 0x600, v50
	;; [unrolled: 1-line block ×3, first 2 shown]
	ds_read_b32 v41, v40
	ds_read2_b32 v[42:43], v50 offset0:224 offset1:252
	ds_read2_b32 v[44:45], v50 offset0:168 offset1:196
	;; [unrolled: 1-line block ×4, first 2 shown]
	ds_read2_b32 v[50:51], v50 offset1:28
	ds_read2_b32 v[52:53], v54 offset0:104 offset1:132
	ds_read2_b32 v[54:55], v54 offset0:48 offset1:76
	ds_read2_b32 v[56:57], v56 offset0:120 offset1:148
	ds_read2_b32 v[58:59], v64 offset0:192 offset1:220
	ds_read2_b32 v[60:61], v64 offset0:136 offset1:164
	ds_read2_b32 v[62:63], v64 offset0:80 offset1:108
	ds_read2_b32 v[64:65], v64 offset0:24 offset1:52
	s_add_i32 s33, s33, -1
	s_add_i32 s18, s18, -4
	v_add_u32_e32 v40, 0xffffff90, v40
	s_cmp_gt_i32 s33, s8
	s_waitcnt lgkmcnt(11)
	v_fma_f32 v34, -v41, v43, v34
	v_fma_f32 v30, -v41, v42, v30
	s_waitcnt lgkmcnt(10)
	v_fma_f32 v27, -v41, v45, v27
	v_fma_f32 v24, -v41, v44, v24
	;; [unrolled: 3-line block ×12, first 2 shown]
	s_cbranch_scc1 .LBB33_34
.LBB33_35:
	s_mul_i32 s18, s8, 0x74
	s_add_i32 s33, s18, 0xffffff8c
	v_mov_b32_e32 v41, s33
	s_sub_i32 s33, s31, 28
	v_add_u32_e32 v40, 0xc40, v38
	v_add_u32_e32 v38, 0xc40, v39
	v_mov_b32_e32 v39, s18
	s_add_i32 s34, s33, s8
	s_lshl_b32 s34, s34, 2
	ds_read_b32 v39, v39
	v_mov_b32_e32 v44, s34
	s_add_i32 s34, s18, 0xffffff18
	v_mov_b32_e32 v45, s34
	ds_read2_b32 v[42:43], v41 offset1:1
	ds_read_b32 v41, v44
	ds_read2_b32 v[44:45], v45 offset1:1
	s_waitcnt lgkmcnt(3)
	v_mul_f32_e32 v10, v39, v10
	ds_write_b32 v40, v10
	s_waitcnt lgkmcnt(3)
	v_fma_f32 v11, -v10, v43, v11
	v_mul_f32_e32 v11, v42, v11
	ds_write_b32 v38, v11
	v_add_lshl_u32 v38, s33, v0, 2
	s_sub_i32 s33, s31, 56
	s_waitcnt lgkmcnt(3)
	v_fma_f32 v12, -v10, v41, v12
	s_add_i32 s34, s33, s8
	s_waitcnt lgkmcnt(2)
	v_fma_f32 v12, -v11, v45, v12
	s_lshl_b32 s34, s34, 2
	v_mul_f32_e32 v12, v44, v12
	s_add_i32 s34, s34, -4
	ds_write_b32 v38, v12 offset:3136
	v_mov_b32_e32 v38, s34
	s_add_i32 s34, s18, 0xfffffea4
	v_mov_b32_e32 v40, s34
	s_add_i32 s34, s31, 0xffffffac
	s_add_i32 s35, s34, s8
	ds_read2_b32 v[38:39], v38 offset1:1
	s_lshl_b32 s35, s35, 2
	v_mov_b32_e32 v42, s35
	s_add_i32 s35, s35, -8
	v_mov_b32_e32 v43, s35
	ds_read2_b32 v[40:41], v40 offset1:1
	ds_read_b32 v44, v42
	ds_read2_b32 v[42:43], v43 offset1:1
	s_waitcnt lgkmcnt(3)
	v_fma_f32 v14, -v10, v39, v14
	v_fma_f32 v14, -v11, v38, v14
	s_waitcnt lgkmcnt(2)
	v_fma_f32 v14, -v12, v41, v14
	v_mul_f32_e32 v14, v40, v14
	v_add_lshl_u32 v38, s33, v0, 2
	s_add_i32 s33, s18, 0xfffffe30
	ds_write_b32 v38, v14 offset:3136
	v_mov_b32_e32 v38, s33
	s_add_i32 s33, s31, 0xffffff90
	s_add_i32 s35, s33, s8
	s_waitcnt lgkmcnt(2)
	v_fma_f32 v16, -v10, v44, v16
	s_lshl_b32 s35, s35, 2
	s_waitcnt lgkmcnt(1)
	v_fma_f32 v16, -v11, v43, v16
	s_add_i32 s36, s35, -4
	s_add_i32 s35, s35, -12
	v_fma_f32 v16, -v12, v42, v16
	v_mov_b32_e32 v42, s35
	s_add_i32 s35, s18, 0xfffffdbc
	ds_read2_b32 v[38:39], v38 offset1:1
	v_mov_b32_e32 v40, s36
	v_mov_b32_e32 v44, s35
	ds_read2_b32 v[40:41], v40 offset1:1
	ds_read2_b32 v[42:43], v42 offset1:1
	;; [unrolled: 1-line block ×3, first 2 shown]
	s_add_i32 s30, s30, s8
	s_waitcnt lgkmcnt(3)
	v_fma_f32 v16, -v14, v39, v16
	s_waitcnt lgkmcnt(2)
	v_fma_f32 v17, -v10, v41, v17
	v_mul_f32_e32 v16, v38, v16
	v_add_lshl_u32 v38, s34, v0, 2
	v_fma_f32 v17, -v11, v40, v17
	ds_write_b32 v38, v16 offset:3136
	s_waitcnt lgkmcnt(2)
	v_fma_f32 v17, -v12, v43, v17
	v_add_lshl_u32 v38, s33, v0, 2
	s_add_i32 s33, s31, 0xffffff74
	v_fma_f32 v17, -v14, v42, v17
	s_add_i32 s34, s33, s8
	s_waitcnt lgkmcnt(1)
	v_fma_f32 v17, -v16, v45, v17
	s_lshl_b32 s34, s34, 2
	v_mul_f32_e32 v17, v44, v17
	s_add_i32 s35, s34, -4
	ds_write_b32 v38, v17 offset:3136
	v_mov_b32_e32 v38, s35
	ds_read2_b32 v[38:39], v38 offset1:1
	s_add_i32 s35, s34, -12
	s_sub_i32 s34, s34, 20
	v_mov_b32_e32 v40, s35
	v_mov_b32_e32 v42, s34
	ds_read2_b32 v[40:41], v40 offset1:1
	ds_read2_b32 v[42:43], v42 offset1:1
	s_waitcnt lgkmcnt(2)
	v_fma_f32 v18, -v10, v39, v18
	s_add_i32 s34, s18, 0xfffffd48
	v_fma_f32 v18, -v11, v38, v18
	v_mov_b32_e32 v38, s34
	ds_read_b32 v38, v38
	s_waitcnt lgkmcnt(2)
	v_fma_f32 v18, -v12, v41, v18
	v_fma_f32 v18, -v14, v40, v18
	s_waitcnt lgkmcnt(1)
	v_fma_f32 v18, -v16, v43, v18
	v_fma_f32 v18, -v17, v42, v18
	s_waitcnt lgkmcnt(0)
	v_mul_f32_e32 v18, v38, v18
	v_add_lshl_u32 v38, s33, v0, 2
	s_add_i32 s33, s31, 0xffffff58
	s_add_i32 s34, s33, s8
	s_lshl_b32 s34, s34, 2
	s_add_i32 s35, s34, -8
	ds_write_b32 v38, v18 offset:3136
	v_mov_b32_e32 v38, s34
	v_mov_b32_e32 v39, s35
	ds_read_b32 v44, v38
	ds_read2_b32 v[38:39], v39 offset1:1
	s_add_i32 s35, s34, -16
	s_sub_i32 s34, s34, 24
	v_mov_b32_e32 v40, s35
	v_mov_b32_e32 v42, s34
	ds_read2_b32 v[40:41], v40 offset1:1
	ds_read2_b32 v[42:43], v42 offset1:1
	s_waitcnt lgkmcnt(3)
	v_fma_f32 v21, -v10, v44, v21
	s_waitcnt lgkmcnt(2)
	v_fma_f32 v21, -v11, v39, v21
	s_add_i32 s34, s18, 0xfffffcd4
	v_fma_f32 v21, -v12, v38, v21
	v_mov_b32_e32 v38, s34
	ds_read_b32 v38, v38
	s_waitcnt lgkmcnt(2)
	v_fma_f32 v21, -v14, v41, v21
	v_fma_f32 v21, -v16, v40, v21
	s_waitcnt lgkmcnt(1)
	v_fma_f32 v21, -v17, v43, v21
	v_fma_f32 v21, -v18, v42, v21
	s_waitcnt lgkmcnt(0)
	v_mul_f32_e32 v21, v38, v21
	v_add_lshl_u32 v38, s33, v0, 2
	s_add_i32 s33, s31, 0xffffff3c
	s_add_i32 s34, s33, s8
	s_lshl_b32 s34, s34, 2
	s_add_i32 s35, s34, -4
	ds_write_b32 v38, v21 offset:3136
	v_mov_b32_e32 v38, s35
	ds_read2_b32 v[38:39], v38 offset1:1
	s_add_i32 s35, s34, -12
	v_mov_b32_e32 v40, s35
	s_sub_i32 s35, s34, 20
	s_sub_i32 s34, s34, 28
	v_mov_b32_e32 v42, s35
	v_mov_b32_e32 v44, s34
	ds_read2_b32 v[40:41], v40 offset1:1
	ds_read2_b32 v[42:43], v42 offset1:1
	;; [unrolled: 1-line block ×3, first 2 shown]
	s_waitcnt lgkmcnt(3)
	v_fma_f32 v22, -v10, v39, v22
	v_fma_f32 v22, -v11, v38, v22
	s_add_i32 s34, s18, 0xfffffc60
	s_waitcnt lgkmcnt(2)
	v_fma_f32 v22, -v12, v41, v22
	v_mov_b32_e32 v38, s34
	v_fma_f32 v22, -v14, v40, v22
	ds_read_b32 v38, v38
	s_waitcnt lgkmcnt(2)
	v_fma_f32 v22, -v16, v43, v22
	v_fma_f32 v22, -v17, v42, v22
	s_waitcnt lgkmcnt(1)
	v_fma_f32 v22, -v18, v45, v22
	v_fma_f32 v22, -v21, v44, v22
	s_waitcnt lgkmcnt(0)
	v_mul_f32_e32 v22, v38, v22
	v_add_lshl_u32 v38, s33, v0, 2
	s_add_i32 s33, s31, 0xffffff20
	s_add_i32 s34, s33, s8
	s_lshl_b32 s34, s34, 2
	s_add_i32 s35, s34, -8
	ds_write_b32 v38, v22 offset:3136
	v_mov_b32_e32 v38, s34
	v_mov_b32_e32 v39, s35
	ds_read_b32 v44, v38
	ds_read2_b32 v[38:39], v39 offset1:1
	s_add_i32 s35, s34, -16
	v_mov_b32_e32 v40, s35
	s_sub_i32 s35, s34, 24
	v_mov_b32_e32 v42, s35
	ds_read2_b32 v[40:41], v40 offset1:1
	ds_read2_b32 v[42:43], v42 offset1:1
	s_waitcnt lgkmcnt(3)
	v_fma_f32 v25, -v10, v44, v25
	s_waitcnt lgkmcnt(2)
	v_fma_f32 v25, -v11, v39, v25
	s_sub_i32 s34, s34, 32
	v_fma_f32 v25, -v12, v38, v25
	v_mov_b32_e32 v38, s34
	ds_read2_b32 v[38:39], v38 offset1:1
	s_waitcnt lgkmcnt(2)
	v_fma_f32 v25, -v14, v41, v25
	s_add_i32 s34, s18, 0xfffffbec
	v_fma_f32 v25, -v16, v40, v25
	v_mov_b32_e32 v40, s34
	ds_read_b32 v40, v40
	s_waitcnt lgkmcnt(2)
	v_fma_f32 v25, -v17, v43, v25
	v_fma_f32 v25, -v18, v42, v25
	s_waitcnt lgkmcnt(1)
	v_fma_f32 v25, -v21, v39, v25
	s_addk_i32 s31, 0xff04
	v_fma_f32 v25, -v22, v38, v25
	v_add_lshl_u32 v38, s33, v0, 2
	s_add_i32 s33, s31, s8
	s_lshl_b32 s33, s33, 2
	s_waitcnt lgkmcnt(0)
	v_mul_f32_e32 v25, v40, v25
	s_add_i32 s34, s33, -8
	ds_write_b32 v38, v25 offset:3136
	v_mov_b32_e32 v38, s33
	v_mov_b32_e32 v39, s34
	s_add_i32 s34, s33, -16
	ds_read_b32 v44, v38
	ds_read2_b32 v[38:39], v39 offset1:1
	v_mov_b32_e32 v40, s34
	s_sub_i32 s34, s33, 24
	v_mov_b32_e32 v42, s34
	ds_read2_b32 v[40:41], v40 offset1:1
	ds_read2_b32 v[42:43], v42 offset1:1
	s_waitcnt lgkmcnt(3)
	v_fma_f32 v28, -v10, v44, v28
	s_waitcnt lgkmcnt(2)
	v_fma_f32 v28, -v11, v39, v28
	v_fma_f32 v28, -v12, v38, v28
	s_sub_i32 s33, s33, 32
	s_waitcnt lgkmcnt(1)
	v_fma_f32 v28, -v14, v41, v28
	v_mov_b32_e32 v38, s33
	v_fma_f32 v28, -v16, v40, v28
	s_add_i32 s33, s18, 0xfffffb78
	s_lshl_b32 s30, s30, 2
	ds_read2_b32 v[38:39], v38 offset1:1
	s_waitcnt lgkmcnt(1)
	v_fma_f32 v28, -v17, v43, v28
	v_mov_b32_e32 v40, s33
	s_add_i32 s33, s30, -4
	v_fma_f32 v28, -v18, v42, v28
	v_mov_b32_e32 v42, s33
	s_add_i32 s33, s30, -12
	v_mov_b32_e32 v44, s33
	ds_read2_b32 v[40:41], v40 offset1:1
	ds_read2_b32 v[42:43], v42 offset1:1
	;; [unrolled: 1-line block ×3, first 2 shown]
	s_waitcnt lgkmcnt(3)
	v_fma_f32 v28, -v21, v39, v28
	v_fma_f32 v28, -v22, v38, v28
	s_waitcnt lgkmcnt(2)
	v_fma_f32 v28, -v25, v41, v28
	v_mul_f32_e32 v28, v40, v28
	v_add_lshl_u32 v38, s31, v0, 2
	s_sub_i32 s31, s30, 20
	ds_write_b32 v38, v28 offset:3136
	v_mov_b32_e32 v38, s31
	s_waitcnt lgkmcnt(2)
	v_fma_f32 v31, -v10, v43, v31
	ds_read2_b32 v[38:39], v38 offset1:1
	v_fma_f32 v31, -v11, v42, v31
	s_sub_i32 s31, s30, 28
	s_sub_i32 s30, s30, 36
	s_waitcnt lgkmcnt(2)
	v_fma_f32 v31, -v12, v45, v31
	v_mov_b32_e32 v42, s30
	s_add_i32 s30, s18, 0xfffffb04
	v_fma_f32 v31, -v14, v44, v31
	v_mov_b32_e32 v40, s31
	v_mov_b32_e32 v44, s30
	ds_read2_b32 v[40:41], v40 offset1:1
	ds_read2_b32 v[42:43], v42 offset1:1
	;; [unrolled: 1-line block ×3, first 2 shown]
	s_waitcnt lgkmcnt(3)
	v_fma_f32 v31, -v16, v39, v31
	v_fma_f32 v31, -v17, v38, v31
	s_waitcnt lgkmcnt(2)
	v_fma_f32 v31, -v18, v41, v31
	v_fma_f32 v31, -v21, v40, v31
	s_waitcnt lgkmcnt(1)
	v_fma_f32 v31, -v22, v43, v31
	v_fma_f32 v31, -v25, v42, v31
	s_add_i32 s29, s29, s8
	s_waitcnt lgkmcnt(0)
	v_fma_f32 v31, -v28, v45, v31
	s_lshl_b32 s29, s29, 2
	v_mul_f32_e32 v31, v44, v31
	s_add_i32 s30, s29, -8
	ds_write_b32 v37, v31 offset:3136
	v_mov_b32_e32 v37, s29
	v_mov_b32_e32 v38, s30
	s_add_i32 s30, s29, -16
	ds_read_b32 v37, v37
	ds_read2_b32 v[38:39], v38 offset1:1
	v_mov_b32_e32 v40, s30
	s_sub_i32 s30, s29, 24
	v_mov_b32_e32 v42, s30
	ds_read2_b32 v[40:41], v40 offset1:1
	ds_read2_b32 v[42:43], v42 offset1:1
	s_waitcnt lgkmcnt(3)
	v_fma_f32 v33, -v10, v37, v33
	s_waitcnt lgkmcnt(2)
	v_fma_f32 v33, -v11, v39, v33
	s_sub_i32 s30, s29, 32
	v_fma_f32 v33, -v12, v38, v33
	v_mov_b32_e32 v37, s30
	s_waitcnt lgkmcnt(1)
	v_fma_f32 v33, -v14, v41, v33
	ds_read2_b32 v[38:39], v37 offset1:1
	v_fma_f32 v33, -v16, v40, v33
	s_sub_i32 s29, s29, 40
	s_add_i32 s28, s28, s8
	s_waitcnt lgkmcnt(1)
	v_fma_f32 v33, -v17, v43, v33
	v_mov_b32_e32 v40, s29
	s_add_i32 s29, s18, 0xfffffa90
	s_lshl_b32 s28, s28, 2
	v_fma_f32 v33, -v18, v42, v33
	v_mov_b32_e32 v42, s29
	s_add_i32 s29, s28, -4
	v_mov_b32_e32 v37, s29
	ds_read2_b32 v[40:41], v40 offset1:1
	ds_read2_b32 v[42:43], v42 offset1:1
	;; [unrolled: 1-line block ×3, first 2 shown]
	s_waitcnt lgkmcnt(3)
	v_fma_f32 v33, -v21, v39, v33
	v_fma_f32 v33, -v22, v38, v33
	s_waitcnt lgkmcnt(2)
	v_fma_f32 v33, -v25, v41, v33
	v_fma_f32 v33, -v28, v40, v33
	s_waitcnt lgkmcnt(1)
	v_fma_f32 v33, -v31, v43, v33
	v_mul_f32_e32 v33, v42, v33
	s_add_i32 s29, s28, -12
	ds_write_b32 v35, v33 offset:3136
	s_waitcnt lgkmcnt(1)
	v_fma_f32 v35, -v10, v45, v36
	v_mov_b32_e32 v36, s29
	s_sub_i32 s29, s28, 20
	ds_read2_b32 v[36:37], v36 offset1:1
	v_mov_b32_e32 v38, s29
	s_sub_i32 s29, s28, 28
	v_mov_b32_e32 v40, s29
	s_sub_i32 s29, s28, 36
	v_mov_b32_e32 v42, s29
	v_fma_f32 v35, -v11, v44, v35
	ds_read2_b32 v[38:39], v38 offset1:1
	ds_read2_b32 v[40:41], v40 offset1:1
	;; [unrolled: 1-line block ×3, first 2 shown]
	s_waitcnt lgkmcnt(3)
	v_fma_f32 v35, -v12, v37, v35
	v_fma_f32 v35, -v14, v36, v35
	s_sub_i32 s28, s28, 44
	s_waitcnt lgkmcnt(2)
	v_fma_f32 v35, -v16, v39, v35
	v_mov_b32_e32 v36, s28
	v_fma_f32 v35, -v17, v38, v35
	s_add_i32 s27, s27, s8
	ds_read2_b32 v[36:37], v36 offset1:1
	s_waitcnt lgkmcnt(2)
	v_fma_f32 v35, -v18, v41, v35
	s_add_i32 s28, s18, 0xfffffa1c
	s_lshl_b32 s27, s27, 2
	v_fma_f32 v35, -v21, v40, v35
	v_mov_b32_e32 v38, s28
	s_add_i32 s28, s27, -8
	s_waitcnt lgkmcnt(1)
	v_fma_f32 v35, -v22, v43, v35
	v_mov_b32_e32 v40, s27
	v_mov_b32_e32 v41, s28
	v_fma_f32 v35, -v25, v42, v35
	ds_read2_b32 v[38:39], v38 offset1:1
	ds_read_b32 v42, v40
	ds_read2_b32 v[40:41], v41 offset1:1
	s_waitcnt lgkmcnt(3)
	v_fma_f32 v35, -v28, v37, v35
	v_fma_f32 v35, -v31, v36, v35
	s_waitcnt lgkmcnt(2)
	v_fma_f32 v35, -v33, v39, v35
	v_mul_f32_e32 v35, v38, v35
	s_add_i32 s28, s27, -16
	ds_write_b32 v32, v35 offset:3136
	s_waitcnt lgkmcnt(2)
	v_fma_f32 v32, -v10, v42, v34
	v_mov_b32_e32 v34, s28
	ds_read2_b32 v[36:37], v34 offset1:1
	s_sub_i32 s28, s27, 24
	s_waitcnt lgkmcnt(2)
	v_fma_f32 v32, -v11, v41, v32
	v_mov_b32_e32 v38, s28
	s_sub_i32 s28, s27, 32
	v_fma_f32 v32, -v12, v40, v32
	v_mov_b32_e32 v40, s28
	s_sub_i32 s28, s27, 40
	v_mov_b32_e32 v34, s28
	ds_read2_b32 v[38:39], v38 offset1:1
	ds_read2_b32 v[40:41], v40 offset1:1
	;; [unrolled: 1-line block ×3, first 2 shown]
	s_waitcnt lgkmcnt(3)
	v_fma_f32 v32, -v14, v37, v32
	v_fma_f32 v32, -v16, v36, v32
	s_sub_i32 s27, s27, 48
	s_waitcnt lgkmcnt(2)
	v_fma_f32 v32, -v17, v39, v32
	v_mov_b32_e32 v34, s27
	v_fma_f32 v32, -v18, v38, v32
	s_add_i32 s25, s25, s8
	ds_read2_b32 v[36:37], v34 offset1:1
	s_waitcnt lgkmcnt(2)
	v_fma_f32 v32, -v21, v41, v32
	s_add_i32 s27, s18, 0xfffff9a8
	s_lshl_b32 s25, s25, 2
	v_fma_f32 v32, -v22, v40, v32
	v_mov_b32_e32 v38, s27
	s_add_i32 s27, s25, -4
	s_waitcnt lgkmcnt(1)
	v_fma_f32 v32, -v25, v43, v32
	v_mov_b32_e32 v40, s27
	s_add_i32 s27, s25, -12
	v_fma_f32 v32, -v28, v42, v32
	v_mov_b32_e32 v34, s27
	ds_read2_b32 v[38:39], v38 offset1:1
	ds_read2_b32 v[40:41], v40 offset1:1
	;; [unrolled: 1-line block ×3, first 2 shown]
	s_waitcnt lgkmcnt(3)
	v_fma_f32 v32, -v31, v37, v32
	v_fma_f32 v32, -v33, v36, v32
	s_waitcnt lgkmcnt(2)
	v_fma_f32 v32, -v35, v39, v32
	v_mul_f32_e32 v32, v38, v32
	s_sub_i32 s27, s25, 20
	ds_write_b32 v29, v32 offset:3136
	s_waitcnt lgkmcnt(2)
	v_fma_f32 v29, -v10, v41, v30
	v_mov_b32_e32 v30, s27
	ds_read2_b32 v[36:37], v30 offset1:1
	s_sub_i32 s27, s25, 28
	v_fma_f32 v29, -v11, v40, v29
	v_mov_b32_e32 v34, s27
	s_sub_i32 s27, s25, 36
	s_waitcnt lgkmcnt(2)
	v_fma_f32 v29, -v12, v43, v29
	v_mov_b32_e32 v40, s27
	s_sub_i32 s27, s25, 44
	v_fma_f32 v29, -v14, v42, v29
	v_mov_b32_e32 v30, s27
	ds_read2_b32 v[38:39], v34 offset1:1
	ds_read2_b32 v[40:41], v40 offset1:1
	ds_read2_b32 v[42:43], v30 offset1:1
	s_waitcnt lgkmcnt(3)
	v_fma_f32 v29, -v16, v37, v29
	v_fma_f32 v29, -v17, v36, v29
	s_sub_i32 s25, s25, 52
	s_waitcnt lgkmcnt(2)
	v_fma_f32 v29, -v18, v39, v29
	v_mov_b32_e32 v30, s25
	v_fma_f32 v29, -v21, v38, v29
	ds_read2_b32 v[36:37], v30 offset1:1
	s_waitcnt lgkmcnt(2)
	v_fma_f32 v29, -v22, v41, v29
	s_add_i32 s24, s24, s8
	v_fma_f32 v29, -v25, v40, v29
	s_add_i32 s25, s18, 0xfffff934
	s_lshl_b32 s24, s24, 2
	s_waitcnt lgkmcnt(1)
	v_fma_f32 v29, -v28, v43, v29
	v_mov_b32_e32 v34, s25
	v_mov_b32_e32 v40, s24
	s_add_i32 s25, s24, -8
	v_fma_f32 v29, -v31, v42, v29
	v_mov_b32_e32 v30, s25
	ds_read2_b32 v[38:39], v34 offset1:1
	ds_read_b32 v34, v40
	ds_read2_b32 v[40:41], v30 offset1:1
	s_waitcnt lgkmcnt(3)
	v_fma_f32 v29, -v33, v37, v29
	v_fma_f32 v29, -v35, v36, v29
	s_waitcnt lgkmcnt(2)
	v_fma_f32 v29, -v32, v39, v29
	v_mul_f32_e32 v29, v38, v29
	ds_write_b32 v26, v29 offset:3136
	s_waitcnt lgkmcnt(2)
	v_fma_f32 v26, -v10, v34, v27
	s_waitcnt lgkmcnt(1)
	v_fma_f32 v26, -v11, v41, v26
	s_add_i32 s25, s24, -16
	v_fma_f32 v30, -v12, v40, v26
	v_mov_b32_e32 v26, s25
	s_sub_i32 s25, s24, 24
	ds_read2_b32 v[26:27], v26 offset1:1
	v_mov_b32_e32 v34, s25
	s_sub_i32 s25, s24, 32
	v_mov_b32_e32 v38, s25
	s_sub_i32 s25, s24, 40
	v_mov_b32_e32 v40, s25
	ds_read2_b32 v[36:37], v34 offset1:1
	ds_read2_b32 v[38:39], v38 offset1:1
	;; [unrolled: 1-line block ×3, first 2 shown]
	s_waitcnt lgkmcnt(3)
	v_fma_f32 v27, -v14, v27, v30
	v_fma_f32 v26, -v16, v26, v27
	s_waitcnt lgkmcnt(2)
	v_fma_f32 v26, -v17, v37, v26
	v_fma_f32 v26, -v18, v36, v26
	;; [unrolled: 3-line block ×3, first 2 shown]
	s_waitcnt lgkmcnt(0)
	v_fma_f32 v26, -v25, v41, v26
	s_sub_i32 s25, s24, 48
	v_fma_f32 v30, -v28, v40, v26
	v_mov_b32_e32 v26, s25
	s_sub_i32 s24, s24, 56
	s_add_i32 s23, s23, s8
	ds_read2_b32 v[26:27], v26 offset1:1
	v_mov_b32_e32 v34, s24
	s_add_i32 s24, s18, 0xfffff8c0
	s_lshl_b32 s23, s23, 2
	v_mov_b32_e32 v38, s24
	s_add_i32 s24, s23, -4
	v_mov_b32_e32 v40, s24
	ds_read2_b32 v[36:37], v34 offset1:1
	ds_read2_b32 v[38:39], v38 offset1:1
	;; [unrolled: 1-line block ×3, first 2 shown]
	s_waitcnt lgkmcnt(3)
	v_fma_f32 v27, -v31, v27, v30
	v_fma_f32 v26, -v33, v26, v27
	s_waitcnt lgkmcnt(2)
	v_fma_f32 v26, -v35, v37, v26
	v_fma_f32 v26, -v32, v36, v26
	s_waitcnt lgkmcnt(1)
	v_fma_f32 v26, -v29, v39, v26
	v_mul_f32_e32 v26, v38, v26
	s_add_i32 s24, s23, -12
	ds_write_b32 v23, v26 offset:3136
	s_waitcnt lgkmcnt(1)
	v_fma_f32 v23, -v10, v41, v24
	v_mov_b32_e32 v24, s24
	ds_read2_b32 v[36:37], v24 offset1:1
	s_sub_i32 s24, s23, 20
	v_mov_b32_e32 v27, s24
	s_sub_i32 s24, s23, 28
	v_mov_b32_e32 v30, s24
	s_sub_i32 s24, s23, 36
	v_fma_f32 v23, -v11, v40, v23
	v_mov_b32_e32 v24, s24
	ds_read2_b32 v[38:39], v27 offset1:1
	ds_read2_b32 v[40:41], v30 offset1:1
	;; [unrolled: 1-line block ×3, first 2 shown]
	s_waitcnt lgkmcnt(3)
	v_fma_f32 v23, -v12, v37, v23
	v_fma_f32 v23, -v14, v36, v23
	s_sub_i32 s24, s23, 44
	s_waitcnt lgkmcnt(2)
	v_fma_f32 v23, -v16, v39, v23
	v_mov_b32_e32 v24, s24
	v_fma_f32 v23, -v17, v38, v23
	ds_read2_b32 v[36:37], v24 offset1:1
	s_waitcnt lgkmcnt(2)
	v_fma_f32 v23, -v18, v41, v23
	v_fma_f32 v23, -v21, v40, v23
	s_sub_i32 s24, s23, 52
	s_sub_i32 s23, s23, 60
	s_waitcnt lgkmcnt(1)
	v_fma_f32 v23, -v22, v43, v23
	v_mov_b32_e32 v27, s24
	v_mov_b32_e32 v30, s23
	s_add_i32 s23, s18, 0xfffff84c
	v_fma_f32 v23, -v25, v42, v23
	v_mov_b32_e32 v24, s23
	ds_read2_b32 v[38:39], v27 offset1:1
	ds_read2_b32 v[40:41], v30 offset1:1
	;; [unrolled: 1-line block ×3, first 2 shown]
	s_waitcnt lgkmcnt(3)
	v_fma_f32 v23, -v28, v37, v23
	v_fma_f32 v23, -v31, v36, v23
	s_waitcnt lgkmcnt(2)
	v_fma_f32 v23, -v33, v39, v23
	v_fma_f32 v23, -v35, v38, v23
	;; [unrolled: 3-line block ×3, first 2 shown]
	s_waitcnt lgkmcnt(0)
	v_fma_f32 v23, -v26, v43, v23
	s_add_i32 s21, s21, s8
	v_mul_f32_e32 v23, v42, v23
	s_lshl_b32 s21, s21, 2
	ds_write_b32 v20, v23 offset:3136
	v_mov_b32_e32 v20, s21
	s_add_i32 s23, s21, -8
	v_mov_b32_e32 v24, s23
	ds_read_b32 v20, v20
	ds_read2_b32 v[36:37], v24 offset1:1
	s_add_i32 s23, s21, -16
	v_mov_b32_e32 v27, s23
	s_sub_i32 s23, s21, 24
	v_mov_b32_e32 v24, s23
	ds_read2_b32 v[38:39], v27 offset1:1
	ds_read2_b32 v[40:41], v24 offset1:1
	s_waitcnt lgkmcnt(3)
	v_fma_f32 v19, -v10, v20, v19
	s_sub_i32 s23, s21, 32
	s_waitcnt lgkmcnt(2)
	v_fma_f32 v19, -v11, v37, v19
	v_mov_b32_e32 v20, s23
	v_fma_f32 v19, -v12, v36, v19
	ds_read2_b32 v[36:37], v20 offset1:1
	s_waitcnt lgkmcnt(2)
	v_fma_f32 v19, -v14, v39, v19
	s_sub_i32 s23, s21, 40
	v_fma_f32 v19, -v16, v38, v19
	v_mov_b32_e32 v24, s23
	s_sub_i32 s23, s21, 48
	s_waitcnt lgkmcnt(1)
	v_fma_f32 v19, -v17, v41, v19
	v_mov_b32_e32 v27, s23
	s_sub_i32 s23, s21, 56
	v_fma_f32 v19, -v18, v40, v19
	v_mov_b32_e32 v20, s23
	ds_read2_b32 v[38:39], v24 offset1:1
	ds_read2_b32 v[40:41], v27 offset1:1
	;; [unrolled: 1-line block ×3, first 2 shown]
	s_waitcnt lgkmcnt(3)
	v_fma_f32 v19, -v21, v37, v19
	v_fma_f32 v19, -v22, v36, v19
	s_sub_i32 s21, s21, 64
	s_waitcnt lgkmcnt(2)
	v_fma_f32 v19, -v25, v39, v19
	v_mov_b32_e32 v20, s21
	v_fma_f32 v19, -v28, v38, v19
	s_add_i32 s20, s20, s8
	ds_read2_b32 v[36:37], v20 offset1:1
	s_waitcnt lgkmcnt(2)
	v_fma_f32 v19, -v31, v41, v19
	s_add_i32 s21, s18, 0xfffff7d8
	s_lshl_b32 s20, s20, 2
	v_fma_f32 v19, -v33, v40, v19
	v_mov_b32_e32 v24, s21
	s_add_i32 s21, s20, -4
	s_waitcnt lgkmcnt(1)
	v_fma_f32 v19, -v35, v43, v19
	v_mov_b32_e32 v27, s21
	s_add_i32 s21, s20, -12
	v_fma_f32 v19, -v32, v42, v19
	v_mov_b32_e32 v20, s21
	ds_read2_b32 v[38:39], v24 offset1:1
	ds_read2_b32 v[40:41], v27 offset1:1
	;; [unrolled: 1-line block ×3, first 2 shown]
	s_waitcnt lgkmcnt(3)
	v_fma_f32 v19, -v29, v37, v19
	v_fma_f32 v19, -v26, v36, v19
	s_waitcnt lgkmcnt(2)
	v_fma_f32 v19, -v23, v39, v19
	v_mul_f32_e32 v19, v38, v19
	s_sub_i32 s21, s20, 20
	ds_write_b32 v13, v19 offset:3136
	s_waitcnt lgkmcnt(2)
	v_fma_f32 v13, -v10, v41, v15
	v_mov_b32_e32 v15, s21
	ds_read2_b32 v[36:37], v15 offset1:1
	s_sub_i32 s21, s20, 28
	v_fma_f32 v13, -v11, v40, v13
	v_mov_b32_e32 v20, s21
	s_sub_i32 s21, s20, 36
	s_waitcnt lgkmcnt(2)
	v_fma_f32 v13, -v12, v43, v13
	v_mov_b32_e32 v24, s21
	s_sub_i32 s21, s20, 44
	v_fma_f32 v13, -v14, v42, v13
	v_mov_b32_e32 v15, s21
	ds_read2_b32 v[38:39], v20 offset1:1
	ds_read2_b32 v[40:41], v24 offset1:1
	;; [unrolled: 1-line block ×3, first 2 shown]
	s_waitcnt lgkmcnt(3)
	v_fma_f32 v13, -v16, v37, v13
	v_fma_f32 v13, -v17, v36, v13
	s_sub_i32 s21, s20, 52
	s_waitcnt lgkmcnt(2)
	v_fma_f32 v13, -v18, v39, v13
	v_mov_b32_e32 v15, s21
	v_fma_f32 v13, -v21, v38, v13
	ds_read2_b32 v[36:37], v15 offset1:1
	s_waitcnt lgkmcnt(2)
	v_fma_f32 v13, -v22, v41, v13
	v_fma_f32 v13, -v25, v40, v13
	s_sub_i32 s21, s20, 60
	s_addk_i32 s20, 0xffbc
	s_waitcnt lgkmcnt(1)
	v_fma_f32 v13, -v28, v43, v13
	v_mov_b32_e32 v20, s21
	v_mov_b32_e32 v24, s20
	s_add_i32 s20, s18, 0xfffff764
	v_fma_f32 v13, -v31, v42, v13
	v_mov_b32_e32 v15, s20
	ds_read2_b32 v[38:39], v20 offset1:1
	ds_read2_b32 v[40:41], v24 offset1:1
	;; [unrolled: 1-line block ×3, first 2 shown]
	s_waitcnt lgkmcnt(3)
	v_fma_f32 v13, -v33, v37, v13
	v_fma_f32 v13, -v35, v36, v13
	s_waitcnt lgkmcnt(2)
	v_fma_f32 v13, -v32, v39, v13
	v_fma_f32 v13, -v29, v38, v13
	;; [unrolled: 3-line block ×3, first 2 shown]
	s_waitcnt lgkmcnt(0)
	v_fma_f32 v13, -v19, v43, v13
	s_add_i32 s19, s19, s8
	v_mul_f32_e32 v13, v42, v13
	s_lshl_b32 s19, s19, 2
	ds_write_b32 v9, v13 offset:3136
	v_mov_b32_e32 v9, s19
	s_add_i32 s20, s19, -8
	v_mov_b32_e32 v15, s20
	ds_read_b32 v9, v9
	ds_read2_b32 v[36:37], v15 offset1:1
	s_add_i32 s20, s19, -16
	v_mov_b32_e32 v20, s20
	s_sub_i32 s20, s19, 24
	v_mov_b32_e32 v15, s20
	ds_read2_b32 v[38:39], v20 offset1:1
	ds_read2_b32 v[40:41], v15 offset1:1
	s_waitcnt lgkmcnt(3)
	v_fma_f32 v8, -v10, v9, v8
	s_waitcnt lgkmcnt(2)
	v_fma_f32 v8, -v11, v37, v8
	v_fma_f32 v8, -v12, v36, v8
	s_waitcnt lgkmcnt(1)
	v_fma_f32 v8, -v14, v39, v8
	;; [unrolled: 3-line block ×3, first 2 shown]
	s_sub_i32 s20, s19, 32
	v_fma_f32 v15, -v18, v40, v8
	v_mov_b32_e32 v8, s20
	ds_read2_b32 v[8:9], v8 offset1:1
	s_sub_i32 s20, s19, 40
	v_mov_b32_e32 v20, s20
	s_sub_i32 s20, s19, 48
	v_mov_b32_e32 v24, s20
	s_sub_i32 s20, s19, 56
	v_mov_b32_e32 v27, s20
	ds_read2_b32 v[36:37], v20 offset1:1
	ds_read2_b32 v[38:39], v24 offset1:1
	;; [unrolled: 1-line block ×3, first 2 shown]
	s_waitcnt lgkmcnt(3)
	v_fma_f32 v9, -v21, v9, v15
	v_fma_f32 v8, -v22, v8, v9
	s_waitcnt lgkmcnt(2)
	v_fma_f32 v8, -v25, v37, v8
	v_fma_f32 v8, -v28, v36, v8
	;; [unrolled: 3-line block ×3, first 2 shown]
	s_waitcnt lgkmcnt(0)
	v_fma_f32 v8, -v35, v41, v8
	s_sub_i32 s20, s19, 64
	v_fma_f32 v15, -v32, v40, v8
	v_mov_b32_e32 v8, s20
	ds_read2_b32 v[8:9], v8 offset1:1
	s_addk_i32 s19, 0xffb8
	s_add_i32 s15, s15, s8
	v_mov_b32_e32 v20, s19
	s_add_i32 s19, s18, 0xfffff6f0
	s_lshl_b32 s15, s15, 2
	v_mov_b32_e32 v24, s19
	s_add_i32 s19, s15, -4
	v_mov_b32_e32 v27, s19
	ds_read2_b32 v[36:37], v20 offset1:1
	ds_read2_b32 v[38:39], v24 offset1:1
	ds_read2_b32 v[40:41], v27 offset1:1
	s_waitcnt lgkmcnt(3)
	v_fma_f32 v9, -v29, v9, v15
	v_fma_f32 v8, -v26, v8, v9
	s_waitcnt lgkmcnt(2)
	v_fma_f32 v8, -v23, v37, v8
	v_fma_f32 v8, -v19, v36, v8
	s_waitcnt lgkmcnt(1)
	v_fma_f32 v8, -v13, v39, v8
	v_mul_f32_e32 v15, v38, v8
	ds_write_b32 v6, v15 offset:3136
	s_waitcnt lgkmcnt(1)
	v_fma_f32 v6, -v10, v41, v7
	s_add_i32 s19, s15, -12
	v_fma_f32 v20, -v11, v40, v6
	v_mov_b32_e32 v6, s19
	ds_read2_b32 v[6:7], v6 offset1:1
	s_sub_i32 s19, s15, 20
	v_mov_b32_e32 v8, s19
	s_sub_i32 s19, s15, 28
	v_mov_b32_e32 v24, s19
	;; [unrolled: 2-line block ×3, first 2 shown]
	ds_read2_b32 v[8:9], v8 offset1:1
	ds_read2_b32 v[36:37], v24 offset1:1
	;; [unrolled: 1-line block ×3, first 2 shown]
	s_waitcnt lgkmcnt(3)
	v_fma_f32 v7, -v12, v7, v20
	v_fma_f32 v6, -v14, v6, v7
	s_waitcnt lgkmcnt(2)
	v_fma_f32 v6, -v16, v9, v6
	v_fma_f32 v6, -v17, v8, v6
	s_waitcnt lgkmcnt(1)
	v_fma_f32 v6, -v18, v37, v6
	v_fma_f32 v6, -v21, v36, v6
	s_waitcnt lgkmcnt(0)
	v_fma_f32 v6, -v22, v39, v6
	s_sub_i32 s19, s15, 44
	v_fma_f32 v20, -v25, v38, v6
	v_mov_b32_e32 v6, s19
	ds_read2_b32 v[6:7], v6 offset1:1
	s_sub_i32 s19, s15, 52
	v_mov_b32_e32 v8, s19
	s_sub_i32 s19, s15, 60
	v_mov_b32_e32 v24, s19
	s_add_i32 s19, s15, 0xffffffbc
	v_mov_b32_e32 v27, s19
	ds_read2_b32 v[8:9], v8 offset1:1
	ds_read2_b32 v[36:37], v24 offset1:1
	;; [unrolled: 1-line block ×3, first 2 shown]
	s_waitcnt lgkmcnt(3)
	v_fma_f32 v7, -v28, v7, v20
	v_fma_f32 v6, -v31, v6, v7
	s_waitcnt lgkmcnt(2)
	v_fma_f32 v6, -v33, v9, v6
	v_fma_f32 v6, -v35, v8, v6
	;; [unrolled: 3-line block ×3, first 2 shown]
	s_waitcnt lgkmcnt(0)
	v_fma_f32 v6, -v26, v39, v6
	s_addk_i32 s15, 0xffb4
	v_fma_f32 v20, -v23, v38, v6
	v_mov_b32_e32 v6, s15
	ds_read2_b32 v[6:7], v6 offset1:1
	s_add_i32 s14, s14, s8
	s_add_i32 s15, s18, 0xfffff67c
	s_lshl_b32 s14, s14, 2
	v_mov_b32_e32 v8, s15
	v_mov_b32_e32 v24, s14
	s_add_i32 s15, s14, -8
	v_mov_b32_e32 v27, s15
	ds_read2_b32 v[8:9], v8 offset1:1
	ds_read_b32 v24, v24
	ds_read2_b32 v[36:37], v27 offset1:1
	s_waitcnt lgkmcnt(3)
	v_fma_f32 v7, -v19, v7, v20
	v_fma_f32 v6, -v13, v6, v7
	s_waitcnt lgkmcnt(2)
	v_fma_f32 v6, -v15, v9, v6
	v_mul_f32_e32 v20, v8, v6
	ds_write_b32 v4, v20 offset:3136
	s_waitcnt lgkmcnt(2)
	v_fma_f32 v4, -v10, v24, v5
	s_waitcnt lgkmcnt(1)
	v_fma_f32 v4, -v11, v37, v4
	s_add_i32 s15, s14, -16
	v_fma_f32 v24, -v12, v36, v4
	v_mov_b32_e32 v4, s15
	ds_read2_b32 v[4:5], v4 offset1:1
	s_sub_i32 s15, s14, 24
	v_mov_b32_e32 v6, s15
	s_sub_i32 s15, s14, 32
	v_mov_b32_e32 v8, s15
	;; [unrolled: 2-line block ×3, first 2 shown]
	ds_read2_b32 v[6:7], v6 offset1:1
	ds_read2_b32 v[8:9], v8 offset1:1
	ds_read2_b32 v[36:37], v27 offset1:1
	s_waitcnt lgkmcnt(3)
	v_fma_f32 v5, -v14, v5, v24
	v_fma_f32 v4, -v16, v4, v5
	s_waitcnt lgkmcnt(2)
	v_fma_f32 v4, -v17, v7, v4
	v_fma_f32 v4, -v18, v6, v4
	;; [unrolled: 3-line block ×3, first 2 shown]
	s_waitcnt lgkmcnt(0)
	v_fma_f32 v4, -v25, v37, v4
	s_sub_i32 s15, s14, 48
	v_fma_f32 v24, -v28, v36, v4
	v_mov_b32_e32 v4, s15
	ds_read2_b32 v[4:5], v4 offset1:1
	s_sub_i32 s15, s14, 56
	v_mov_b32_e32 v6, s15
	s_sub_i32 s15, s14, 64
	v_mov_b32_e32 v8, s15
	s_add_i32 s15, s14, 0xffffffb8
	v_mov_b32_e32 v27, s15
	ds_read2_b32 v[6:7], v6 offset1:1
	ds_read2_b32 v[8:9], v8 offset1:1
	;; [unrolled: 1-line block ×3, first 2 shown]
	s_waitcnt lgkmcnt(3)
	v_fma_f32 v5, -v31, v5, v24
	v_fma_f32 v4, -v33, v4, v5
	s_waitcnt lgkmcnt(2)
	v_fma_f32 v4, -v35, v7, v4
	v_fma_f32 v4, -v32, v6, v4
	;; [unrolled: 3-line block ×3, first 2 shown]
	s_waitcnt lgkmcnt(0)
	v_fma_f32 v4, -v23, v37, v4
	s_addk_i32 s14, 0xffb0
	v_fma_f32 v24, -v19, v36, v4
	v_mov_b32_e32 v4, s14
	s_add_i32 s9, s9, s8
	ds_read2_b32 v[4:5], v4 offset1:1
	s_add_i32 s14, s18, 0xfffff608
	s_lshl_b32 s9, s9, 2
	v_mov_b32_e32 v6, s14
	s_add_i32 s14, s9, -4
	v_mov_b32_e32 v8, s14
	s_add_i32 s14, s9, -12
	v_mov_b32_e32 v27, s14
	ds_read2_b32 v[6:7], v6 offset1:1
	ds_read2_b32 v[8:9], v8 offset1:1
	;; [unrolled: 1-line block ×3, first 2 shown]
	s_waitcnt lgkmcnt(3)
	v_fma_f32 v5, -v13, v5, v24
	v_fma_f32 v4, -v15, v4, v5
	s_waitcnt lgkmcnt(2)
	v_fma_f32 v4, -v20, v7, v4
	v_mul_f32_e32 v24, v6, v4
	ds_write_b32 v2, v24 offset:3136
	s_waitcnt lgkmcnt(2)
	v_fma_f32 v2, -v10, v9, v3
	v_fma_f32 v2, -v11, v8, v2
	s_waitcnt lgkmcnt(1)
	v_fma_f32 v2, -v12, v37, v2
	s_sub_i32 s14, s9, 20
	v_fma_f32 v10, -v14, v36, v2
	v_mov_b32_e32 v2, s14
	s_sub_i32 s14, s9, 28
	ds_read2_b32 v[2:3], v2 offset1:1
	v_mov_b32_e32 v4, s14
	s_sub_i32 s14, s9, 36
	v_mov_b32_e32 v6, s14
	s_sub_i32 s14, s9, 44
	v_mov_b32_e32 v8, s14
	ds_read2_b32 v[4:5], v4 offset1:1
	ds_read2_b32 v[6:7], v6 offset1:1
	;; [unrolled: 1-line block ×3, first 2 shown]
	s_waitcnt lgkmcnt(3)
	v_fma_f32 v3, -v16, v3, v10
	v_fma_f32 v2, -v17, v2, v3
	s_waitcnt lgkmcnt(2)
	v_fma_f32 v2, -v18, v5, v2
	v_fma_f32 v2, -v21, v4, v2
	;; [unrolled: 3-line block ×3, first 2 shown]
	s_waitcnt lgkmcnt(0)
	v_fma_f32 v2, -v28, v9, v2
	s_sub_i32 s14, s9, 52
	v_fma_f32 v10, -v31, v8, v2
	v_mov_b32_e32 v2, s14
	s_sub_i32 s14, s9, 60
	ds_read2_b32 v[2:3], v2 offset1:1
	v_mov_b32_e32 v4, s14
	s_add_i32 s14, s9, 0xffffffbc
	v_mov_b32_e32 v6, s14
	s_add_i32 s14, s9, 0xffffffb4
	v_mov_b32_e32 v8, s14
	ds_read2_b32 v[4:5], v4 offset1:1
	ds_read2_b32 v[6:7], v6 offset1:1
	;; [unrolled: 1-line block ×3, first 2 shown]
	s_waitcnt lgkmcnt(3)
	v_fma_f32 v3, -v33, v3, v10
	v_fma_f32 v2, -v35, v2, v3
	s_waitcnt lgkmcnt(2)
	v_fma_f32 v2, -v32, v5, v2
	v_fma_f32 v2, -v29, v4, v2
	s_waitcnt lgkmcnt(1)
	v_fma_f32 v2, -v26, v7, v2
	s_addk_i32 s9, 0xffac
	v_fma_f32 v6, -v23, v6, v2
	v_mov_b32_e32 v2, s9
	s_add_i32 s9, s18, 0xfffff594
	ds_read2_b32 v[2:3], v2 offset1:1
	v_mov_b32_e32 v4, s9
	ds_read2_b32 v[4:5], v4 offset1:1
	s_waitcnt lgkmcnt(2)
	v_fma_f32 v6, -v19, v9, v6
	v_fma_f32 v6, -v13, v8, v6
	s_waitcnt lgkmcnt(1)
	v_fma_f32 v3, -v15, v3, v6
	v_fma_f32 v2, -v20, v2, v3
	s_waitcnt lgkmcnt(0)
	v_fma_f32 v2, -v24, v5, v2
	v_mul_f32_e32 v2, v4, v2
	s_sub_i32 s8, s8, 24
	ds_write_b32 v1, v2 offset:3136
.LBB33_36:
	s_cmp_lt_i32 s8, 0
	s_cbranch_scc1 .LBB33_49
; %bb.37:
	s_bitcmp1_b32 s8, 0
	s_cselect_b64 s[14:15], -1, 0
	s_and_b64 vcc, exec, s[14:15]
	s_mov_b32 s9, s8
	s_cbranch_vccnz .LBB33_42
; %bb.38:
	s_mul_i32 s9, s8, 28
	v_add_lshl_u32 v2, s9, v0, 2
	ds_read_b32 v1, v2 offset:3136
	s_cmp_le_i32 s6, s8
	s_cbranch_scc1 .LBB33_41
; %bb.39:
	s_mul_i32 s9, s8, 0x70
	s_lshl_b32 s14, s26, 2
	s_add_i32 s9, s9, s14
	s_mul_i32 s14, s26, 0x70
	v_lshl_add_u32 v3, v0, 2, s14
	s_add_i32 s9, s9, -4
	v_add_u32_e32 v3, 0xbd0, v3
	s_mov_b32 s14, s6
.LBB33_40:                              ; =>This Inner Loop Header: Depth=1
	v_mov_b32_e32 v5, s9
	ds_read_b32 v4, v3
	ds_read_b32 v5, v5
	s_add_i32 s14, s14, -1
	s_add_i32 s9, s9, -4
	v_add_u32_e32 v3, 0xffffff90, v3
	s_cmp_gt_i32 s14, s8
	s_waitcnt lgkmcnt(0)
	v_fma_f32 v1, -v4, v5, v1
	s_cbranch_scc1 .LBB33_40
.LBB33_41:
	s_mul_i32 s9, s8, 0x74
	v_mov_b32_e32 v3, s9
	ds_read_b32 v3, v3
	v_add_u32_e32 v2, 0xc40, v2
	s_add_i32 s9, s8, -1
	s_waitcnt lgkmcnt(0)
	v_mul_f32_e32 v1, v3, v1
	ds_write_b32 v2, v1
.LBB33_42:
	s_cmp_eq_u32 s8, 0
	s_cbranch_scc1 .LBB33_49
; %bb.43:
	s_mul_i32 s8, s9, 0x70
	s_lshl_b32 s14, s26, 2
	s_mul_i32 s15, s26, 0x70
	s_add_i32 s14, s8, s14
	v_lshl_add_u32 v1, v0, 2, s15
	s_add_i32 s8, s14, -4
	v_add_u32_e32 v1, 0xbd0, v1
	s_addk_i32 s14, 0xff8c
	s_branch .LBB33_45
.LBB33_44:                              ;   in Loop: Header=BB33_45 Depth=1
	s_addk_i32 s15, 0xff8c
	v_add_u32_e32 v2, 0xc40, v4
	v_mov_b32_e32 v4, s15
	ds_read_b32 v4, v4
	s_add_i32 s15, s9, -2
	s_addk_i32 s8, 0xff20
	s_addk_i32 s14, 0xff20
	s_cmp_lt_i32 s9, 2
	s_waitcnt lgkmcnt(0)
	v_mul_f32_e32 v3, v4, v3
	s_mov_b32 s9, s15
	ds_write_b32 v2, v3
	s_cbranch_scc1 .LBB33_49
.LBB33_45:                              ; =>This Loop Header: Depth=1
                                        ;     Child Loop BB33_46 Depth 2
                                        ;     Child Loop BB33_48 Depth 2
	s_mul_i32 s18, s9, 28
	v_add_lshl_u32 v3, s18, v0, 2
	ds_read_b32 v2, v3 offset:3136
	s_cmp_le_i32 s6, s9
	v_mov_b32_e32 v4, v1
	s_mov_b32 s15, s8
	s_mov_b32 s19, s6
	s_cbranch_scc1 .LBB33_47
.LBB33_46:                              ;   Parent Loop BB33_45 Depth=1
                                        ; =>  This Inner Loop Header: Depth=2
	v_mov_b32_e32 v6, s15
	ds_read_b32 v5, v4
	ds_read_b32 v6, v6
	s_add_i32 s19, s19, -1
	s_add_i32 s15, s15, -4
	v_add_u32_e32 v4, 0xffffff90, v4
	s_cmp_gt_i32 s19, s9
	s_waitcnt lgkmcnt(0)
	v_fma_f32 v2, -v5, v6, v2
	s_cbranch_scc1 .LBB33_46
.LBB33_47:                              ;   in Loop: Header=BB33_45 Depth=1
	s_mul_i32 s15, s9, 0x74
	v_add_u32_e32 v5, 0xc40, v3
	v_mov_b32_e32 v3, s15
	ds_read_b32 v6, v3
	s_sub_i32 s18, s18, 28
	v_add_lshl_u32 v4, s18, v0, 2
	ds_read_b32 v3, v4 offset:3136
	s_cmp_le_i32 s26, s9
	s_waitcnt lgkmcnt(1)
	v_mul_f32_e32 v2, v6, v2
	ds_write_b32 v5, v2
	v_mov_b32_e32 v2, v1
	s_mov_b32 s18, s14
	s_mov_b32 s19, s26
	s_cbranch_scc1 .LBB33_44
.LBB33_48:                              ;   Parent Loop BB33_45 Depth=1
                                        ; =>  This Inner Loop Header: Depth=2
	v_mov_b32_e32 v6, s18
	ds_read_b32 v5, v2
	ds_read_b32 v6, v6
	s_add_i32 s19, s19, -1
	s_add_i32 s18, s18, -4
	v_add_u32_e32 v2, 0xffffff90, v2
	s_cmp_gt_i32 s19, s9
	s_waitcnt lgkmcnt(0)
	v_fma_f32 v3, -v5, v6, v3
	s_cbranch_scc1 .LBB33_48
	s_branch .LBB33_44
.LBB33_49:
	s_mov_b64 s[8:9], 0
.LBB33_50:
	s_and_b64 vcc, exec, s[8:9]
	s_cbranch_vccz .LBB33_75
; %bb.51:
	s_cmp_gt_i32 s10, 27
	s_cselect_b64 s[8:9], -1, 0
	s_mov_b32 s6, 0
	s_and_b64 vcc, exec, s[8:9]
	s_cbranch_vccz .LBB33_53
; %bb.52:
	v_lshlrev_b32_e32 v1, 2, v0
	v_add_u32_e32 v47, 0xc00, v1
	v_add_u32_e32 v46, 0xe00, v1
	v_add_u32_e32 v45, 0x1000, v1
	v_add_u32_e32 v44, 0x1400, v1
	v_mov_b32_e32 v42, 0
	ds_read2_b32 v[2:3], v47 offset0:16 offset1:44
	ds_read2_b32 v[38:39], v47 offset0:72 offset1:100
	;; [unrolled: 1-line block ×13, first 2 shown]
	ds_read_b128 v[10:13], v42
	v_add_u32_e32 v1, 0x1600, v1
	ds_read2_b32 v[14:15], v1 offset0:104 offset1:132
	ds_read2_b32 v[40:41], v42 offset0:29 offset1:30
	ds_read_b128 v[6:9], v42 offset:16
	ds_read2_b64 v[48:51], v42 offset0:29 offset1:30
	ds_read2_b32 v[52:53], v42 offset0:31 offset1:32
	s_waitcnt lgkmcnt(5)
	v_mul_f32_e32 v43, v10, v2
	v_fma_f32 v10, -v43, v11, v3
	ds_read_b128 v[2:5], v42 offset:96
	s_waitcnt lgkmcnt(4)
	v_mul_f32_e32 v40, v40, v10
	ds_write2_b32 v47, v43, v40 offset0:16 offset1:44
	v_fma_f32 v10, -v43, v12, v38
	v_fma_f32 v10, -v40, v41, v10
	ds_read_b32 v41, v42 offset:220
	ds_read2_b32 v[56:57], v42 offset0:33 offset1:34
	ds_read2_b32 v[72:73], v42 offset0:35 offset1:36
	;; [unrolled: 1-line block ×4, first 2 shown]
	s_waitcnt lgkmcnt(8)
	v_mul_f32_e32 v38, v48, v10
	v_fma_f32 v10, -v43, v13, v39
	s_waitcnt lgkmcnt(7)
	v_fma_f32 v10, -v40, v52, v10
	v_fma_f32 v10, -v38, v49, v10
	ds_read2_b32 v[64:65], v42 offset0:89 offset1:90
	ds_read2_b32 v[74:75], v42 offset0:91 offset1:92
	;; [unrolled: 1-line block ×3, first 2 shown]
	s_waitcnt lgkmcnt(3)
	v_mul_f32_e32 v39, v54, v10
	ds_read_b128 v[10:13], v42 offset:464
	v_fma_f32 v6, -v43, v6, v36
	v_fma_f32 v6, -v40, v53, v6
	;; [unrolled: 1-line block ×4, first 2 shown]
	ds_read_b128 v[52:55], v42 offset:480
	s_waitcnt lgkmcnt(1)
	v_mul_f32_e32 v36, v10, v6
	v_fma_f32 v6, -v43, v7, v37
	v_fma_f32 v6, -v40, v56, v6
	v_fma_f32 v6, -v38, v51, v6
	v_fma_f32 v10, -v39, v64, v6
	ds_read2_b32 v[6:7], v42 offset0:145 offset1:146
	ds_write2_b32 v47, v38, v39 offset0:72 offset1:100
	ds_read2_b32 v[76:77], v42 offset0:147 offset1:148
	ds_read2_b32 v[84:85], v42 offset0:149 offset1:150
	;; [unrolled: 1-line block ×3, first 2 shown]
	ds_read2_b64 v[48:51], v42 offset0:31 offset1:32
	v_fma_f32 v10, -v36, v11, v10
	s_waitcnt lgkmcnt(5)
	v_mul_f32_e32 v37, v6, v10
	v_fma_f32 v6, -v43, v8, v34
	v_fma_f32 v6, -v40, v57, v6
	ds_read2_b64 v[56:59], v42 offset0:33 offset1:34
	ds_read2_b64 v[60:63], v42 offset0:87 offset1:88
	s_waitcnt lgkmcnt(2)
	v_fma_f32 v6, -v38, v48, v6
	v_fma_f32 v6, -v39, v65, v6
	ds_read2_b64 v[64:67], v42 offset0:89 offset1:90
	v_fma_f32 v6, -v36, v12, v6
	v_fma_f32 v6, -v37, v7, v6
	s_waitcnt lgkmcnt(1)
	v_mul_f32_e32 v34, v60, v6
	v_fma_f32 v6, -v43, v9, v35
	v_fma_f32 v6, -v40, v72, v6
	;; [unrolled: 1-line block ×5, first 2 shown]
	ds_write2_b32 v47, v36, v37 offset0:128 offset1:156
	v_fma_f32 v6, -v37, v76, v6
	v_fma_f32 v35, -v34, v61, v6
	ds_read2_b32 v[6:7], v42 offset0:203 offset1:204
	ds_read_b128 v[10:13], v42 offset:32
	ds_read2_b32 v[8:9], v42 offset0:205 offset1:206
	ds_read2_b32 v[60:61], v42 offset0:207 offset1:208
	;; [unrolled: 1-line block ×3, first 2 shown]
	s_waitcnt lgkmcnt(4)
	v_mul_f32_e32 v35, v6, v35
	s_waitcnt lgkmcnt(3)
	v_fma_f32 v6, -v43, v10, v32
	v_fma_f32 v6, -v40, v73, v6
	;; [unrolled: 1-line block ×4, first 2 shown]
	ds_read_b128 v[72:75], v42 offset:928
	v_fma_f32 v6, -v36, v52, v6
	v_fma_f32 v6, -v37, v77, v6
	ds_read_b128 v[76:79], v42 offset:944
	v_fma_f32 v6, -v34, v62, v6
	v_fma_f32 v6, -v35, v7, v6
	s_waitcnt lgkmcnt(1)
	v_mul_f32_e32 v32, v72, v6
	v_fma_f32 v6, -v43, v11, v33
	v_fma_f32 v6, -v40, v80, v6
	;; [unrolled: 1-line block ×9, first 2 shown]
	v_mov_b32_e32 v6, 0x414
	ds_read_b128 v[68:71], v42 offset:48
	ds_read2_b32 v[6:7], v6 offset1:1
	ds_write2_b32 v47, v34, v35 offset0:184 offset1:212
	v_mov_b32_e32 v10, 0x41c
	ds_read2_b32 v[72:73], v10 offset1:1
	ds_read_b64 v[10:11], v42 offset:3016
	ds_read_b32 v33, v42 offset:3132
	ds_read2_b32 v[62:63], v42 offset0:39 offset1:40
	s_waitcnt lgkmcnt(5)
	v_mul_f32_e32 v122, v6, v8
	v_fma_f32 v6, -v43, v12, v30
	v_fma_f32 v6, -v40, v81, v6
	v_fma_f32 v6, -v38, v56, v6
	v_fma_f32 v6, -v39, v83, v6
	v_fma_f32 v6, -v36, v54, v6
	v_fma_f32 v6, -v37, v85, v6
	v_fma_f32 v6, -v34, v64, v6
	v_fma_f32 v6, -v35, v9, v6
	v_fma_f32 v6, -v32, v74, v6
	ds_write2_b32 v46, v32, v122 offset0:112 offset1:140
	ds_read2_b64 v[46:49], v42 offset0:145 offset1:146
	v_fma_f32 v12, -v122, v7, v6
	ds_read_b128 v[6:9], v42 offset:992
	v_fma_f32 v30, -v43, v13, v31
	v_mov_b32_e32 v50, 0x424
	s_waitcnt lgkmcnt(1)
	v_mul_f32_e32 v123, v46, v12
	ds_read2_b32 v[12:13], v42 offset0:41 offset1:42
	ds_read2_b32 v[96:97], v42 offset0:43 offset1:44
	;; [unrolled: 1-line block ×3, first 2 shown]
	v_fma_f32 v46, -v40, v62, v30
	ds_read2_b32 v[30:31], v42 offset0:95 offset1:96
	v_fma_f32 v46, -v38, v57, v46
	v_mov_b32_e32 v51, 0x504
	v_mov_b32_e32 v52, 0x5e4
	ds_read2_b32 v[80:81], v42 offset0:97 offset1:98
	ds_read2_b32 v[98:99], v42 offset0:99 offset1:100
	;; [unrolled: 1-line block ×3, first 2 shown]
	s_waitcnt lgkmcnt(3)
	v_fma_f32 v30, -v39, v30, v46
	v_fma_f32 v30, -v36, v55, v30
	;; [unrolled: 1-line block ×7, first 2 shown]
	v_mov_b32_e32 v46, 0x4fc
	v_fma_f32 v30, -v123, v47, v30
	ds_read2_b32 v[46:47], v46 offset1:1
	ds_read2_b32 v[84:85], v50 offset1:1
	;; [unrolled: 1-line block ×4, first 2 shown]
	ds_read_b128 v[50:53], v42 offset:496
	ds_read_b128 v[54:57], v42 offset:512
	v_fma_f32 v28, -v43, v68, v28
	v_fma_f32 v28, -v40, v63, v28
	v_fma_f32 v28, -v38, v58, v28
	v_fma_f32 v28, -v39, v31, v28
	s_waitcnt lgkmcnt(1)
	v_fma_f32 v28, -v36, v50, v28
	v_fma_f32 v28, -v37, v87, v28
	;; [unrolled: 1-line block ×4, first 2 shown]
	ds_read_b128 v[60:63], v42 offset:1392
	ds_read2_b32 v[64:65], v42 offset0:153 offset1:154
	v_fma_f32 v28, -v32, v76, v28
	v_fma_f32 v28, -v122, v73, v28
	v_mul_f32_e32 v124, v46, v30
	v_fma_f32 v28, -v123, v48, v28
	v_fma_f32 v28, -v124, v47, v28
	s_waitcnt lgkmcnt(1)
	v_mul_f32_e32 v125, v60, v28
	v_fma_f32 v28, -v43, v69, v29
	v_fma_f32 v12, -v40, v12, v28
	;; [unrolled: 1-line block ×5, first 2 shown]
	s_waitcnt lgkmcnt(0)
	v_fma_f32 v12, -v37, v64, v12
	v_fma_f32 v12, -v34, v67, v12
	v_fma_f32 v12, -v35, v88, v12
	v_fma_f32 v12, -v32, v77, v12
	ds_write2_b32 v45, v123, v124 offset0:40 offset1:68
	v_fma_f32 v12, -v122, v84, v12
	ds_read_b128 v[72:75], v42 offset:1408
	ds_read2_b32 v[100:101], v42 offset0:155 offset1:156
	ds_read2_b32 v[108:109], v42 offset0:157 offset1:158
	;; [unrolled: 1-line block ×3, first 2 shown]
	v_fma_f32 v12, -v123, v49, v12
	ds_read2_b64 v[28:31], v42 offset0:35 offset1:36
	ds_read2_b64 v[46:49], v42 offset0:37 offset1:38
	v_fma_f32 v12, -v124, v92, v12
	v_fma_f32 v12, -v125, v61, v12
	v_mul_f32_e32 v126, v94, v12
	v_fma_f32 v12, -v43, v70, v26
	v_fma_f32 v12, -v40, v13, v12
	ds_read2_b64 v[58:61], v42 offset0:91 offset1:92
	s_waitcnt lgkmcnt(2)
	v_fma_f32 v12, -v38, v28, v12
	v_fma_f32 v12, -v39, v81, v12
	;; [unrolled: 1-line block ×4, first 2 shown]
	ds_read2_b64 v[64:67], v42 offset0:93 offset1:94
	ds_read2_b64 v[80:83], v42 offset0:147 offset1:148
	s_waitcnt lgkmcnt(2)
	v_fma_f32 v12, -v34, v58, v12
	v_fma_f32 v12, -v35, v89, v12
	ds_read2_b64 v[88:91], v42 offset0:203 offset1:204
	v_fma_f32 v12, -v32, v78, v12
	v_fma_f32 v12, -v122, v85, v12
	s_waitcnt lgkmcnt(1)
	v_fma_f32 v12, -v123, v80, v12
	v_fma_f32 v12, -v124, v93, v12
	;; [unrolled: 1-line block ×4, first 2 shown]
	s_waitcnt lgkmcnt(0)
	v_mul_f32_e32 v127, v88, v12
	v_fma_f32 v12, -v43, v71, v27
	v_fma_f32 v12, -v40, v96, v12
	v_fma_f32 v12, -v38, v29, v12
	v_fma_f32 v12, -v39, v98, v12
	v_fma_f32 v12, -v36, v53, v12
	ds_read2_b64 v[84:87], v42 offset0:149 offset1:150
	v_fma_f32 v26, -v37, v100, v12
	ds_read2_b32 v[12:13], v42 offset0:211 offset1:212
	v_fma_f32 v26, -v34, v59, v26
	ds_write2_b32 v45, v125, v126 offset0:96 offset1:124
	ds_read2_b64 v[92:95], v42 offset0:205 offset1:206
	ds_read2_b32 v[58:59], v42 offset0:213 offset1:214
	ds_read2_b32 v[112:113], v42 offset0:215 offset1:216
	;; [unrolled: 1-line block ×3, first 2 shown]
	s_waitcnt lgkmcnt(5)
	v_fma_f32 v12, -v35, v12, v26
	v_mov_b32_e32 v26, 0x42c
	ds_read2_b32 v[102:103], v26 offset1:1
	v_mov_b32_e32 v27, 0x50c
	v_fma_f32 v12, -v32, v79, v12
	v_mov_b32_e32 v28, 0x5ec
	v_mov_b32_e32 v26, 0x6cc
	ds_read2_b32 v[116:117], v27 offset1:1
	ds_read2_b32 v[118:119], v28 offset1:1
	;; [unrolled: 1-line block ×3, first 2 shown]
	s_waitcnt lgkmcnt(3)
	v_fma_f32 v12, -v122, v102, v12
	v_fma_f32 v12, -v123, v81, v12
	ds_read_b128 v[26:29], v42 offset:64
	ds_read_b128 v[68:71], v42 offset:960
	s_waitcnt lgkmcnt(4)
	v_fma_f32 v12, -v124, v116, v12
	v_fma_f32 v12, -v125, v63, v12
	s_waitcnt lgkmcnt(3)
	v_fma_f32 v12, -v126, v118, v12
	v_fma_f32 v12, -v127, v89, v12
	s_waitcnt lgkmcnt(2)
	v_mul_f32_e32 v116, v120, v12
	s_waitcnt lgkmcnt(1)
	v_fma_f32 v12, -v43, v26, v24
	v_fma_f32 v12, -v40, v97, v12
	v_fma_f32 v12, -v38, v30, v12
	v_fma_f32 v12, -v39, v99, v12
	v_fma_f32 v12, -v36, v54, v12
	v_fma_f32 v12, -v37, v101, v12
	v_fma_f32 v12, -v34, v60, v12
	v_fma_f32 v12, -v35, v13, v12
	s_waitcnt lgkmcnt(0)
	v_fma_f32 v12, -v32, v68, v12
	v_fma_f32 v12, -v122, v103, v12
	;; [unrolled: 1-line block ×3, first 2 shown]
	ds_read_b128 v[76:79], v42 offset:976
	ds_read_b128 v[96:99], v42 offset:1856
	v_fma_f32 v12, -v124, v117, v12
	v_fma_f32 v12, -v125, v72, v12
	;; [unrolled: 1-line block ×5, first 2 shown]
	s_waitcnt lgkmcnt(0)
	v_mul_f32_e32 v117, v96, v12
	v_fma_f32 v12, -v43, v27, v25
	v_fma_f32 v12, -v40, v104, v12
	;; [unrolled: 1-line block ×9, first 2 shown]
	v_mov_b32_e32 v12, 0x434
	ds_read_b128 v[50:53], v42 offset:80
	ds_read2_b32 v[12:13], v12 offset1:1
	ds_write2_b32 v45, v127, v116 offset0:152 offset1:180
	v_mov_b32_e32 v25, 0x514
	ds_read_b128 v[100:103], v42 offset:1872
	v_mov_b32_e32 v26, 0x5f4
	v_mov_b32_e32 v27, 0x6d4
	ds_read2_b32 v[30:31], v25 offset1:1
	ds_read2_b32 v[54:55], v26 offset1:1
	;; [unrolled: 1-line block ×3, first 2 shown]
	s_waitcnt lgkmcnt(5)
	v_fma_f32 v12, -v122, v12, v24
	v_fma_f32 v12, -v123, v83, v12
	s_waitcnt lgkmcnt(2)
	v_fma_f32 v12, -v124, v30, v12
	v_mov_b32_e32 v24, 0x7b4
	v_fma_f32 v12, -v125, v73, v12
	ds_read2_b32 v[62:63], v24 offset1:1
	s_waitcnt lgkmcnt(2)
	v_fma_f32 v12, -v126, v54, v12
	v_fma_f32 v12, -v127, v91, v12
	s_waitcnt lgkmcnt(1)
	v_fma_f32 v12, -v116, v60, v12
	v_fma_f32 v12, -v117, v97, v12
	s_waitcnt lgkmcnt(0)
	v_mul_f32_e32 v108, v62, v12
	v_fma_f32 v12, -v43, v28, v22
	v_fma_f32 v12, -v40, v105, v12
	;; [unrolled: 1-line block ×12, first 2 shown]
	v_mov_b32_e32 v24, 0x828
	v_fma_f32 v12, -v125, v74, v12
	ds_read2_b64 v[24:27], v24 offset1:1
	ds_read2_b32 v[30:31], v42 offset0:47 offset1:48
	v_fma_f32 v12, -v126, v55, v12
	v_fma_f32 v12, -v127, v92, v12
	;; [unrolled: 1-line block ×4, first 2 shown]
	ds_write2_b32 v45, v117, v108 offset0:208 offset1:236
	v_fma_f32 v12, -v108, v63, v12
	s_waitcnt lgkmcnt(2)
	v_mul_f32_e32 v45, v24, v12
	v_fma_f32 v22, -v43, v29, v23
	ds_read2_b32 v[72:73], v42 offset0:49 offset1:50
	ds_read2_b32 v[96:97], v42 offset0:51 offset1:52
	;; [unrolled: 1-line block ×4, first 2 shown]
	s_waitcnt lgkmcnt(5)
	v_fma_f32 v22, -v40, v30, v22
	v_fma_f32 v22, -v38, v47, v22
	v_mov_b32_e32 v23, 0x43c
	ds_read2_b32 v[80:81], v42 offset0:105 offset1:106
	ds_read2_b32 v[104:105], v42 offset0:107 offset1:108
	;; [unrolled: 1-line block ×3, first 2 shown]
	s_waitcnt lgkmcnt(3)
	v_fma_f32 v22, -v39, v28, v22
	v_fma_f32 v22, -v36, v57, v22
	ds_read2_b32 v[46:47], v23 offset1:1
	v_fma_f32 v22, -v37, v110, v22
	v_fma_f32 v22, -v34, v65, v22
	;; [unrolled: 1-line block ×3, first 2 shown]
	v_mov_b32_e32 v24, 0x51c
	v_fma_f32 v22, -v32, v71, v22
	v_mov_b32_e32 v28, 0x5fc
	v_mov_b32_e32 v23, 0x6dc
	ds_read2_b32 v[58:59], v24 offset1:1
	ds_read2_b32 v[62:63], v28 offset1:1
	;; [unrolled: 1-line block ×3, first 2 shown]
	s_waitcnt lgkmcnt(3)
	v_fma_f32 v22, -v122, v46, v22
	v_fma_f32 v22, -v123, v85, v22
	s_waitcnt lgkmcnt(2)
	v_fma_f32 v22, -v124, v58, v22
	v_mov_b32_e32 v23, 0x7bc
	v_fma_f32 v22, -v125, v75, v22
	ds_read2_b32 v[68:69], v23 offset1:1
	s_waitcnt lgkmcnt(2)
	v_fma_f32 v22, -v126, v62, v22
	v_fma_f32 v22, -v127, v93, v22
	s_waitcnt lgkmcnt(1)
	v_fma_f32 v22, -v116, v64, v22
	v_mov_b32_e32 v24, 0x89c
	v_fma_f32 v22, -v117, v99, v22
	v_mov_b32_e32 v28, 0x444
	v_mov_b32_e32 v23, 0x524
	ds_read2_b32 v[70:71], v24 offset1:1
	ds_read2_b32 v[84:85], v28 offset1:1
	;; [unrolled: 1-line block ×3, first 2 shown]
	s_waitcnt lgkmcnt(3)
	v_fma_f32 v22, -v108, v68, v22
	v_fma_f32 v22, -v45, v25, v22
	s_waitcnt lgkmcnt(2)
	v_mul_f32_e32 v109, v70, v22
	ds_read_b128 v[22:25], v42 offset:528
	v_fma_f32 v20, -v43, v50, v20
	v_fma_f32 v20, -v40, v31, v20
	;; [unrolled: 1-line block ×4, first 2 shown]
	ds_read_b128 v[28:31], v42 offset:544
	s_waitcnt lgkmcnt(1)
	v_fma_f32 v20, -v36, v22, v20
	v_fma_f32 v20, -v37, v111, v20
	;; [unrolled: 1-line block ×4, first 2 shown]
	ds_read_b128 v[54:57], v42 offset:1424
	v_fma_f32 v20, -v32, v76, v20
	v_fma_f32 v20, -v122, v47, v20
	;; [unrolled: 1-line block ×4, first 2 shown]
	s_waitcnt lgkmcnt(0)
	v_fma_f32 v20, -v125, v54, v20
	v_fma_f32 v20, -v126, v63, v20
	;; [unrolled: 1-line block ×4, first 2 shown]
	ds_read_b128 v[62:65], v42 offset:2320
	v_fma_f32 v20, -v117, v100, v20
	v_fma_f32 v20, -v108, v69, v20
	v_fma_f32 v20, -v45, v26, v20
	v_fma_f32 v20, -v109, v71, v20
	ds_read_b128 v[68:71], v42 offset:2336
	ds_read_b128 v[58:61], v42 offset:1440
	s_waitcnt lgkmcnt(2)
	v_mul_f32_e32 v100, v62, v20
	v_fma_f32 v20, -v43, v51, v21
	ds_read2_b32 v[50:51], v42 offset0:161 offset1:162
	v_fma_f32 v20, -v40, v72, v20
	v_fma_f32 v20, -v38, v49, v20
	;; [unrolled: 1-line block ×4, first 2 shown]
	s_waitcnt lgkmcnt(0)
	v_fma_f32 v20, -v37, v50, v20
	v_fma_f32 v20, -v34, v67, v20
	;; [unrolled: 1-line block ×6, first 2 shown]
	ds_write2_b32 v44, v45, v109 offset0:8 offset1:36
	v_fma_f32 v20, -v124, v88, v20
	v_mov_b32_e32 v21, 0x604
	ds_read2_b32 v[92:93], v42 offset0:163 offset1:164
	ds_read2_b32 v[98:99], v42 offset0:165 offset1:166
	v_fma_f32 v20, -v125, v55, v20
	ds_read2_b32 v[54:55], v21 offset1:1
	v_mov_b32_e32 v22, 0x6e4
	v_mov_b32_e32 v23, 0x7c4
	;; [unrolled: 1-line block ×3, first 2 shown]
	ds_read2_b32 v[66:67], v22 offset1:1
	ds_read2_b32 v[76:77], v23 offset1:1
	;; [unrolled: 1-line block ×3, first 2 shown]
	s_waitcnt lgkmcnt(3)
	v_fma_f32 v20, -v126, v54, v20
	v_fma_f32 v20, -v127, v95, v20
	s_waitcnt lgkmcnt(2)
	v_fma_f32 v20, -v116, v66, v20
	v_fma_f32 v20, -v117, v101, v20
	s_waitcnt lgkmcnt(1)
	v_fma_f32 v20, -v108, v76, v20
	v_mov_b32_e32 v21, 0x984
	v_fma_f32 v20, -v45, v27, v20
	ds_read2_b32 v[26:27], v21 offset1:1
	s_waitcnt lgkmcnt(1)
	v_fma_f32 v20, -v109, v90, v20
	v_fma_f32 v46, -v100, v63, v20
	v_mov_b32_e32 v20, 0x838
	v_fma_f32 v18, -v43, v52, v18
	v_fma_f32 v18, -v40, v73, v18
	ds_read2_b64 v[72:75], v42 offset0:95 offset1:96
	ds_read2_b64 v[20:23], v20 offset1:1
	s_waitcnt lgkmcnt(2)
	v_mul_f32_e32 v101, v26, v46
	ds_read2_b64 v[46:49], v42 offset0:39 offset1:40
	ds_read_b64 v[62:63], v42 offset:328
	ds_read_b64 v[94:95], v42 offset:1224
	ds_write2_b32 v44, v100, v101 offset0:64 offset1:92
	v_fma_f32 v2, -v43, v2, v16
	s_waitcnt lgkmcnt(3)
	v_fma_f32 v18, -v38, v46, v18
	v_fma_f32 v18, -v39, v81, v18
	;; [unrolled: 1-line block ×4, first 2 shown]
	ds_read2_b64 v[80:83], v42 offset0:151 offset1:152
	v_fma_f32 v18, -v34, v72, v18
	v_fma_f32 v18, -v35, v115, v18
	;; [unrolled: 1-line block ×4, first 2 shown]
	ds_read2_b64 v[84:87], v42 offset0:207 offset1:208
	s_waitcnt lgkmcnt(1)
	v_fma_f32 v18, -v123, v80, v18
	v_fma_f32 v18, -v124, v89, v18
	;; [unrolled: 1-line block ×4, first 2 shown]
	s_waitcnt lgkmcnt(0)
	v_fma_f32 v18, -v127, v84, v18
	v_fma_f32 v18, -v116, v67, v18
	;; [unrolled: 1-line block ×5, first 2 shown]
	v_mov_b32_e32 v20, 0x9f8
	v_fma_f32 v18, -v109, v91, v18
	ds_read2_b64 v[88:91], v20 offset1:1
	v_fma_f32 v18, -v100, v64, v18
	v_fma_f32 v18, -v101, v27, v18
	v_mov_b32_e32 v20, 0x44c
	ds_read_b64 v[50:51], v42 offset:776
	ds_read2_b32 v[26:27], v20 offset1:1
	s_waitcnt lgkmcnt(2)
	v_mul_f32_e32 v64, v88, v18
	v_fma_f32 v18, -v43, v53, v19
	v_fma_f32 v18, -v40, v96, v18
	;; [unrolled: 1-line block ×4, first 2 shown]
	ds_read2_b32 v[18:19], v42 offset0:219 offset1:220
	v_fma_f32 v20, -v36, v25, v20
	v_fma_f32 v20, -v37, v92, v20
	;; [unrolled: 1-line block ×3, first 2 shown]
	ds_read_b64 v[54:55], v42 offset:1672
	ds_read2_b32 v[46:47], v42 offset0:221 offset1:222
	s_waitcnt lgkmcnt(2)
	v_fma_f32 v18, -v35, v18, v20
	v_mov_b32_e32 v20, 0x52c
	ds_read2_b32 v[24:25], v20 offset1:1
	v_fma_f32 v18, -v32, v79, v18
	v_fma_f32 v18, -v122, v26, v18
	v_mov_b32_e32 v26, 0x60c
	v_fma_f32 v18, -v123, v81, v18
	v_mov_b32_e32 v56, 0x6ec
	v_mov_b32_e32 v20, 0x7cc
	ds_read2_b32 v[52:53], v26 offset1:1
	ds_read2_b32 v[66:67], v56 offset1:1
	;; [unrolled: 1-line block ×3, first 2 shown]
	s_waitcnt lgkmcnt(3)
	v_fma_f32 v18, -v124, v24, v18
	v_fma_f32 v18, -v125, v57, v18
	s_waitcnt lgkmcnt(2)
	v_fma_f32 v18, -v126, v52, v18
	v_fma_f32 v18, -v127, v85, v18
	v_mov_b32_e32 v20, 0x8ac
	v_fma_f32 v2, -v40, v97, v2
	s_waitcnt lgkmcnt(1)
	v_fma_f32 v18, -v116, v66, v18
	ds_read2_b32 v[56:57], v20 offset1:1
	v_fma_f32 v2, -v38, v48, v2
	v_fma_f32 v18, -v117, v103, v18
	;; [unrolled: 1-line block ×3, first 2 shown]
	s_waitcnt lgkmcnt(1)
	v_fma_f32 v18, -v108, v72, v18
	v_fma_f32 v2, -v36, v28, v2
	;; [unrolled: 1-line block ×3, first 2 shown]
	v_mov_b32_e32 v21, 0x98c
	v_fma_f32 v2, -v37, v93, v2
	v_mov_b32_e32 v24, 0xa6c
	v_mov_b32_e32 v20, 0x454
	ds_read2_b32 v[76:77], v21 offset1:1
	ds_read2_b32 v[78:79], v24 offset1:1
	;; [unrolled: 1-line block ×3, first 2 shown]
	v_fma_f32 v2, -v34, v74, v2
	s_waitcnt lgkmcnt(3)
	v_fma_f32 v18, -v109, v56, v18
	v_fma_f32 v2, -v35, v19, v2
	v_fma_f32 v18, -v100, v65, v18
	v_fma_f32 v2, -v32, v6, v2
	s_waitcnt lgkmcnt(2)
	v_fma_f32 v18, -v101, v76, v18
	v_fma_f32 v2, -v122, v27, v2
	v_fma_f32 v18, -v64, v89, v18
	v_fma_f32 v2, -v123, v82, v2
	s_waitcnt lgkmcnt(1)
	v_mul_f32_e32 v65, v78, v18
	v_fma_f32 v2, -v124, v25, v2
	ds_read_b128 v[18:21], v42 offset:1888
	ds_read_b128 v[24:27], v42 offset:2784
	v_fma_f32 v2, -v125, v58, v2
	v_fma_f32 v2, -v126, v53, v2
	;; [unrolled: 1-line block ×4, first 2 shown]
	s_waitcnt lgkmcnt(1)
	v_fma_f32 v2, -v117, v18, v2
	v_fma_f32 v2, -v108, v73, v2
	;; [unrolled: 1-line block ×8, first 2 shown]
	s_waitcnt lgkmcnt(0)
	v_mul_f32_e32 v24, v24, v2
	v_fma_f32 v2, -v43, v3, v17
	v_fma_f32 v2, -v40, v12, v2
	;; [unrolled: 1-line block ×11, first 2 shown]
	v_mov_b32_e32 v2, 0x534
	ds_read_b64 v[52:53], v42 offset:2120
	ds_read_b64 v[56:57], v42 offset:2568
	ds_read2_b32 v[2:3], v2 offset1:1
	ds_write2_b32 v44, v64, v65 offset0:120 offset1:148
	v_mov_b32_e32 v6, 0x614
	v_mov_b32_e32 v16, 0x6f4
	;; [unrolled: 1-line block ×3, first 2 shown]
	ds_read2_b32 v[6:7], v6 offset1:1
	ds_read2_b32 v[16:17], v16 offset1:1
	;; [unrolled: 1-line block ×3, first 2 shown]
	s_waitcnt lgkmcnt(4)
	v_fma_f32 v2, -v124, v2, v12
	v_fma_f32 v2, -v125, v59, v2
	s_waitcnt lgkmcnt(2)
	v_fma_f32 v2, -v126, v6, v2
	v_fma_f32 v2, -v127, v87, v2
	s_waitcnt lgkmcnt(1)
	v_fma_f32 v2, -v116, v16, v2
	v_mov_b32_e32 v6, 0x8b4
	v_fma_f32 v2, -v117, v19, v2
	ds_read2_b32 v[18:19], v6 offset1:1
	s_waitcnt lgkmcnt(1)
	v_fma_f32 v2, -v108, v28, v2
	v_mov_b32_e32 v12, 0x994
	v_fma_f32 v2, -v45, v23, v2
	v_mov_b32_e32 v16, 0xa74
	v_mov_b32_e32 v6, 0xb54
	ds_read2_b32 v[22:23], v12 offset1:1
	ds_read2_b32 v[48:49], v16 offset1:1
	;; [unrolled: 1-line block ×3, first 2 shown]
	s_waitcnt lgkmcnt(3)
	v_fma_f32 v2, -v109, v18, v2
	v_fma_f32 v2, -v100, v69, v2
	s_waitcnt lgkmcnt(2)
	v_fma_f32 v2, -v101, v22, v2
	v_fma_f32 v2, -v64, v91, v2
	s_waitcnt lgkmcnt(1)
	v_fma_f32 v2, -v65, v48, v2
	v_fma_f32 v2, -v24, v25, v2
	s_waitcnt lgkmcnt(0)
	v_mul_f32_e32 v6, v58, v2
	v_fma_f32 v2, -v43, v4, v14
	v_fma_f32 v2, -v40, v13, v2
	;; [unrolled: 1-line block ×26, first 2 shown]
	v_mul_f32_e32 v7, v10, v2
	v_fma_f32 v2, -v43, v5, v15
	v_fma_f32 v4, -v40, v41, v2
	ds_read2_b32 v[2:3], v42 offset0:111 offset1:167
	s_movk_i32 s6, 0x200
	v_fma_f32 v8, -v38, v63, v4
	v_add_u32_e64 v4, s6, 0
	ds_read2_b32 v[4:5], v4 offset0:95 offset1:151
	s_waitcnt lgkmcnt(1)
	v_fma_f32 v2, -v39, v2, v8
	v_fma_f32 v2, -v36, v31, v2
	;; [unrolled: 1-line block ×3, first 2 shown]
	s_movk_i32 s6, 0x400
	v_fma_f32 v2, -v34, v51, v2
	v_add_u32_e64 v8, s6, 0
	s_waitcnt lgkmcnt(0)
	v_fma_f32 v4, -v35, v4, v2
	ds_read2_b32 v[2:3], v8 offset0:79 offset1:135
	v_fma_f32 v4, -v32, v9, v4
	v_fma_f32 v4, -v122, v5, v4
	;; [unrolled: 1-line block ×3, first 2 shown]
	ds_read2_b32 v[4:5], v8 offset0:191 offset1:247
	s_waitcnt lgkmcnt(1)
	v_fma_f32 v2, -v124, v2, v9
	v_fma_f32 v2, -v125, v61, v2
	;; [unrolled: 1-line block ×3, first 2 shown]
	s_movk_i32 s6, 0x800
	v_fma_f32 v2, -v127, v55, v2
	v_add_u32_e64 v8, s6, 0
	s_waitcnt lgkmcnt(0)
	v_fma_f32 v4, -v116, v4, v2
	ds_read2_b32 v[2:3], v8 offset0:47 offset1:103
	v_fma_f32 v4, -v117, v21, v4
	v_fma_f32 v4, -v108, v5, v4
	;; [unrolled: 1-line block ×3, first 2 shown]
	ds_read2_b32 v[4:5], v8 offset0:159 offset1:215
	s_waitcnt lgkmcnt(1)
	v_fma_f32 v2, -v109, v2, v9
	v_fma_f32 v2, -v100, v71, v2
	;; [unrolled: 1-line block ×4, first 2 shown]
	s_waitcnt lgkmcnt(0)
	v_fma_f32 v2, -v65, v4, v2
	v_fma_f32 v2, -v24, v27, v2
	v_fma_f32 v2, -v6, v5, v2
	v_fma_f32 v2, -v7, v11, v2
	v_mul_f32_e32 v2, v33, v2
	s_mov_b32 s6, 28
	ds_write2_b32 v44, v24, v6 offset0:176 offset1:204
	ds_write2_b32 v1, v7, v2 offset0:104 offset1:132
.LBB33_53:
	s_cmp_lt_i32 s6, s26
	s_cbranch_scc0 .LBB33_75
; %bb.54:
	s_add_i32 s14, s6, 23
	s_cmp_ge_u32 s14, s26
	s_cbranch_scc1 .LBB33_64
; %bb.55:
	s_mul_i32 s15, s6, 28
	v_add_lshl_u32 v1, s15, v0, 2
	v_add_u32_e32 v4, 0xc00, v1
	ds_read2_b32 v[2:3], v4 offset0:16 offset1:44
	ds_read2_b32 v[34:35], v4 offset0:72 offset1:100
	;; [unrolled: 1-line block ×4, first 2 shown]
	v_add_u32_e32 v4, 0xe00, v1
	ds_read2_b32 v[28:29], v4 offset0:112 offset1:140
	v_add_u32_e32 v4, 0x1000, v1
	ds_read2_b32 v[26:27], v4 offset0:40 offset1:68
	ds_read2_b32 v[24:25], v4 offset0:96 offset1:124
	;; [unrolled: 1-line block ×4, first 2 shown]
	v_add_u32_e32 v4, 0x1400, v1
	ds_read2_b32 v[18:19], v4 offset0:8 offset1:36
	ds_read2_b32 v[16:17], v4 offset0:64 offset1:92
	;; [unrolled: 1-line block ×3, first 2 shown]
	s_andn2_b64 vcc, exec, s[8:9]
	s_cbranch_vccnz .LBB33_63
; %bb.56:
	s_max_u32 s8, s6, 1
	s_cmp_eq_u32 s8, 1
	s_cbranch_scc1 .LBB33_60
; %bb.57:
	v_mov_b32_e32 v4, 0xc40
	s_and_b32 s9, s8, 28
	s_lshl_b32 s18, s6, 2
	v_lshl_add_u32 v4, v0, 2, v4
	s_mov_b32 s19, 0
.LBB33_58:                              ; =>This Inner Loop Header: Depth=1
	ds_read2_b32 v[76:77], v4 offset1:28
	v_mov_b32_e32 v5, s18
	ds_read_b128 v[6:9], v5
	ds_read_b128 v[10:13], v5 offset:16
	ds_read_b128 v[36:39], v5 offset:32
	;; [unrolled: 1-line block ×11, first 2 shown]
	s_add_i32 s19, s19, 2
	s_addk_i32 s18, 0xe0
	s_waitcnt lgkmcnt(12)
	v_mov_b32_e32 v78, v77
	s_waitcnt lgkmcnt(11)
	v_pk_fma_f32 v[2:3], v[76:77], v[6:7], v[2:3] op_sel_hi:[0,1,1] neg_lo:[1,0,0] neg_hi:[1,0,0]
	v_pk_fma_f32 v[6:7], v[76:77], v[8:9], v[34:35] op_sel_hi:[0,1,1] neg_lo:[1,0,0] neg_hi:[1,0,0]
	s_waitcnt lgkmcnt(10)
	v_pk_fma_f32 v[8:9], v[76:77], v[10:11], v[32:33] op_sel_hi:[0,1,1] neg_lo:[1,0,0] neg_hi:[1,0,0]
	v_pk_fma_f32 v[10:11], v[76:77], v[12:13], v[30:31] op_sel_hi:[0,1,1] neg_lo:[1,0,0] neg_hi:[1,0,0]
	;; [unrolled: 3-line block ×6, first 2 shown]
	v_add_u32_e32 v4, 0xe0, v4
	s_cmp_lg_u32 s9, s19
	s_waitcnt lgkmcnt(5)
	v_pk_fma_f32 v[2:3], v[78:79], v[52:53], v[2:3] op_sel_hi:[0,1,1] neg_lo:[1,0,0] neg_hi:[1,0,0]
	v_pk_fma_f32 v[34:35], v[78:79], v[54:55], v[6:7] op_sel_hi:[0,1,1] neg_lo:[1,0,0] neg_hi:[1,0,0]
	s_waitcnt lgkmcnt(4)
	v_pk_fma_f32 v[32:33], v[78:79], v[56:57], v[8:9] op_sel_hi:[0,1,1] neg_lo:[1,0,0] neg_hi:[1,0,0]
	v_pk_fma_f32 v[30:31], v[78:79], v[58:59], v[10:11] op_sel_hi:[0,1,1] neg_lo:[1,0,0] neg_hi:[1,0,0]
	;; [unrolled: 3-line block ×6, first 2 shown]
	s_cbranch_scc1 .LBB33_58
; %bb.59:
	s_mul_i32 s9, s9, 28
	s_branch .LBB33_61
.LBB33_60:
	s_mov_b32 s9, 0
.LBB33_61:
	s_bitcmp0_b32 s8, 0
	s_cbranch_scc1 .LBB33_63
; %bb.62:
	s_add_i32 s8, s9, s6
	v_add_lshl_u32 v4, s9, v0, 2
	s_lshl_b32 s8, s8, 2
	v_mov_b32_e32 v13, s8
	ds_read_b32 v12, v4 offset:3136
	ds_read_b128 v[4:7], v13
	ds_read_b128 v[8:11], v13 offset:16
	ds_read_b128 v[36:39], v13 offset:32
	s_waitcnt lgkmcnt(2)
	v_pk_fma_f32 v[2:3], v[12:13], v[4:5], v[2:3] op_sel_hi:[0,1,1] neg_lo:[1,0,0] neg_hi:[1,0,0]
	v_pk_fma_f32 v[34:35], v[12:13], v[6:7], v[34:35] op_sel_hi:[0,1,1] neg_lo:[1,0,0] neg_hi:[1,0,0]
	s_waitcnt lgkmcnt(1)
	v_pk_fma_f32 v[32:33], v[12:13], v[8:9], v[32:33] op_sel_hi:[0,1,1] neg_lo:[1,0,0] neg_hi:[1,0,0]
	v_pk_fma_f32 v[30:31], v[12:13], v[10:11], v[30:31] op_sel_hi:[0,1,1] neg_lo:[1,0,0] neg_hi:[1,0,0]
	ds_read_b128 v[4:7], v13 offset:48
	ds_read_b128 v[8:11], v13 offset:64
	s_waitcnt lgkmcnt(2)
	v_pk_fma_f32 v[28:29], v[12:13], v[36:37], v[28:29] op_sel_hi:[0,1,1] neg_lo:[1,0,0] neg_hi:[1,0,0]
	v_pk_fma_f32 v[26:27], v[12:13], v[38:39], v[26:27] op_sel_hi:[0,1,1] neg_lo:[1,0,0] neg_hi:[1,0,0]
	ds_read_b128 v[36:39], v13 offset:80
	s_waitcnt lgkmcnt(2)
	v_pk_fma_f32 v[24:25], v[12:13], v[4:5], v[24:25] op_sel_hi:[0,1,1] neg_lo:[1,0,0] neg_hi:[1,0,0]
	v_pk_fma_f32 v[22:23], v[12:13], v[6:7], v[22:23] op_sel_hi:[0,1,1] neg_lo:[1,0,0] neg_hi:[1,0,0]
	s_waitcnt lgkmcnt(1)
	v_pk_fma_f32 v[20:21], v[12:13], v[8:9], v[20:21] op_sel_hi:[0,1,1] neg_lo:[1,0,0] neg_hi:[1,0,0]
	v_pk_fma_f32 v[18:19], v[12:13], v[10:11], v[18:19] op_sel_hi:[0,1,1] neg_lo:[1,0,0] neg_hi:[1,0,0]
	;; [unrolled: 3-line block ×3, first 2 shown]
.LBB33_63:
	s_mul_i32 s9, s6, 0x74
	v_mov_b32_e32 v46, s9
	ds_read_b128 v[36:39], v46
	ds_read_b128 v[6:9], v46 offset:16
	ds_read2_b32 v[40:41], v46 offset0:29 offset1:30
	v_add_u32_e32 v4, 0xc40, v1
	s_add_i32 s18, s15, 28
	s_waitcnt lgkmcnt(2)
	v_mul_f32_e32 v1, v36, v2
	v_fma_f32 v10, -v1, v37, v3
	ds_write_b32 v4, v1
	ds_read_b128 v[2:5], v46 offset:32
	s_waitcnt lgkmcnt(2)
	v_mul_f32_e32 v44, v40, v10
	v_add_lshl_u32 v10, s18, v0, 2
	ds_write_b32 v10, v44 offset:3136
	s_add_i32 s18, s6, s18
	ds_read2_b64 v[10:13], v46 offset0:29 offset1:30
	s_lshl_b32 s19, s18, 2
	v_mov_b32_e32 v47, s19
	v_fma_f32 v34, -v1, v38, v34
	ds_read2_b32 v[42:43], v47 offset0:3 offset1:4
	v_fma_f32 v34, -v44, v41, v34
	ds_read2_b32 v[40:41], v46 offset0:87 offset1:88
	s_add_i32 s18, s15, 56
	s_waitcnt lgkmcnt(2)
	v_mul_f32_e32 v45, v10, v34
	v_add_lshl_u32 v10, s18, v0, 2
	ds_write_b32 v10, v45 offset:3136
	v_fma_f32 v10, -v1, v39, v35
	ds_read2_b32 v[38:39], v47 offset0:5 offset1:6
	ds_read2_b32 v[36:37], v47 offset0:7 offset1:8
	ds_read_b64 v[34:35], v46 offset:2552
	ds_read_b128 v[48:51], v46 offset:464
	s_waitcnt lgkmcnt(6)
	v_fma_f32 v10, -v44, v42, v10
	v_fma_f32 v6, -v1, v6, v32
	;; [unrolled: 1-line block ×4, first 2 shown]
	s_add_i32 s19, s15, 0x54
	s_waitcnt lgkmcnt(5)
	v_mul_f32_e32 v40, v40, v10
	v_fma_f32 v6, -v45, v12, v6
	v_add_lshl_u32 v10, s19, v0, 2
	s_add_i32 s19, s6, s19
	v_fma_f32 v6, -v40, v41, v6
	s_add_i32 s20, s15, 0x70
	s_lshl_b32 s19, s19, 2
	s_waitcnt lgkmcnt(0)
	v_mul_f32_e32 v12, v48, v6
	v_add_lshl_u32 v6, s20, v0, 2
	ds_write_b32 v6, v12 offset:3136
	v_fma_f32 v6, -v1, v7, v33
	v_mov_b32_e32 v41, s19
	ds_write_b32 v10, v40 offset:3136
	ds_read2_b32 v[10:11], v46 offset0:145 offset1:146
	v_fma_f32 v32, -v44, v38, v6
	ds_read2_b32 v[6:7], v41 offset0:5 offset1:6
	s_add_i32 s18, s6, s18
	s_lshl_b32 s18, s18, 2
	v_fma_f32 v13, -v45, v13, v32
	v_mov_b32_e32 v88, s18
	ds_read2_b32 v[42:43], v41 offset0:7 offset1:8
	ds_read2_b32 v[72:73], v41 offset0:9 offset1:10
	;; [unrolled: 1-line block ×3, first 2 shown]
	s_waitcnt lgkmcnt(3)
	v_fma_f32 v6, -v40, v6, v13
	ds_read2_b64 v[52:55], v88 offset0:3 offset1:4
	ds_read2_b64 v[56:59], v88 offset0:5 offset1:6
	s_add_i32 s19, s6, s20
	v_fma_f32 v6, -v12, v49, v6
	s_add_i32 s20, s15, 0x8c
	v_mul_f32_e32 v13, v10, v6
	v_add_lshl_u32 v6, s20, v0, 2
	ds_write_b32 v6, v13 offset:3136
	v_fma_f32 v6, -v1, v8, v30
	v_fma_f32 v6, -v44, v39, v6
	ds_read2_b32 v[32:33], v46 offset0:174 offset1:203
	s_waitcnt lgkmcnt(3)
	v_fma_f32 v6, -v45, v52, v6
	v_fma_f32 v6, -v40, v7, v6
	;; [unrolled: 1-line block ×3, first 2 shown]
	s_add_i32 s18, s6, s20
	v_fma_f32 v6, -v13, v11, v6
	s_add_i32 s20, s15, 0xa8
	s_waitcnt lgkmcnt(0)
	v_mul_f32_e32 v116, v32, v6
	v_add_lshl_u32 v6, s20, v0, 2
	ds_write_b32 v6, v116 offset:3136
	v_fma_f32 v6, -v1, v9, v31
	s_lshl_b32 s18, s18, 2
	v_fma_f32 v6, -v44, v36, v6
	v_fma_f32 v6, -v45, v53, v6
	v_mov_b32_e32 v89, s18
	s_add_i32 s18, s6, s20
	v_fma_f32 v6, -v40, v42, v6
	s_lshl_b32 s18, s18, 2
	v_fma_f32 v8, -v12, v51, v6
	v_mov_b32_e32 v117, s18
	ds_read2_b32 v[10:11], v89 offset0:7 offset1:8
	ds_read2_b32 v[52:53], v89 offset0:9 offset1:10
	;; [unrolled: 1-line block ×3, first 2 shown]
	ds_read_b64 v[6:7], v88 offset:88
	ds_read2_b32 v[60:61], v117 offset0:7 offset1:8
	s_lshl_b32 s19, s19, 2
	s_waitcnt lgkmcnt(4)
	v_fma_f32 v10, -v13, v10, v8
	v_mov_b32_e32 v90, s19
	ds_read2_b32 v[78:79], v117 offset0:9 offset1:10
	ds_read2_b32 v[8:9], v89 offset0:21 offset1:22
	ds_read_b32 v118, v89 offset:92
	s_waitcnt lgkmcnt(3)
	v_fma_f32 v10, -v116, v60, v10
	v_mul_f32_e32 v119, v33, v10
	ds_read_b128 v[30:33], v90 offset:32
	v_fma_f32 v2, -v1, v2, v28
	v_fma_f32 v2, -v44, v37, v2
	ds_read_b128 v[36:39], v90 offset:48
	s_add_i32 s18, s15, 0xc4
	v_fma_f32 v2, -v45, v54, v2
	v_add_lshl_u32 v10, s18, v0, 2
	v_fma_f32 v2, -v40, v43, v2
	s_add_i32 s18, s6, s18
	s_waitcnt lgkmcnt(1)
	v_fma_f32 v2, -v12, v30, v2
	s_lshl_b32 s18, s18, 2
	ds_write_b32 v10, v119 offset:3136
	v_mov_b32_e32 v91, s18
	v_fma_f32 v2, -v13, v11, v2
	ds_read_b128 v[48:51], v91 offset:32
	v_fma_f32 v2, -v116, v61, v2
	ds_read_b128 v[60:63], v46 offset:928
	ds_read_b128 v[64:67], v91 offset:48
	ds_read2_b64 v[68:71], v46 offset0:145 offset1:146
	ds_read2_b32 v[10:11], v47 offset0:9 offset1:10
	v_fma_f32 v28, -v1, v3, v29
	s_waitcnt lgkmcnt(4)
	v_fma_f32 v2, -v119, v48, v2
	s_add_i32 s18, s15, 0xe0
	v_fma_f32 v4, -v1, v4, v26
	s_waitcnt lgkmcnt(0)
	v_fma_f32 v10, -v44, v10, v28
	v_mul_f32_e32 v120, v60, v2
	v_add_lshl_u32 v2, s18, v0, 2
	v_fma_f32 v10, -v45, v55, v10
	s_add_i32 s21, s9, 0x414
	v_fma_f32 v4, -v44, v11, v4
	ds_write_b32 v2, v120 offset:3136
	v_fma_f32 v10, -v40, v72, v10
	v_mov_b32_e32 v28, s21
	v_fma_f32 v4, -v45, v56, v4
	ds_read2_b32 v[2:3], v47 offset0:11 offset1:12
	ds_read2_b32 v[42:43], v47 offset0:13 offset1:14
	;; [unrolled: 1-line block ×3, first 2 shown]
	v_fma_f32 v10, -v12, v31, v10
	ds_read2_b32 v[28:29], v28 offset1:1
	v_fma_f32 v4, -v40, v73, v4
	v_fma_f32 v10, -v13, v52, v10
	;; [unrolled: 1-line block ×8, first 2 shown]
	s_add_i32 s20, s15, 0xfc
	v_fma_f32 v4, -v119, v50, v4
	s_add_i32 s21, s6, s20
	s_waitcnt lgkmcnt(0)
	v_mul_f32_e32 v122, v28, v10
	v_fma_f32 v4, -v120, v62, v4
	s_lshl_b32 s21, s21, 2
	v_add_lshl_u32 v10, s20, v0, 2
	v_fma_f32 v4, -v122, v29, v4
	s_add_i32 s20, s15, 0x118
	v_mov_b32_e32 v121, s21
	v_mul_f32_e32 v123, v68, v4
	v_add_lshl_u32 v4, s20, v0, 2
	ds_read2_b32 v[54:55], v121 offset0:11 offset1:12
	ds_read2_b32 v[82:83], v121 offset0:13 offset1:14
	;; [unrolled: 1-line block ×3, first 2 shown]
	ds_write_b32 v4, v123 offset:3136
	v_fma_f32 v4, -v1, v5, v27
	v_fma_f32 v2, -v44, v2, v4
	ds_read2_b32 v[4:5], v117 offset0:11 offset1:12
	v_fma_f32 v2, -v45, v57, v2
	v_fma_f32 v2, -v40, v74, v2
	;; [unrolled: 1-line block ×3, first 2 shown]
	s_add_i32 s19, s6, s15
	v_fma_f32 v2, -v13, v76, v2
	s_add_i32 s21, s9, 0x4fc
	s_lshl_b32 s19, s19, 2
	ds_write_b32 v10, v122 offset:3136
	s_waitcnt lgkmcnt(1)
	v_fma_f32 v2, -v116, v4, v2
	v_mov_b32_e32 v4, s21
	ds_read2_b32 v[10:11], v117 offset0:13 offset1:14
	ds_read2_b32 v[78:79], v117 offset0:15 offset1:16
	;; [unrolled: 1-line block ×3, first 2 shown]
	ds_read2_b32 v[56:57], v4 offset1:1
	v_mov_b32_e32 v92, s19
	v_fma_f32 v2, -v119, v51, v2
	ds_read_b128 v[26:29], v92 offset:48
	v_fma_f32 v2, -v120, v63, v2
	v_fma_f32 v2, -v122, v54, v2
	;; [unrolled: 1-line block ×3, first 2 shown]
	ds_read2_b32 v[68:69], v41 offset0:13 offset1:14
	s_add_i32 s19, s15, 0x134
	s_waitcnt lgkmcnt(2)
	v_mul_f32_e32 v124, v56, v2
	v_add_lshl_u32 v2, s19, v0, 2
	s_add_i32 s18, s6, s18
	ds_write_b32 v2, v124 offset:3136
	s_waitcnt lgkmcnt(2)
	v_fma_f32 v2, -v1, v26, v24
	s_lshl_b32 s18, s18, 2
	v_fma_f32 v2, -v44, v3, v2
	v_fma_f32 v2, -v45, v58, v2
	v_mov_b32_e32 v3, s18
	v_fma_f32 v2, -v40, v75, v2
	ds_read_b128 v[30:33], v3 offset:48
	ds_read_b128 v[48:51], v3 offset:64
	v_fma_f32 v2, -v12, v36, v2
	v_fma_f32 v2, -v13, v77, v2
	v_fma_f32 v2, -v116, v5, v2
	v_fma_f32 v2, -v119, v64, v2
	s_waitcnt lgkmcnt(1)
	v_fma_f32 v2, -v120, v30, v2
	v_fma_f32 v2, -v122, v55, v2
	ds_read_b128 v[52:55], v46 offset:1392
	ds_read2_b64 v[60:63], v46 offset0:203 offset1:204
	v_fma_f32 v2, -v123, v70, v2
	s_add_i32 s18, s6, s19
	v_fma_f32 v2, -v124, v57, v2
	s_add_i32 s19, s15, 0x150
	s_waitcnt lgkmcnt(1)
	v_mul_f32_e32 v125, v52, v2
	v_add_lshl_u32 v2, s19, v0, 2
	ds_write_b32 v2, v125 offset:3136
	v_fma_f32 v2, -v1, v27, v25
	ds_read2_b32 v[76:77], v41 offset0:15 offset1:16
	ds_read2_b32 v[98:99], v41 offset0:17 offset1:18
	;; [unrolled: 1-line block ×4, first 2 shown]
	v_fma_f32 v2, -v44, v42, v2
	v_fma_f32 v2, -v45, v59, v2
	;; [unrolled: 1-line block ×4, first 2 shown]
	s_lshl_b32 s18, s18, 2
	s_waitcnt lgkmcnt(0)
	v_fma_f32 v2, -v13, v72, v2
	v_fma_f32 v2, -v116, v10, v2
	v_mov_b32_e32 v10, s18
	ds_read2_b32 v[86:87], v89 offset0:15 offset1:16
	ds_read2_b32 v[102:103], v89 offset0:17 offset1:18
	;; [unrolled: 1-line block ×4, first 2 shown]
	s_add_i32 s18, s6, s19
	s_add_i32 s19, s9, 0x5e4
	v_fma_f32 v2, -v119, v65, v2
	v_mov_b32_e32 v25, s19
	v_fma_f32 v2, -v120, v31, v2
	ds_read2_b32 v[30:31], v25 offset1:1
	ds_read2_b64 v[56:59], v88 offset0:9 offset1:10
	v_fma_f32 v2, -v122, v82, v2
	v_fma_f32 v24, -v123, v71, v2
	ds_read_b128 v[2:5], v3 offset:80
	s_waitcnt lgkmcnt(3)
	v_fma_f32 v24, -v124, v36, v24
	v_fma_f32 v24, -v125, v53, v24
	s_waitcnt lgkmcnt(2)
	v_mul_f32_e32 v127, v30, v24
	ds_read2_b64 v[24:27], v88 offset0:7 offset1:8
	v_fma_f32 v22, -v1, v28, v22
	v_fma_f32 v22, -v44, v43, v22
	s_add_i32 s20, s6, s20
	s_lshl_b32 s20, s20, 2
	s_waitcnt lgkmcnt(0)
	v_fma_f32 v22, -v45, v24, v22
	v_fma_f32 v22, -v40, v69, v22
	;; [unrolled: 1-line block ×5, first 2 shown]
	v_mov_b32_e32 v22, s20
	ds_read2_b64 v[68:71], v22 offset0:7 offset1:8
	ds_read2_b64 v[72:75], v22 offset0:9 offset1:10
	v_fma_f32 v11, -v119, v66, v11
	v_fma_f32 v11, -v120, v32, v11
	;; [unrolled: 1-line block ×3, first 2 shown]
	s_waitcnt lgkmcnt(1)
	v_fma_f32 v11, -v123, v68, v11
	v_fma_f32 v11, -v124, v37, v11
	;; [unrolled: 1-line block ×4, first 2 shown]
	s_add_i32 s20, s15, 0x188
	v_mul_f32_e32 v128, v60, v11
	v_add_lshl_u32 v11, s20, v0, 2
	ds_write_b32 v11, v128 offset:3136
	v_fma_f32 v11, -v1, v29, v23
	v_fma_f32 v11, -v44, v80, v11
	;; [unrolled: 1-line block ×6, first 2 shown]
	s_add_i32 s19, s15, 0x16c
	v_fma_f32 v11, -v116, v78, v11
	v_add_lshl_u32 v30, s19, v0, 2
	s_add_i32 s19, s6, s19
	v_fma_f32 v11, -v119, v67, v11
	ds_read_b32 v126, v10 offset:92
	s_lshl_b32 s19, s19, 2
	v_fma_f32 v11, -v120, v33, v11
	ds_read2_b32 v[32:33], v10 offset0:15 offset1:16
	ds_write_b32 v30, v127 offset:3136
	v_fma_f32 v11, -v122, v84, v11
	v_mov_b32_e32 v23, s19
	v_fma_f32 v11, -v123, v69, v11
	ds_read2_b32 v[42:43], v10 offset0:17 offset1:18
	ds_read2_b32 v[68:69], v10 offset0:19 offset1:20
	;; [unrolled: 1-line block ×4, first 2 shown]
	s_waitcnt lgkmcnt(5)
	v_fma_f32 v10, -v124, v32, v11
	v_fma_f32 v24, -v125, v55, v10
	ds_read2_b32 v[108:109], v23 offset0:17 offset1:18
	ds_read2_b32 v[110:111], v23 offset0:19 offset1:20
	ds_read_b64 v[10:11], v22 offset:88
	s_add_i32 s19, s6, s20
	s_waitcnt lgkmcnt(3)
	v_fma_f32 v22, -v127, v88, v24
	s_add_i32 s20, s9, 0x6cc
	v_fma_f32 v28, -v128, v61, v22
	v_mov_b32_e32 v22, s20
	ds_read2_b32 v[60:61], v22 offset1:1
	ds_read2_b32 v[112:113], v23 offset0:21 offset1:22
	ds_read_b32 v129, v23 offset:92
	ds_read_b128 v[22:25], v92 offset:64
	s_add_i32 s20, s15, 0x1a4
	ds_read_b128 v[36:39], v90 offset:64
	s_lshl_b32 s18, s18, 2
	s_waitcnt lgkmcnt(4)
	v_mul_f32_e32 v130, v60, v28
	v_add_lshl_u32 v28, s20, v0, 2
	ds_write_b32 v28, v130 offset:3136
	ds_read_b128 v[28:31], v92 offset:80
	s_waitcnt lgkmcnt(3)
	v_fma_f32 v20, -v1, v22, v20
	v_fma_f32 v20, -v44, v81, v20
	;; [unrolled: 1-line block ×3, first 2 shown]
	ds_read_b128 v[52:55], v90 offset:80
	ds_read_b128 v[64:67], v91 offset:64
	v_fma_f32 v20, -v40, v77, v20
	s_waitcnt lgkmcnt(4)
	v_fma_f32 v20, -v12, v36, v20
	v_fma_f32 v20, -v13, v87, v20
	;; [unrolled: 1-line block ×3, first 2 shown]
	v_mov_b32_e32 v22, s18
	s_waitcnt lgkmcnt(0)
	v_fma_f32 v20, -v119, v64, v20
	ds_read_b128 v[80:83], v22 offset:64
	v_fma_f32 v20, -v120, v48, v20
	v_fma_f32 v20, -v122, v85, v20
	ds_read_b128 v[84:87], v22 offset:80
	v_fma_f32 v20, -v123, v70, v20
	v_fma_f32 v20, -v124, v33, v20
	s_waitcnt lgkmcnt(1)
	v_fma_f32 v20, -v125, v80, v20
	ds_read_b128 v[76:79], v91 offset:80
	ds_read2_b32 v[32:33], v47 offset0:17 offset1:18
	v_fma_f32 v20, -v127, v89, v20
	ds_read_b128 v[88:91], v46 offset:1856
	ds_read_b128 v[92:95], v46 offset:2320
	v_fma_f32 v20, -v128, v62, v20
	s_add_i32 s18, s6, s20
	v_fma_f32 v20, -v130, v61, v20
	s_add_i32 s20, s15, 0x1c0
	s_waitcnt lgkmcnt(1)
	v_mul_f32_e32 v88, v88, v20
	v_add_lshl_u32 v20, s20, v0, 2
	ds_write_b32 v20, v88 offset:3136
	v_fma_f32 v20, -v1, v23, v21
	v_fma_f32 v20, -v44, v32, v20
	;; [unrolled: 1-line block ×4, first 2 shown]
	ds_read2_b32 v[60:61], v47 offset0:19 offset1:20
	ds_read2_b32 v[114:115], v47 offset0:21 offset1:22
	ds_read_b32 v131, v47 offset:92
	v_fma_f32 v20, -v12, v37, v20
	ds_read2_b32 v[26:27], v121 offset0:17 offset1:18
	v_fma_f32 v20, -v13, v102, v20
	v_fma_f32 v20, -v116, v96, v20
	;; [unrolled: 1-line block ×4, first 2 shown]
	s_lshl_b32 s18, s18, 2
	v_fma_f32 v20, -v120, v49, v20
	v_fma_f32 v18, -v44, v33, v18
	s_waitcnt lgkmcnt(0)
	v_fma_f32 v20, -v122, v26, v20
	v_mov_b32_e32 v21, s18
	v_fma_f32 v18, -v45, v56, v18
	ds_read2_b32 v[36:37], v121 offset0:19 offset1:20
	ds_read2_b32 v[64:65], v121 offset0:21 offset1:22
	ds_read_b32 v96, v121 offset:92
	v_fma_f32 v20, -v123, v71, v20
	ds_read2_b32 v[46:47], v21 offset0:17 offset1:18
	v_fma_f32 v18, -v40, v99, v18
	v_fma_f32 v20, -v124, v42, v20
	v_fma_f32 v18, -v12, v38, v18
	v_fma_f32 v20, -v125, v81, v20
	v_fma_f32 v18, -v13, v103, v18
	v_fma_f32 v20, -v127, v108, v20
	s_add_i32 s18, s6, s20
	s_add_i32 s20, s9, 0x7b4
	v_fma_f32 v18, -v116, v97, v18
	s_lshl_b32 s19, s19, 2
	v_fma_f32 v20, -v128, v63, v20
	ds_read2_b32 v[62:63], v21 offset0:19 offset1:20
	ds_read2_b32 v[70:71], v21 offset0:21 offset1:22
	ds_read_b32 v98, v21 offset:92
	v_mov_b32_e32 v21, s20
	v_fma_f32 v18, -v119, v66, v18
	s_waitcnt lgkmcnt(3)
	v_fma_f32 v20, -v130, v46, v20
	ds_read2_b32 v[80:81], v21 offset1:1
	v_mov_b32_e32 v32, s19
	v_fma_f32 v18, -v120, v50, v18
	v_fma_f32 v26, -v88, v89, v20
	ds_read2_b64 v[20:23], v32 offset0:9 offset1:10
	v_fma_f32 v18, -v122, v27, v18
	v_fma_f32 v18, -v123, v72, v18
	;; [unrolled: 1-line block ×3, first 2 shown]
	s_add_i32 s20, s15, 0x1dc
	v_fma_f32 v18, -v125, v82, v18
	s_waitcnt lgkmcnt(1)
	v_mul_f32_e32 v80, v80, v26
	v_add_lshl_u32 v26, s20, v0, 2
	v_fma_f32 v18, -v127, v109, v18
	s_add_i32 s19, s6, s20
	s_add_i32 s20, s9, 0x828
	s_waitcnt lgkmcnt(0)
	v_fma_f32 v18, -v128, v20, v18
	v_mov_b32_e32 v20, s20
	v_fma_f32 v18, -v130, v47, v18
	ds_read2_b64 v[46:49], v20 offset1:1
	v_fma_f32 v18, -v88, v90, v18
	v_fma_f32 v18, -v80, v81, v18
	s_add_i32 s20, s15, 0x1f8
	ds_write_b32 v26, v80 offset:3136
	ds_read_b64 v[26:27], v32 offset:88
	s_waitcnt lgkmcnt(2)
	v_mul_f32_e32 v46, v46, v18
	v_add_lshl_u32 v18, s20, v0, 2
	ds_write_b32 v18, v46 offset:3136
	v_fma_f32 v18, -v1, v25, v19
	v_fma_f32 v18, -v44, v60, v18
	;; [unrolled: 1-line block ×4, first 2 shown]
	ds_read2_b32 v[18:19], v117 offset0:19 offset1:20
	v_fma_f32 v20, -v12, v39, v20
	v_fma_f32 v20, -v13, v104, v20
	;; [unrolled: 1-line block ×3, first 2 shown]
	s_lshl_b32 s19, s19, 2
	s_waitcnt lgkmcnt(0)
	v_fma_f32 v18, -v116, v18, v20
	v_fma_f32 v18, -v119, v67, v18
	;; [unrolled: 1-line block ×7, first 2 shown]
	v_mov_b32_e32 v20, s19
	v_fma_f32 v16, -v45, v58, v16
	ds_read2_b32 v[24:25], v117 offset0:21 offset1:22
	ds_read_b32 v50, v117 offset:92
	v_fma_f32 v18, -v125, v83, v18
	ds_read2_b32 v[32:33], v20 offset0:19 offset1:20
	v_fma_f32 v16, -v40, v101, v16
	v_fma_f32 v18, -v127, v110, v18
	;; [unrolled: 1-line block ×4, first 2 shown]
	s_add_i32 s19, s9, 0x89c
	v_fma_f32 v16, -v13, v105, v16
	v_fma_f32 v18, -v130, v62, v18
	v_mov_b32_e32 v21, s19
	ds_read2_b32 v[38:39], v20 offset0:21 offset1:22
	ds_read2_b32 v[42:43], v21 offset1:1
	ds_read_b32 v51, v20 offset:92
	v_fma_f32 v16, -v116, v19, v16
	v_fma_f32 v18, -v88, v91, v18
	;; [unrolled: 1-line block ×3, first 2 shown]
	s_waitcnt lgkmcnt(3)
	v_fma_f32 v18, -v80, v32, v18
	v_fma_f32 v2, -v120, v2, v16
	s_lshl_b32 s18, s18, 2
	s_add_i32 s19, s6, s20
	v_fma_f32 v18, -v46, v47, v18
	s_add_i32 s20, s15, 0x214
	v_fma_f32 v2, -v122, v37, v2
	s_waitcnt lgkmcnt(1)
	v_mul_f32_e32 v42, v42, v18
	v_add_lshl_u32 v18, s20, v0, 2
	v_fma_f32 v2, -v123, v74, v2
	v_mov_b32_e32 v16, s18
	ds_write_b32 v18, v42 offset:3136
	v_fma_f32 v2, -v124, v69, v2
	ds_read_b128 v[18:21], v16 offset:80
	v_fma_f32 v2, -v125, v84, v2
	v_fma_f32 v2, -v127, v111, v2
	s_add_i32 s18, s6, s20
	v_fma_f32 v2, -v128, v22, v2
	s_lshl_b32 s18, s18, 2
	v_fma_f32 v2, -v130, v63, v2
	v_mov_b32_e32 v22, s18
	ds_read2_b32 v[36:37], v22 offset0:21 offset1:22
	s_waitcnt lgkmcnt(1)
	v_fma_f32 v2, -v88, v18, v2
	v_fma_f32 v2, -v80, v33, v2
	;; [unrolled: 1-line block ×4, first 2 shown]
	s_add_i32 s18, s15, 0x230
	ds_read2_b32 v[32:33], v41 offset0:21 offset1:22
	v_mul_f32_e32 v18, v92, v2
	v_add_lshl_u32 v2, s18, v0, 2
	ds_write_b32 v2, v18 offset:3136
	v_fma_f32 v2, -v1, v29, v17
	v_fma_f32 v2, -v44, v114, v2
	;; [unrolled: 1-line block ×3, first 2 shown]
	s_waitcnt lgkmcnt(1)
	v_fma_f32 v2, -v40, v32, v2
	v_fma_f32 v2, -v12, v53, v2
	;; [unrolled: 1-line block ×17, first 2 shown]
	s_addk_i32 s9, 0x984
	v_fma_f32 v8, -v18, v93, v2
	v_mov_b32_e32 v2, s9
	ds_read_b32 v28, v41 offset:92
	ds_read2_b32 v[2:3], v2 offset1:1
	s_add_i32 s18, s15, 0x24c
	s_add_i32 s8, s6, 24
	;; [unrolled: 1-line block ×3, first 2 shown]
	s_lshl_b32 s19, s19, 2
	s_lshl_b32 s6, s6, 2
	v_mov_b32_e32 v16, s19
	v_mov_b32_e32 v19, s6
	s_waitcnt lgkmcnt(0)
	v_mul_f32_e32 v2, v2, v8
	v_add_lshl_u32 v8, s18, v0, 2
	ds_read_b64 v[16:17], v16 offset:88
	ds_read_b32 v19, v19 offset:92
	ds_read_b32 v22, v22 offset:92
	ds_write_b32 v8, v2 offset:3136
	v_fma_f32 v8, -v1, v30, v14
	v_fma_f32 v8, -v44, v115, v8
	;; [unrolled: 1-line block ×30, first 2 shown]
	s_waitcnt lgkmcnt(3)
	v_fma_f32 v4, -v46, v16, v4
	v_fma_f32 v1, -v125, v87, v1
	;; [unrolled: 1-line block ×7, first 2 shown]
	s_addk_i32 s15, 0x268
	v_fma_f32 v1, -v130, v98, v1
	v_mul_f32_e32 v3, v34, v3
	v_add_lshl_u32 v4, s15, v0, 2
	v_fma_f32 v1, -v88, v21, v1
	s_mul_i32 s6, s14, 0x74
	ds_write_b32 v4, v3 offset:3136
	v_fma_f32 v1, -v80, v51, v1
	v_mov_b32_e32 v4, s6
	v_fma_f32 v1, -v46, v17, v1
	ds_read_b32 v4, v4
	s_waitcnt lgkmcnt(3)
	v_fma_f32 v1, -v42, v22, v1
	v_fma_f32 v1, -v18, v95, v1
	;; [unrolled: 1-line block ×4, first 2 shown]
	s_mul_i32 s14, s14, 28
	s_waitcnt lgkmcnt(0)
	v_mul_f32_e32 v1, v4, v1
	v_add_lshl_u32 v2, s14, v0, 2
	s_mov_b32 s6, s8
	ds_write_b32 v2, v1 offset:3136
.LBB33_64:
	s_cmp_ge_i32 s6, s26
	s_cbranch_scc1 .LBB33_75
; %bb.65:
	v_mov_b32_e32 v1, 0xc40
	s_add_i32 s8, s6, -1
	s_lshl_b32 s9, s6, 2
	v_lshl_add_u32 v1, v0, 2, v1
	s_mov_b32 s14, 0
	s_mov_b32 s15, s6
	s_branch .LBB33_67
.LBB33_66:                              ;   in Loop: Header=BB33_67 Depth=1
	s_mul_i32 s18, s6, 0x74
	v_mov_b32_e32 v4, s18
	ds_read_b32 v4, v4
	s_add_i32 s6, s6, 1
	s_add_i32 s14, s14, 1
	;; [unrolled: 1-line block ×3, first 2 shown]
	v_add_u16_e64 v5, s15, 1
	v_add_u32_e32 v3, 0xc40, v3
	s_waitcnt lgkmcnt(0)
	v_mul_f32_e32 v2, v4, v2
	s_cmp_ge_i32 s6, s26
	v_readfirstlane_b32 s15, v5
	ds_write_b32 v3, v2
	s_cbranch_scc1 .LBB33_75
.LBB33_67:                              ; =>This Loop Header: Depth=1
                                        ;     Child Loop BB33_70 Depth 2
                                        ;     Child Loop BB33_74 Depth 2
	s_mul_i32 s18, s6, 28
	v_add_lshl_u32 v3, s18, v0, 2
	ds_read_b32 v2, v3 offset:3136
	s_cmp_eq_u32 s6, 0
	s_cbranch_scc1 .LBB33_66
; %bb.68:                               ;   in Loop: Header=BB33_67 Depth=1
	s_add_i32 s18, s8, s14
	s_cmp_lt_u32 s18, 7
	s_cbranch_scc1 .LBB33_72
; %bb.69:                               ;   in Loop: Header=BB33_67 Depth=1
	s_and_b32 s18, s6, -8
	s_mov_b32 s19, 0
	v_mov_b32_e32 v4, v1
	s_mov_b32 s20, s9
.LBB33_70:                              ;   Parent Loop BB33_67 Depth=1
                                        ; =>  This Inner Loop Header: Depth=2
	ds_read2_b32 v[6:7], v4 offset1:28
	v_mov_b32_e32 v5, s20
	ds_read2_b32 v[8:9], v4 offset0:56 offset1:84
	ds_read2_b32 v[10:11], v4 offset0:112 offset1:140
	;; [unrolled: 1-line block ×3, first 2 shown]
	ds_read2_b32 v[14:15], v5 offset1:28
	ds_read2_b32 v[16:17], v5 offset0:56 offset1:84
	ds_read2_b32 v[18:19], v5 offset0:112 offset1:140
	;; [unrolled: 1-line block ×3, first 2 shown]
	s_add_i32 s19, s19, 8
	s_waitcnt lgkmcnt(3)
	v_fma_f32 v2, -v6, v14, v2
	v_fma_f32 v2, -v7, v15, v2
	s_waitcnt lgkmcnt(2)
	v_fma_f32 v2, -v8, v16, v2
	v_fma_f32 v2, -v9, v17, v2
	;; [unrolled: 3-line block ×3, first 2 shown]
	s_addk_i32 s20, 0x380
	s_waitcnt lgkmcnt(0)
	v_fma_f32 v2, -v12, v20, v2
	v_add_u32_e32 v4, 0x380, v4
	s_cmp_lg_u32 s18, s19
	v_fma_f32 v2, -v13, v21, v2
	s_cbranch_scc1 .LBB33_70
; %bb.71:                               ;   in Loop: Header=BB33_67 Depth=1
	s_and_b32 s19, s6, 7
	s_cmp_eq_u32 s19, 0
	s_cbranch_scc0 .LBB33_73
	s_branch .LBB33_66
.LBB33_72:                              ;   in Loop: Header=BB33_67 Depth=1
	s_mov_b32 s18, 0
	s_and_b32 s19, s6, 7
	s_cmp_eq_u32 s19, 0
	s_cbranch_scc1 .LBB33_66
.LBB33_73:                              ;   in Loop: Header=BB33_67 Depth=1
	s_and_b32 s19, s15, 7
	s_mulk_i32 s18, 0x70
.LBB33_74:                              ;   Parent Loop BB33_67 Depth=1
                                        ; =>  This Inner Loop Header: Depth=2
	s_add_i32 s20, s9, s18
	v_add_u32_e32 v4, s18, v1
	v_mov_b32_e32 v5, s20
	ds_read_b32 v4, v4
	ds_read_b32 v5, v5
	s_addk_i32 s18, 0x70
	s_add_i32 s19, s19, -1
	s_cmp_lg_u32 s19, 0
	s_waitcnt lgkmcnt(0)
	v_fma_f32 v2, -v4, v5, v2
	s_cbranch_scc1 .LBB33_74
	s_branch .LBB33_66
.LBB33_75:
	s_waitcnt lgkmcnt(0)
	; wave barrier
	s_waitcnt lgkmcnt(0)
	s_and_saveexec_b64 s[8:9], s[12:13]
	s_cbranch_execz .LBB33_87
; %bb.76:
	s_cmp_lt_i32 s10, 2
	s_cbranch_scc1 .LBB33_84
; %bb.77:
	s_add_i32 s8, s26, -2
	s_lshr_b32 s9, s8, 1
	s_add_i32 s9, s9, 1
	s_mov_b32 s10, 0
	s_mov_b32 s6, 1
	s_cmp_lt_u32 s8, 14
	s_mov_b32 s8, s10
	s_cbranch_scc1 .LBB33_80
; %bb.78:
	s_mul_i32 s8, s1, s7
	s_mul_hi_u32 s10, s0, s7
	s_add_i32 s15, s10, s8
	s_mul_i32 s14, s0, s7
	s_lshl_b64 s[18:19], s[4:5], 2
	v_lshlrev_b32_e32 v1, 2, v0
	s_and_b32 s12, s9, -8
	s_lshl_b64 s[14:15], s[14:15], 2
	v_mov_b32_e32 v2, s19
	v_add_co_u32_e32 v1, vcc, s18, v1
	s_lshl_b64 s[18:19], s[16:17], 2
	s_add_u32 s8, s2, s18
	s_addc_u32 s10, s3, s19
	s_add_u32 s14, s8, s14
	s_addc_u32 s15, s10, s15
	v_addc_co_u32_e32 v4, vcc, 0, v2, vcc
	v_pk_mov_b32 v[2:3], s[14:15], s[14:15] op_sel:[0,1]
	v_mad_u64_u32 v[2:3], s[14:15], v1, s22, v[2:3]
	v_mul_lo_u32 v1, v1, s11
	v_mul_lo_u32 v4, v4, s22
	v_add3_u32 v1, v4, v3, v1
	v_add_co_u32_e32 v2, vcc, 56, v2
	v_addc_co_u32_e32 v3, vcc, 0, v1, vcc
	s_mov_b32 s8, 0
	s_mov_b32 s10, 0
.LBB33_79:                              ; =>This Inner Loop Header: Depth=1
	s_mul_i32 s13, s6, 28
	s_mul_i32 s14, s10, 28
	v_add_lshl_u32 v1, s14, v0, 2
	v_add_lshl_u32 v5, s13, v0, 2
	s_add_i32 s15, s13, 56
	s_add_i32 s18, s14, 56
	;; [unrolled: 1-line block ×12, first 2 shown]
	s_addk_i32 s13, 0x188
	s_addk_i32 s14, 0x188
	v_add_lshl_u32 v6, s18, v0, 2
	v_add_lshl_u32 v7, s15, v0, 2
	;; [unrolled: 1-line block ×14, first 2 shown]
	ds_read_b32 v4, v1 offset:3136
	ds_read_b32 v5, v5 offset:3136
	;; [unrolled: 1-line block ×16, first 2 shown]
	s_add_i32 s8, s8, 16
	s_add_i32 s6, s6, 16
	;; [unrolled: 1-line block ×3, first 2 shown]
	s_add_i32 s12, s12, -8
	s_waitcnt lgkmcnt(12)
	global_store_dwordx4 v[2:3], v[4:7], off offset:-56
	s_waitcnt lgkmcnt(8)
	global_store_dwordx4 v[2:3], v[8:11], off offset:-40
	s_waitcnt lgkmcnt(4)
	global_store_dwordx4 v[2:3], v[12:15], off offset:-24
	s_waitcnt lgkmcnt(0)
	global_store_dwordx4 v[2:3], v[16:19], off offset:-8
	v_add_co_u32_e32 v2, vcc, 64, v2
	s_cmp_lg_u32 s12, 0
	v_addc_co_u32_e32 v3, vcc, 0, v3, vcc
	s_cbranch_scc1 .LBB33_79
.LBB33_80:
	s_and_b32 s12, s9, 7
	s_cmp_eq_u32 s12, 0
	s_mov_b32 s9, 0
	s_cbranch_scc1 .LBB33_83
; %bb.81:
	s_mul_i32 s13, s1, s7
	s_mul_hi_u32 s14, s0, s7
	s_add_i32 s15, s14, s13
	s_mul_i32 s14, s0, s7
	s_lshl_b64 s[18:19], s[4:5], 2
	v_lshlrev_b32_e32 v1, 2, v0
	s_lshl_b64 s[14:15], s[14:15], 2
	v_mov_b32_e32 v2, s19
	v_add_co_u32_e32 v1, vcc, s18, v1
	s_lshl_b64 s[18:19], s[16:17], 2
	s_lshl_b64 s[8:9], s[8:9], 2
	s_add_u32 s8, s2, s8
	s_addc_u32 s9, s3, s9
	s_add_u32 s8, s8, s18
	s_addc_u32 s9, s9, s19
	;; [unrolled: 2-line block ×3, first 2 shown]
	v_addc_co_u32_e32 v4, vcc, 0, v2, vcc
	v_pk_mov_b32 v[2:3], s[8:9], s[8:9] op_sel:[0,1]
	v_mad_u64_u32 v[2:3], s[8:9], v1, s22, v[2:3]
	v_mul_lo_u32 v1, v1, s11
	v_mul_lo_u32 v4, v4, s22
	v_add3_u32 v3, v4, v3, v1
	s_lshl_b32 s8, s12, 3
.LBB33_82:                              ; =>This Inner Loop Header: Depth=1
	s_mul_i32 s9, s6, 28
	s_mul_i32 s12, s10, 28
	v_add_lshl_u32 v1, s12, v0, 2
	v_add_lshl_u32 v5, s9, v0, 2
	ds_read_b32 v4, v1 offset:3136
	ds_read_b32 v5, v5 offset:3136
	s_add_i32 s6, s6, 2
	s_add_i32 s10, s10, 2
	s_add_i32 s8, s8, -8
	s_cmp_lg_u32 s8, 0
	s_waitcnt lgkmcnt(0)
	global_store_dwordx2 v[2:3], v[4:5], off
	v_add_co_u32_e32 v2, vcc, 8, v2
	v_addc_co_u32_e32 v3, vcc, 0, v3, vcc
	s_cbranch_scc1 .LBB33_82
.LBB33_83:
	s_and_b32 s10, s26, 30
	s_cmp_lg_u32 s26, s10
	s_cselect_b64 s[8:9], -1, 0
	s_and_b64 vcc, exec, s[8:9]
	s_cbranch_vccnz .LBB33_85
	s_branch .LBB33_87
.LBB33_84:
	s_mov_b32 s10, 0
	s_cbranch_execz .LBB33_87
.LBB33_85:
	s_mul_i32 s8, s10, 0x70
	v_lshl_add_u32 v1, v0, 2, s8
	s_mul_i32 s1, s1, s7
	s_mul_hi_u32 s8, s0, s7
	s_add_i32 s1, s8, s1
	s_mul_i32 s0, s0, s7
	s_lshl_b64 s[4:5], s[4:5], 2
	v_lshlrev_b32_e32 v0, 2, v0
	s_sub_i32 s6, s26, s10
	v_add_u32_e32 v2, 0xc40, v1
	s_lshl_b64 s[0:1], s[0:1], 2
	v_mov_b32_e32 v1, s5
	v_add_co_u32_e32 v3, vcc, s4, v0
	s_lshl_b64 s[4:5], s[16:17], 2
	s_lshl_b32 s7, s10, 2
	s_add_u32 s2, s2, s7
	s_addc_u32 s3, s3, 0
	s_add_u32 s2, s2, s4
	s_addc_u32 s3, s3, s5
	;; [unrolled: 2-line block ×3, first 2 shown]
	v_addc_co_u32_e32 v4, vcc, 0, v1, vcc
	v_pk_mov_b32 v[0:1], s[0:1], s[0:1] op_sel:[0,1]
	v_mad_u64_u32 v[0:1], s[0:1], v3, s22, v[0:1]
	v_mul_lo_u32 v3, v3, s11
	v_mul_lo_u32 v4, v4, s22
	v_add3_u32 v1, v4, v1, v3
.LBB33_86:                              ; =>This Inner Loop Header: Depth=1
	ds_read_b32 v3, v2
	s_add_i32 s6, s6, -1
	v_add_u32_e32 v2, 0x70, v2
	s_cmp_lg_u32 s6, 0
	s_waitcnt lgkmcnt(0)
	global_store_dword v[0:1], v3, off
	v_add_co_u32_e32 v0, vcc, 4, v0
	v_addc_co_u32_e32 v1, vcc, 0, v1, vcc
	s_cbranch_scc1 .LBB33_86
.LBB33_87:
	s_endpgm
	.section	.rodata,"a",@progbits
	.p2align	6, 0x0
	.amdhsa_kernel _ZL38rocblas_trsm_small_left_device_sharedBILi28ELi28ELb1EffPKfPfEv13rocblas_fill_18rocblas_operation_17rocblas_diagonal_iiT3_T4_lilT5_lili
		.amdhsa_group_segment_fixed_size 6272
		.amdhsa_private_segment_fixed_size 0
		.amdhsa_kernarg_size 352
		.amdhsa_user_sgpr_count 6
		.amdhsa_user_sgpr_private_segment_buffer 1
		.amdhsa_user_sgpr_dispatch_ptr 0
		.amdhsa_user_sgpr_queue_ptr 0
		.amdhsa_user_sgpr_kernarg_segment_ptr 1
		.amdhsa_user_sgpr_dispatch_id 0
		.amdhsa_user_sgpr_flat_scratch_init 0
		.amdhsa_user_sgpr_kernarg_preload_length 0
		.amdhsa_user_sgpr_kernarg_preload_offset 0
		.amdhsa_user_sgpr_private_segment_size 0
		.amdhsa_uses_dynamic_stack 0
		.amdhsa_system_sgpr_private_segment_wavefront_offset 0
		.amdhsa_system_sgpr_workgroup_id_x 1
		.amdhsa_system_sgpr_workgroup_id_y 0
		.amdhsa_system_sgpr_workgroup_id_z 1
		.amdhsa_system_sgpr_workgroup_info 0
		.amdhsa_system_vgpr_workitem_id 0
		.amdhsa_next_free_vgpr 132
		.amdhsa_next_free_sgpr 46
		.amdhsa_accum_offset 132
		.amdhsa_reserve_vcc 1
		.amdhsa_reserve_flat_scratch 0
		.amdhsa_float_round_mode_32 0
		.amdhsa_float_round_mode_16_64 0
		.amdhsa_float_denorm_mode_32 3
		.amdhsa_float_denorm_mode_16_64 3
		.amdhsa_dx10_clamp 1
		.amdhsa_ieee_mode 1
		.amdhsa_fp16_overflow 0
		.amdhsa_tg_split 0
		.amdhsa_exception_fp_ieee_invalid_op 0
		.amdhsa_exception_fp_denorm_src 0
		.amdhsa_exception_fp_ieee_div_zero 0
		.amdhsa_exception_fp_ieee_overflow 0
		.amdhsa_exception_fp_ieee_underflow 0
		.amdhsa_exception_fp_ieee_inexact 0
		.amdhsa_exception_int_div_zero 0
	.end_amdhsa_kernel
	.section	.text._ZL38rocblas_trsm_small_left_device_sharedBILi28ELi28ELb1EffPKfPfEv13rocblas_fill_18rocblas_operation_17rocblas_diagonal_iiT3_T4_lilT5_lili,"axG",@progbits,_ZL38rocblas_trsm_small_left_device_sharedBILi28ELi28ELb1EffPKfPfEv13rocblas_fill_18rocblas_operation_17rocblas_diagonal_iiT3_T4_lilT5_lili,comdat
.Lfunc_end33:
	.size	_ZL38rocblas_trsm_small_left_device_sharedBILi28ELi28ELb1EffPKfPfEv13rocblas_fill_18rocblas_operation_17rocblas_diagonal_iiT3_T4_lilT5_lili, .Lfunc_end33-_ZL38rocblas_trsm_small_left_device_sharedBILi28ELi28ELb1EffPKfPfEv13rocblas_fill_18rocblas_operation_17rocblas_diagonal_iiT3_T4_lilT5_lili
                                        ; -- End function
	.section	.AMDGPU.csdata,"",@progbits
; Kernel info:
; codeLenInByte = 30744
; NumSgprs: 50
; NumVgprs: 132
; NumAgprs: 0
; TotalNumVgprs: 132
; ScratchSize: 0
; MemoryBound: 0
; FloatMode: 240
; IeeeMode: 1
; LDSByteSize: 6272 bytes/workgroup (compile time only)
; SGPRBlocks: 6
; VGPRBlocks: 16
; NumSGPRsForWavesPerEU: 50
; NumVGPRsForWavesPerEU: 132
; AccumOffset: 132
; Occupancy: 3
; WaveLimiterHint : 0
; COMPUTE_PGM_RSRC2:SCRATCH_EN: 0
; COMPUTE_PGM_RSRC2:USER_SGPR: 6
; COMPUTE_PGM_RSRC2:TRAP_HANDLER: 0
; COMPUTE_PGM_RSRC2:TGID_X_EN: 1
; COMPUTE_PGM_RSRC2:TGID_Y_EN: 0
; COMPUTE_PGM_RSRC2:TGID_Z_EN: 1
; COMPUTE_PGM_RSRC2:TIDIG_COMP_CNT: 0
; COMPUTE_PGM_RSRC3_GFX90A:ACCUM_OFFSET: 32
; COMPUTE_PGM_RSRC3_GFX90A:TG_SPLIT: 0
	.section	.text._ZL30rocblas_trsm_small_left_deviceILi28ELi28ELb1EffPKfPfEv13rocblas_fill_18rocblas_operation_17rocblas_diagonal_iiT3_T4_lilT5_lili,"axG",@progbits,_ZL30rocblas_trsm_small_left_deviceILi28ELi28ELb1EffPKfPfEv13rocblas_fill_18rocblas_operation_17rocblas_diagonal_iiT3_T4_lilT5_lili,comdat
	.globl	_ZL30rocblas_trsm_small_left_deviceILi28ELi28ELb1EffPKfPfEv13rocblas_fill_18rocblas_operation_17rocblas_diagonal_iiT3_T4_lilT5_lili ; -- Begin function _ZL30rocblas_trsm_small_left_deviceILi28ELi28ELb1EffPKfPfEv13rocblas_fill_18rocblas_operation_17rocblas_diagonal_iiT3_T4_lilT5_lili
	.p2align	8
	.type	_ZL30rocblas_trsm_small_left_deviceILi28ELi28ELb1EffPKfPfEv13rocblas_fill_18rocblas_operation_17rocblas_diagonal_iiT3_T4_lilT5_lili,@function
_ZL30rocblas_trsm_small_left_deviceILi28ELi28ELb1EffPKfPfEv13rocblas_fill_18rocblas_operation_17rocblas_diagonal_iiT3_T4_lilT5_lili: ; @_ZL30rocblas_trsm_small_left_deviceILi28ELi28ELb1EffPKfPfEv13rocblas_fill_18rocblas_operation_17rocblas_diagonal_iiT3_T4_lilT5_lili
; %bb.0:
	s_load_dwordx4 s[8:11], s[4:5], 0x4
	s_load_dword s16, s[4:5], 0x14
	s_load_dwordx4 s[0:3], s[4:5], 0x30
	s_load_dwordx2 s[20:21], s[4:5], 0x40
	s_mov_b32 s19, 0
	s_waitcnt lgkmcnt(0)
	s_min_i32 s18, s10, 28
	v_cmp_gt_i32_e32 vcc, s18, v0
	s_and_saveexec_b64 s[22:23], vcc
	s_cbranch_execz .LBB34_15
; %bb.1:
	s_load_dword s24, s[4:5], 0x28
	s_load_dwordx4 s[12:15], s[4:5], 0x18
	s_cmp_gt_u32 s18, 1
	s_cselect_b64 s[26:27], -1, 0
	s_mov_b32 s17, 1
	s_waitcnt lgkmcnt(0)
	s_cmp_eq_u32 s24, 1
	s_cselect_b64 s[28:29], -1, 0
	s_and_b64 s[28:29], s[26:27], s[28:29]
	s_mov_b64 s[26:27], -1
	s_and_b64 vcc, exec, s[28:29]
	s_cbranch_vccz .LBB34_9
; %bb.2:
	s_add_i32 s26, s18, -2
	s_lshr_b32 s25, s26, 1
	s_add_i32 s25, s25, 1
	s_cmp_lt_u32 s26, 14
	s_mov_b32 s26, s19
	s_cbranch_scc1 .LBB34_5
; %bb.3:
	s_mul_i32 s17, s1, s7
	s_mul_hi_u32 s19, s0, s7
	s_add_i32 s29, s19, s17
	s_mul_i32 s28, s0, s7
	s_and_b32 s27, s25, -8
	s_lshl_b64 s[28:29], s[28:29], 2
	s_lshl_b64 s[30:31], s[14:15], 2
	s_add_u32 s17, s28, s30
	s_addc_u32 s19, s29, s31
	s_add_u32 s17, s12, s17
	v_lshlrev_b32_e32 v1, 2, v0
	s_addc_u32 s19, s13, s19
	v_mov_b32_e32 v2, s19
	v_add_co_u32_e32 v1, vcc, s17, v1
	v_addc_co_u32_e32 v3, vcc, 0, v2, vcc
	v_add_co_u32_e32 v2, vcc, 56, v1
	v_addc_co_u32_e32 v3, vcc, 0, v3, vcc
	s_mov_b32 s17, 1
	s_mov_b32 s26, 0
	;; [unrolled: 1-line block ×3, first 2 shown]
.LBB34_4:                               ; =>This Inner Loop Header: Depth=1
	global_load_dwordx4 v[4:7], v[2:3], off offset:-56
	global_load_dwordx4 v[8:11], v[2:3], off offset:-40
	;; [unrolled: 1-line block ×4, first 2 shown]
	s_mul_i32 s28, s17, 28
	s_mul_i32 s29, s19, 28
	s_add_i32 s26, s26, 16
	s_add_i32 s17, s17, 16
	;; [unrolled: 1-line block ×3, first 2 shown]
	s_add_i32 s27, s27, -8
	v_add_co_u32_e32 v2, vcc, 64, v2
	v_add_lshl_u32 v1, s29, v0, 2
	v_add_lshl_u32 v20, s28, v0, 2
	s_add_i32 s30, s28, 56
	s_add_i32 s31, s29, 56
	s_add_i32 s33, s28, 0x70
	s_add_i32 s34, s29, 0x70
	s_add_i32 s35, s28, 0xa8
	s_add_i32 s36, s29, 0xa8
	s_add_i32 s37, s28, 0xe0
	s_add_i32 s38, s29, 0xe0
	s_add_i32 s39, s28, 0x118
	s_add_i32 s40, s29, 0x118
	s_add_i32 s41, s28, 0x150
	s_add_i32 s42, s29, 0x150
	s_addk_i32 s28, 0x188
	s_addk_i32 s29, 0x188
	v_addc_co_u32_e32 v3, vcc, 0, v3, vcc
	s_cmp_lg_u32 s27, 0
	v_add_lshl_u32 v21, s31, v0, 2
	v_add_lshl_u32 v22, s30, v0, 2
	v_add_lshl_u32 v23, s34, v0, 2
	v_add_lshl_u32 v24, s33, v0, 2
	v_add_lshl_u32 v25, s36, v0, 2
	v_add_lshl_u32 v26, s35, v0, 2
	v_add_lshl_u32 v27, s38, v0, 2
	v_add_lshl_u32 v28, s37, v0, 2
	v_add_lshl_u32 v29, s40, v0, 2
	v_add_lshl_u32 v30, s39, v0, 2
	v_add_lshl_u32 v31, s42, v0, 2
	v_add_lshl_u32 v32, s41, v0, 2
	v_add_lshl_u32 v33, s29, v0, 2
	v_add_lshl_u32 v34, s28, v0, 2
	s_waitcnt vmcnt(3)
	ds_write_b32 v1, v4
	ds_write_b32 v20, v5
	ds_write_b32 v21, v6
	ds_write_b32 v22, v7
	s_waitcnt vmcnt(2)
	ds_write_b32 v23, v8
	ds_write_b32 v24, v9
	ds_write_b32 v25, v10
	ds_write_b32 v26, v11
	;; [unrolled: 5-line block ×4, first 2 shown]
	s_cbranch_scc1 .LBB34_4
.LBB34_5:
	s_and_b32 s25, s25, 7
	s_cmp_eq_u32 s25, 0
	s_mov_b32 s27, 0
	s_cbranch_scc1 .LBB34_8
; %bb.6:
	s_mul_i32 s28, s1, s7
	s_mul_hi_u32 s29, s0, s7
	s_add_i32 s29, s29, s28
	s_mul_i32 s28, s0, s7
	s_lshl_b64 s[28:29], s[28:29], 2
	s_lshl_b64 s[30:31], s[14:15], 2
	s_add_u32 s28, s28, s30
	s_addc_u32 s29, s29, s31
	s_lshl_b64 s[26:27], s[26:27], 2
	s_add_u32 s26, s12, s26
	s_addc_u32 s27, s13, s27
	s_add_u32 s26, s26, s28
	v_lshlrev_b32_e32 v1, 2, v0
	s_addc_u32 s27, s27, s29
	v_mov_b32_e32 v3, s27
	v_add_co_u32_e32 v2, vcc, s26, v1
	v_addc_co_u32_e32 v3, vcc, 0, v3, vcc
	s_lshl_b32 s25, s25, 3
.LBB34_7:                               ; =>This Inner Loop Header: Depth=1
	global_load_dwordx2 v[4:5], v[2:3], off
	s_mul_i32 s26, s17, 28
	s_mul_i32 s27, s19, 28
	s_add_i32 s17, s17, 2
	s_add_i32 s19, s19, 2
	v_add_co_u32_e32 v2, vcc, 8, v2
	s_add_i32 s25, s25, -8
	v_addc_co_u32_e32 v3, vcc, 0, v3, vcc
	v_add_lshl_u32 v1, s27, v0, 2
	s_cmp_lg_u32 s25, 0
	v_add_lshl_u32 v6, s26, v0, 2
	s_waitcnt vmcnt(0)
	ds_write_b32 v1, v4
	ds_write_b32 v6, v5
	s_cbranch_scc1 .LBB34_7
.LBB34_8:
	s_and_b32 s19, s18, -2
	s_cmp_lg_u32 s18, s19
	s_cselect_b64 s[26:27], -1, 0
.LBB34_9:
	s_and_b64 vcc, exec, s[26:27]
	s_cbranch_vccz .LBB34_12
; %bb.10:
	s_ashr_i32 s25, s24, 31
	s_mul_i32 s1, s1, s7
	s_mul_hi_u32 s17, s0, s7
	s_add_i32 s1, s17, s1
	s_mul_hi_u32 s17, s24, s19
	s_mul_i32 s26, s25, s19
	s_mul_i32 s0, s0, s7
	s_add_i32 s27, s17, s26
	s_mul_i32 s26, s24, s19
	s_lshl_b64 s[0:1], s[0:1], 2
	s_lshl_b64 s[26:27], s[26:27], 2
	s_add_u32 s17, s0, s26
	s_addc_u32 s26, s1, s27
	s_lshl_b64 s[0:1], s[14:15], 2
	s_add_u32 s0, s17, s0
	s_addc_u32 s1, s26, s1
	s_add_u32 s0, s12, s0
	v_lshlrev_b32_e32 v1, 2, v0
	s_addc_u32 s1, s13, s1
	v_mov_b32_e32 v3, s1
	v_add_co_u32_e32 v2, vcc, s0, v1
	s_lshl_b64 s[0:1], s[24:25], 2
	s_mul_i32 s13, s19, 0x70
	v_addc_co_u32_e32 v3, vcc, 0, v3, vcc
	s_sub_i32 s12, s18, s19
	v_lshl_add_u32 v1, v0, 2, s13
	v_mov_b32_e32 v4, s1
.LBB34_11:                              ; =>This Inner Loop Header: Depth=1
	global_load_dword v5, v[2:3], off
	v_add_co_u32_e32 v2, vcc, s0, v2
	s_add_i32 s12, s12, -1
	v_addc_co_u32_e32 v3, vcc, v3, v4, vcc
	s_cmp_eq_u32 s12, 0
	s_waitcnt vmcnt(0)
	ds_write_b32 v1, v5
	v_add_u32_e32 v1, 0x70, v1
	s_cbranch_scc0 .LBB34_11
.LBB34_12:
	v_mul_u32_u24_e32 v1, 29, v0
	s_cmpk_lg_i32 s9, 0x84
	v_lshlrev_b32_e32 v1, 2, v1
	v_mov_b32_e32 v2, 1.0
	s_cbranch_scc0 .LBB34_14
; %bb.13:
	ds_read_b32 v2, v1
	s_waitcnt lgkmcnt(0)
	v_div_scale_f32 v3, s[0:1], v2, v2, 1.0
	v_rcp_f32_e32 v4, v3
	v_div_scale_f32 v5, vcc, 1.0, v2, 1.0
	v_fma_f32 v6, -v3, v4, 1.0
	v_fmac_f32_e32 v4, v6, v4
	v_mul_f32_e32 v6, v5, v4
	v_fma_f32 v7, -v3, v6, v5
	v_fmac_f32_e32 v6, v7, v4
	v_fma_f32 v3, -v3, v6, v5
	v_div_fmas_f32 v3, v3, v4, v6
	v_div_fixup_f32 v2, v3, v2, 1.0
.LBB34_14:
	ds_write_b32 v1, v2
.LBB34_15:
	s_or_b64 exec, exec, s[22:23]
	s_load_dword s0, s[4:5], 0x60
	s_mul_i32 s1, s6, 0xffffffe4
	s_add_i32 s1, s1, s11
	s_waitcnt lgkmcnt(0)
	; wave barrier
	s_waitcnt lgkmcnt(0)
	s_add_i32 s0, s0, -1
	s_cmp_ge_u32 s6, s0
	s_cselect_b32 s0, s1, 28
	v_cmp_gt_i32_e32 vcc, s0, v0
	s_and_saveexec_b64 s[0:1], vcc
	s_cbranch_execz .LBB34_62
; %bb.16:
	s_load_dwordx2 s[0:1], s[4:5], 0x50
	s_load_dword s9, s[4:5], 0x48
	s_waitcnt lgkmcnt(0)
	s_mul_i32 s1, s7, s1
	s_mul_hi_u32 s4, s7, s0
	s_mul_i32 s0, s7, s0
	s_add_i32 s1, s4, s1
	s_lshl_b64 s[0:1], s[0:1], 2
	s_add_u32 s7, s2, s0
	s_addc_u32 s11, s3, s1
	s_lshl_b64 s[4:5], s[20:21], 2
	s_add_u32 s12, s7, s4
	v_mad_u64_u32 v[0:1], s[6:7], s6, 28, v[0:1]
	v_mad_i64_i32 v[0:1], s[6:7], s9, v0, 0
	s_addc_u32 s11, s11, s5
	v_lshlrev_b64 v[38:39], 2, v[0:1]
	v_mov_b32_e32 v0, s11
	v_add_co_u32_e32 v36, vcc, s12, v38
	v_addc_co_u32_e32 v37, vcc, v0, v39, vcc
	s_cmpk_eq_i32 s8, 0x6f
	s_mov_b64 s[6:7], -1
	s_cbranch_scc1 .LBB34_39
; %bb.17:
	s_add_i32 s6, s18, -1
	s_cmp_gt_i32 s10, 27
	s_mov_b32 s8, s6
	s_cbranch_scc0 .LBB34_19
; %bb.18:
	s_ashr_i32 s19, s18, 31
	s_lshl_b64 s[8:9], s[18:19], 2
	v_mov_b32_e32 v0, s9
	v_add_co_u32_e32 v28, vcc, s8, v36
	v_addc_co_u32_e32 v29, vcc, v37, v0, vcc
	global_load_dword v7, v[28:29], off offset:-4
	s_mov_b32 s19, 0
	s_lshl_b64 s[8:9], s[18:19], 2
	v_mov_b32_e32 v0, s9
	v_add_co_u32_e32 v30, vcc, s8, v36
	v_addc_co_u32_e32 v31, vcc, v37, v0, vcc
	global_load_dwordx3 v[4:6], v[30:31], off offset:-16
	global_load_dwordx4 v[8:11], v[30:31], off offset:-32
	global_load_dwordx4 v[0:3], v[30:31], off offset:-112
	;; [unrolled: 1-line block ×6, first 2 shown]
	s_mul_i32 s7, s18, 28
	s_mul_i32 s8, s6, 0x74
	s_add_i32 s7, s7, s6
	s_add_i32 s9, s8, 0xffffff8c
	;; [unrolled: 1-line block ×6, first 2 shown]
	s_lshl_b32 s7, s7, 2
	v_mov_b32_e32 v33, s9
	v_mov_b32_e32 v34, s11
	;; [unrolled: 1-line block ×5, first 2 shown]
	s_add_i32 s9, s7, 0xfffffeb0
	s_add_i32 s11, s7, 0xfffffe3c
	;; [unrolled: 1-line block ×7, first 2 shown]
	v_mov_b32_e32 v32, s8
	v_mov_b32_e32 v35, s9
	;; [unrolled: 1-line block ×8, first 2 shown]
	ds_read_b32 v54, v32
	ds_read2_b32 v[30:31], v33 offset1:1
	ds_read_b32 v55, v35
	ds_read2_b32 v[32:33], v34 offset1:1
	ds_read2_b32 v[34:35], v41 offset1:1
	;; [unrolled: 1-line block ×3, first 2 shown]
	ds_read_b32 v56, v42
	ds_read2_b32 v[42:43], v43 offset1:1
	ds_read2_b32 v[44:45], v44 offset1:1
	;; [unrolled: 1-line block ×5, first 2 shown]
	ds_read_b32 v52, v52
	s_add_i32 s19, s7, 0xfffffcec
	s_add_i32 s20, s7, 0xfffffce4
	v_mov_b32_e32 v53, s19
	s_add_i32 s9, s7, 0xfffffcdc
	s_waitcnt vmcnt(7)
	v_mul_f32_e32 v7, s16, v7
	s_waitcnt lgkmcnt(12)
	v_mul_f32_e32 v7, v54, v7
	s_waitcnt lgkmcnt(11)
	;; [unrolled: 2-line block ×5, first 2 shown]
	v_mul_f32_e32 v52, v7, v52
	v_mul_f32_e32 v55, v7, v56
	s_waitcnt vmcnt(6)
	v_fma_f32 v6, v6, s16, -v31
	v_fma_f32 v5, v5, s16, -v54
	v_mul_f32_e32 v6, v30, v6
	v_fma_f32 v4, v4, s16, -v35
	v_fma_f32 v5, -v6, v33, v5
	v_fma_f32 v4, -v6, v34, v4
	v_mul_f32_e32 v5, v32, v5
	v_fma_f32 v4, -v5, v41, v4
	v_mul_f32_e32 v4, v40, v4
	global_store_dwordx4 v[28:29], v[4:7], off offset:-16
	v_mov_b32_e32 v30, s20
	ds_read_b32 v34, v53
	ds_read2_b32 v[30:31], v30 offset1:1
	s_waitcnt vmcnt(6)
	v_fma_f32 v9, v9, s16, -v52
	v_mov_b32_e32 v32, s9
	s_add_i32 s9, s8, 0xfffffd48
	s_waitcnt lgkmcnt(1)
	v_fma_f32 v9, -v6, v34, v9
	s_waitcnt lgkmcnt(0)
	v_fma_f32 v9, -v5, v31, v9
	v_mov_b32_e32 v31, s9
	s_add_i32 s9, s7, 0xfffffc80
	v_mul_f32_e32 v47, v7, v47
	v_fma_f32 v11, v11, s16, -v55
	v_mov_b32_e32 v34, s9
	v_fma_f32 v10, v10, s16, -v47
	v_fma_f32 v11, -v6, v43, v11
	ds_read2_b32 v[32:33], v32 offset1:1
	ds_read_b32 v34, v34
	v_fma_f32 v10, -v6, v46, v10
	v_fma_f32 v11, -v5, v42, v11
	;; [unrolled: 1-line block ×4, first 2 shown]
	ds_read_b32 v31, v31
	v_fma_f32 v10, -v4, v48, v10
	v_mul_f32_e32 v11, v44, v11
	v_fma_f32 v10, -v11, v51, v10
	v_fma_f32 v9, -v4, v30, v9
	v_mul_f32_e32 v10, v50, v10
	s_waitcnt lgkmcnt(2)
	v_fma_f32 v9, -v11, v33, v9
	s_waitcnt lgkmcnt(1)
	v_mul_f32_e32 v30, v7, v34
	s_add_i32 s9, s7, 0xfffffc78
	v_fma_f32 v9, -v10, v32, v9
	v_fma_f32 v8, v8, s16, -v30
	v_mov_b32_e32 v30, s9
	s_waitcnt lgkmcnt(0)
	v_mul_f32_e32 v9, v31, v9
	ds_read2_b32 v[30:31], v30 offset1:1
	s_add_i32 s9, s7, 0xfffffc70
	v_mov_b32_e32 v32, s9
	ds_read2_b32 v[32:33], v32 offset1:1
	s_add_i32 s9, s7, 0xfffffc68
	v_mov_b32_e32 v34, s9
	s_waitcnt lgkmcnt(1)
	v_fma_f32 v8, -v6, v31, v8
	s_add_i32 s9, s8, 0xfffffcd4
	ds_read2_b32 v[34:35], v34 offset1:1
	v_fma_f32 v8, -v5, v30, v8
	v_mov_b32_e32 v30, s9
	s_add_i32 s9, s7, 0xfffffc10
	v_mov_b32_e32 v31, s9
	ds_read_b32 v31, v31
	ds_read_b32 v30, v30
	s_waitcnt lgkmcnt(3)
	v_fma_f32 v8, -v4, v33, v8
	v_fma_f32 v8, -v11, v32, v8
	s_waitcnt lgkmcnt(2)
	v_fma_f32 v8, -v10, v35, v8
	v_fma_f32 v8, -v9, v34, v8
	s_waitcnt lgkmcnt(0)
	v_mul_f32_e32 v8, v30, v8
	v_mul_f32_e32 v30, v7, v31
	s_add_i32 s9, s7, 0xfffffc0c
	s_waitcnt vmcnt(2)
	v_fma_f32 v15, v15, s16, -v30
	v_mov_b32_e32 v30, s9
	s_add_i32 s9, s7, 0xfffffc04
	global_store_dwordx4 v[28:29], v[8:11], off offset:-32
	v_mov_b32_e32 v31, s9
	ds_read_b32 v40, v30
	ds_read2_b32 v[30:31], v31 offset1:1
	s_add_i32 s9, s7, 0xfffffbfc
	v_mov_b32_e32 v32, s9
	s_add_i32 s9, s7, 0xfffffbf4
	v_mov_b32_e32 v34, s9
	s_waitcnt lgkmcnt(1)
	v_fma_f32 v15, -v6, v40, v15
	ds_read2_b32 v[32:33], v32 offset1:1
	ds_read2_b32 v[34:35], v34 offset1:1
	s_waitcnt lgkmcnt(2)
	v_fma_f32 v15, -v5, v31, v15
	s_add_i32 s9, s8, 0xfffffc60
	v_fma_f32 v15, -v4, v30, v15
	v_mov_b32_e32 v30, s9
	s_add_i32 s9, s7, 0xfffffba0
	v_mov_b32_e32 v31, s9
	ds_read_b32 v30, v30
	ds_read_b32 v31, v31
	s_waitcnt lgkmcnt(3)
	v_fma_f32 v15, -v11, v33, v15
	v_fma_f32 v15, -v10, v32, v15
	s_waitcnt lgkmcnt(2)
	v_fma_f32 v15, -v9, v35, v15
	v_fma_f32 v15, -v8, v34, v15
	s_waitcnt lgkmcnt(1)
	v_mul_f32_e32 v15, v30, v15
	s_waitcnt lgkmcnt(0)
	v_mul_f32_e32 v30, v7, v31
	s_add_i32 s9, s7, 0xfffffb98
	v_fma_f32 v14, v14, s16, -v30
	v_mov_b32_e32 v30, s9
	s_add_i32 s9, s7, 0xfffffb90
	ds_read2_b32 v[30:31], v30 offset1:1
	v_mov_b32_e32 v32, s9
	s_add_i32 s9, s7, 0xfffffb88
	v_mov_b32_e32 v34, s9
	s_add_i32 s9, s7, 0xfffffb80
	v_mov_b32_e32 v40, s9
	ds_read2_b32 v[32:33], v32 offset1:1
	ds_read2_b32 v[34:35], v34 offset1:1
	;; [unrolled: 1-line block ×3, first 2 shown]
	s_waitcnt lgkmcnt(3)
	v_fma_f32 v14, -v6, v31, v14
	s_addk_i32 s8, 0xfbec
	v_fma_f32 v14, -v5, v30, v14
	v_mov_b32_e32 v30, s8
	s_add_i32 s8, s7, 0xfffffb30
	s_waitcnt lgkmcnt(2)
	v_fma_f32 v14, -v4, v33, v14
	v_mov_b32_e32 v31, s8
	v_fma_f32 v14, -v11, v32, v14
	ds_read_b32 v30, v30
	ds_read_b32 v31, v31
	s_waitcnt lgkmcnt(3)
	v_fma_f32 v14, -v10, v35, v14
	v_fma_f32 v14, -v9, v34, v14
	s_waitcnt lgkmcnt(2)
	v_fma_f32 v14, -v8, v41, v14
	v_fma_f32 v14, -v15, v40, v14
	s_waitcnt lgkmcnt(1)
	v_mul_f32_e32 v14, v30, v14
	s_waitcnt lgkmcnt(0)
	v_mul_f32_e32 v30, v7, v31
	s_add_i32 s8, s7, 0xfffffb2c
	v_fma_f32 v13, v13, s16, -v30
	v_mov_b32_e32 v30, s8
	s_add_i32 s8, s7, 0xfffffb24
	v_mov_b32_e32 v31, s8
	ds_read_b32 v40, v30
	ds_read2_b32 v[30:31], v31 offset1:1
	s_add_i32 s8, s7, 0xfffffb1c
	v_mov_b32_e32 v32, s8
	s_add_i32 s8, s7, 0xfffffb14
	v_mov_b32_e32 v34, s8
	ds_read2_b32 v[32:33], v32 offset1:1
	ds_read2_b32 v[34:35], v34 offset1:1
	s_waitcnt lgkmcnt(3)
	v_fma_f32 v13, -v6, v40, v13
	s_waitcnt lgkmcnt(2)
	v_fma_f32 v13, -v5, v31, v13
	s_add_i32 s8, s7, 0xfffffb0c
	v_fma_f32 v13, -v4, v30, v13
	v_mov_b32_e32 v30, s8
	ds_read2_b32 v[30:31], v30 offset1:1
	s_waitcnt lgkmcnt(2)
	v_fma_f32 v13, -v11, v33, v13
	v_fma_f32 v13, -v10, v32, v13
	s_waitcnt lgkmcnt(1)
	v_fma_f32 v13, -v9, v35, v13
	v_fma_f32 v13, -v8, v34, v13
	s_mul_i32 s8, s18, 0x74
	s_waitcnt lgkmcnt(0)
	v_fma_f32 v13, -v15, v31, v13
	s_add_i32 s9, s8, 0xfffffb04
	v_fma_f32 v13, -v14, v30, v13
	v_mov_b32_e32 v30, s9
	s_add_i32 s9, s7, 0xfffffabc
	v_mov_b32_e32 v31, s9
	ds_read_b32 v40, v30
	ds_read2_b32 v[30:31], v31 offset1:1
	s_add_i32 s9, s7, 0xfffffab4
	v_mov_b32_e32 v32, s9
	s_add_i32 s9, s7, 0xfffffaac
	v_mov_b32_e32 v34, s9
	ds_read2_b32 v[32:33], v32 offset1:1
	ds_read2_b32 v[34:35], v34 offset1:1
	s_waitcnt lgkmcnt(2)
	v_mul_f32_e32 v31, v7, v31
	v_fma_f32 v12, v12, s16, -v31
	v_fma_f32 v12, -v6, v30, v12
	s_waitcnt lgkmcnt(1)
	v_fma_f32 v12, -v5, v33, v12
	s_add_i32 s9, s7, 0xfffffaa4
	v_fma_f32 v12, -v4, v32, v12
	v_mov_b32_e32 v30, s9
	s_add_i32 s9, s7, 0xfffffa9c
	s_waitcnt lgkmcnt(0)
	v_fma_f32 v12, -v11, v35, v12
	v_mov_b32_e32 v32, s9
	s_add_i32 s9, s8, 0xfffffa90
	v_fma_f32 v12, -v10, v34, v12
	v_mov_b32_e32 v34, s9
	s_add_i32 s9, s7, 0xfffffa50
	v_mul_f32_e32 v13, v40, v13
	ds_read2_b32 v[30:31], v30 offset1:1
	v_mov_b32_e32 v40, s9
	ds_read2_b32 v[32:33], v32 offset1:1
	ds_read2_b32 v[34:35], v34 offset1:1
	ds_read_b32 v40, v40
	s_add_i32 s9, s7, 0xfffffa48
	s_waitcnt lgkmcnt(3)
	v_fma_f32 v12, -v9, v31, v12
	v_fma_f32 v12, -v8, v30, v12
	s_waitcnt lgkmcnt(0)
	v_mul_f32_e32 v30, v7, v40
	v_fma_f32 v12, -v15, v33, v12
	s_waitcnt vmcnt(2)
	v_fma_f32 v19, v19, s16, -v30
	v_mov_b32_e32 v30, s9
	v_fma_f32 v12, -v14, v32, v12
	s_add_i32 s9, s7, 0xfffffa40
	ds_read2_b32 v[30:31], v30 offset1:1
	v_fma_f32 v12, -v13, v35, v12
	v_mov_b32_e32 v32, s9
	s_add_i32 s9, s7, 0xfffffa38
	v_mul_f32_e32 v12, v34, v12
	v_mov_b32_e32 v34, s9
	s_add_i32 s9, s7, 0xfffffa30
	global_store_dwordx4 v[28:29], v[12:15], off offset:-48
	v_mov_b32_e32 v40, s9
	ds_read2_b32 v[32:33], v32 offset1:1
	ds_read2_b32 v[34:35], v34 offset1:1
	;; [unrolled: 1-line block ×3, first 2 shown]
	s_waitcnt lgkmcnt(3)
	v_fma_f32 v19, -v6, v31, v19
	v_fma_f32 v19, -v5, v30, v19
	s_waitcnt lgkmcnt(2)
	v_fma_f32 v19, -v4, v33, v19
	v_fma_f32 v19, -v11, v32, v19
	s_add_i32 s9, s7, 0xfffffa28
	s_waitcnt lgkmcnt(1)
	v_fma_f32 v19, -v10, v35, v19
	v_mov_b32_e32 v30, s9
	s_add_i32 s9, s8, 0xfffffa1c
	v_fma_f32 v19, -v9, v34, v19
	v_mov_b32_e32 v32, s9
	s_add_i32 s9, s7, 0xfffff9dc
	s_waitcnt lgkmcnt(0)
	v_fma_f32 v19, -v8, v41, v19
	v_mov_b32_e32 v34, s9
	s_add_i32 s9, s7, 0xfffff9d4
	ds_read2_b32 v[30:31], v30 offset1:1
	v_fma_f32 v19, -v15, v40, v19
	v_mov_b32_e32 v40, s9
	ds_read2_b32 v[32:33], v32 offset1:1
	ds_read2_b32 v[34:35], v34 offset1:1
	;; [unrolled: 1-line block ×3, first 2 shown]
	s_add_i32 s9, s7, 0xfffff9cc
	s_waitcnt lgkmcnt(3)
	v_fma_f32 v19, -v14, v31, v19
	v_fma_f32 v19, -v13, v30, v19
	s_waitcnt lgkmcnt(1)
	v_mul_f32_e32 v30, v7, v35
	v_fma_f32 v18, v18, s16, -v30
	v_mov_b32_e32 v30, s9
	v_fma_f32 v19, -v12, v33, v19
	s_add_i32 s9, s7, 0xfffff9c4
	ds_read2_b32 v[30:31], v30 offset1:1
	v_mul_f32_e32 v19, v32, v19
	v_fma_f32 v18, -v6, v34, v18
	v_mov_b32_e32 v32, s9
	s_add_i32 s9, s7, 0xfffff9bc
	s_waitcnt lgkmcnt(1)
	v_fma_f32 v18, -v5, v41, v18
	v_mov_b32_e32 v34, s9
	s_add_i32 s9, s7, 0xfffff9b4
	v_fma_f32 v18, -v4, v40, v18
	v_mov_b32_e32 v40, s9
	ds_read2_b32 v[32:33], v32 offset1:1
	ds_read2_b32 v[34:35], v34 offset1:1
	;; [unrolled: 1-line block ×3, first 2 shown]
	s_waitcnt lgkmcnt(3)
	v_fma_f32 v18, -v11, v31, v18
	v_fma_f32 v18, -v10, v30, v18
	s_waitcnt lgkmcnt(2)
	v_fma_f32 v18, -v9, v33, v18
	s_add_i32 s9, s8, 0xfffff9a8
	v_fma_f32 v18, -v8, v32, v18
	v_mov_b32_e32 v30, s9
	s_add_i32 s9, s7, 0xfffff970
	s_waitcnt lgkmcnt(1)
	v_fma_f32 v18, -v15, v35, v18
	v_mov_b32_e32 v32, s9
	s_add_i32 s9, s7, 0xfffff968
	ds_read2_b32 v[30:31], v30 offset1:1
	v_fma_f32 v18, -v14, v34, v18
	v_mov_b32_e32 v33, s9
	s_add_i32 s9, s7, 0xfffff960
	s_waitcnt lgkmcnt(1)
	v_fma_f32 v18, -v13, v41, v18
	v_mov_b32_e32 v34, s9
	v_fma_f32 v18, -v12, v40, v18
	ds_read_b32 v40, v32
	ds_read2_b32 v[32:33], v33 offset1:1
	ds_read2_b32 v[34:35], v34 offset1:1
	s_waitcnt lgkmcnt(3)
	v_fma_f32 v18, -v19, v31, v18
	v_mul_f32_e32 v18, v30, v18
	s_waitcnt lgkmcnt(2)
	v_mul_f32_e32 v30, v7, v40
	v_fma_f32 v17, v17, s16, -v30
	s_add_i32 s9, s7, 0xfffff958
	s_waitcnt lgkmcnt(1)
	v_fma_f32 v17, -v6, v33, v17
	v_mov_b32_e32 v30, s9
	v_fma_f32 v17, -v5, v32, v17
	s_add_i32 s9, s7, 0xfffff950
	ds_read2_b32 v[30:31], v30 offset1:1
	s_waitcnt lgkmcnt(1)
	v_fma_f32 v17, -v4, v35, v17
	v_mov_b32_e32 v32, s9
	s_add_i32 s9, s7, 0xfffff948
	v_fma_f32 v17, -v11, v34, v17
	v_mov_b32_e32 v34, s9
	s_add_i32 s9, s7, 0xfffff940
	v_mov_b32_e32 v40, s9
	ds_read2_b32 v[32:33], v32 offset1:1
	ds_read2_b32 v[34:35], v34 offset1:1
	;; [unrolled: 1-line block ×3, first 2 shown]
	s_waitcnt lgkmcnt(3)
	v_fma_f32 v17, -v10, v31, v17
	v_fma_f32 v17, -v9, v30, v17
	s_waitcnt lgkmcnt(2)
	v_fma_f32 v17, -v8, v33, v17
	v_fma_f32 v17, -v15, v32, v17
	s_add_i32 s9, s8, 0xfffff934
	s_waitcnt lgkmcnt(1)
	v_fma_f32 v17, -v14, v35, v17
	v_mov_b32_e32 v30, s9
	s_add_i32 s9, s7, 0xfffff8fc
	v_fma_f32 v17, -v13, v34, v17
	v_mov_b32_e32 v32, s9
	s_add_i32 s9, s7, 0xfffff8f4
	ds_read2_b32 v[30:31], v30 offset1:1
	s_waitcnt lgkmcnt(1)
	v_fma_f32 v17, -v12, v41, v17
	v_mov_b32_e32 v34, s9
	s_add_i32 s9, s7, 0xfffff8ec
	v_fma_f32 v17, -v19, v40, v17
	v_mov_b32_e32 v40, s9
	ds_read2_b32 v[32:33], v32 offset1:1
	ds_read2_b32 v[34:35], v34 offset1:1
	;; [unrolled: 1-line block ×3, first 2 shown]
	s_waitcnt lgkmcnt(3)
	v_fma_f32 v17, -v18, v31, v17
	v_mul_f32_e32 v17, v30, v17
	s_waitcnt lgkmcnt(2)
	v_mul_f32_e32 v30, v7, v33
	v_fma_f32 v16, v16, s16, -v30
	s_add_i32 s9, s7, 0xfffff8e4
	v_fma_f32 v16, -v6, v32, v16
	v_mov_b32_e32 v30, s9
	s_waitcnt lgkmcnt(1)
	v_fma_f32 v16, -v5, v35, v16
	s_add_i32 s9, s7, 0xfffff8dc
	ds_read2_b32 v[30:31], v30 offset1:1
	v_fma_f32 v16, -v4, v34, v16
	v_mov_b32_e32 v32, s9
	s_add_i32 s9, s7, 0xfffff8d4
	s_waitcnt lgkmcnt(1)
	v_fma_f32 v16, -v11, v41, v16
	v_mov_b32_e32 v34, s9
	s_add_i32 s9, s7, 0xfffff8cc
	v_fma_f32 v16, -v10, v40, v16
	v_mov_b32_e32 v40, s9
	ds_read2_b32 v[32:33], v32 offset1:1
	ds_read2_b32 v[34:35], v34 offset1:1
	;; [unrolled: 1-line block ×3, first 2 shown]
	s_waitcnt lgkmcnt(3)
	v_fma_f32 v16, -v9, v31, v16
	v_fma_f32 v16, -v8, v30, v16
	s_waitcnt lgkmcnt(2)
	v_fma_f32 v16, -v15, v33, v16
	s_add_i32 s9, s8, 0xfffff8c0
	v_fma_f32 v16, -v14, v32, v16
	v_mov_b32_e32 v30, s9
	s_add_i32 s9, s7, 0xfffff890
	s_waitcnt lgkmcnt(1)
	v_fma_f32 v16, -v13, v35, v16
	v_mov_b32_e32 v32, s9
	s_add_i32 s9, s7, 0xfffff888
	ds_read2_b32 v[30:31], v30 offset1:1
	v_fma_f32 v16, -v12, v34, v16
	v_mov_b32_e32 v33, s9
	s_add_i32 s9, s7, 0xfffff880
	s_waitcnt lgkmcnt(1)
	v_fma_f32 v16, -v19, v41, v16
	v_mov_b32_e32 v34, s9
	v_fma_f32 v16, -v18, v40, v16
	ds_read_b32 v40, v32
	ds_read2_b32 v[32:33], v33 offset1:1
	ds_read2_b32 v[34:35], v34 offset1:1
	s_waitcnt lgkmcnt(3)
	v_fma_f32 v16, -v17, v31, v16
	v_mul_f32_e32 v16, v30, v16
	s_waitcnt lgkmcnt(2)
	v_mul_f32_e32 v30, v7, v40
	v_fma_f32 v27, v27, s16, -v30
	s_add_i32 s9, s7, 0xfffff878
	s_waitcnt lgkmcnt(1)
	v_fma_f32 v27, -v6, v33, v27
	v_mov_b32_e32 v30, s9
	v_fma_f32 v27, -v5, v32, v27
	s_add_i32 s9, s7, 0xfffff870
	ds_read2_b32 v[30:31], v30 offset1:1
	s_waitcnt lgkmcnt(1)
	v_fma_f32 v27, -v4, v35, v27
	v_mov_b32_e32 v32, s9
	s_add_i32 s9, s7, 0xfffff868
	v_fma_f32 v27, -v11, v34, v27
	v_mov_b32_e32 v34, s9
	s_add_i32 s9, s7, 0xfffff860
	global_store_dwordx4 v[28:29], v[16:19], off offset:-64
	v_mov_b32_e32 v40, s9
	ds_read2_b32 v[32:33], v32 offset1:1
	ds_read2_b32 v[34:35], v34 offset1:1
	;; [unrolled: 1-line block ×3, first 2 shown]
	s_waitcnt lgkmcnt(3)
	v_fma_f32 v27, -v10, v31, v27
	v_fma_f32 v27, -v9, v30, v27
	s_waitcnt lgkmcnt(2)
	v_fma_f32 v27, -v8, v33, v27
	v_fma_f32 v27, -v15, v32, v27
	s_add_i32 s9, s7, 0xfffff858
	s_waitcnt lgkmcnt(1)
	v_fma_f32 v27, -v14, v35, v27
	v_mov_b32_e32 v30, s9
	s_add_i32 s9, s8, 0xfffff84c
	v_fma_f32 v27, -v13, v34, v27
	v_mov_b32_e32 v32, s9
	s_add_i32 s9, s7, 0xfffff81c
	s_waitcnt lgkmcnt(0)
	v_fma_f32 v27, -v12, v41, v27
	v_mov_b32_e32 v34, s9
	s_add_i32 s9, s7, 0xfffff814
	ds_read2_b32 v[30:31], v30 offset1:1
	v_fma_f32 v27, -v19, v40, v27
	v_mov_b32_e32 v40, s9
	ds_read2_b32 v[32:33], v32 offset1:1
	ds_read2_b32 v[34:35], v34 offset1:1
	;; [unrolled: 1-line block ×3, first 2 shown]
	s_add_i32 s9, s7, 0xfffff80c
	s_waitcnt lgkmcnt(3)
	v_fma_f32 v27, -v18, v31, v27
	v_fma_f32 v27, -v17, v30, v27
	s_waitcnt lgkmcnt(1)
	v_mul_f32_e32 v30, v7, v35
	v_fma_f32 v26, v26, s16, -v30
	v_mov_b32_e32 v30, s9
	v_fma_f32 v27, -v16, v33, v27
	s_add_i32 s9, s7, 0xfffff804
	ds_read2_b32 v[30:31], v30 offset1:1
	v_mul_f32_e32 v27, v32, v27
	v_fma_f32 v26, -v6, v34, v26
	v_mov_b32_e32 v32, s9
	s_add_i32 s9, s7, 0xfffff7fc
	s_waitcnt lgkmcnt(1)
	v_fma_f32 v26, -v5, v41, v26
	v_mov_b32_e32 v34, s9
	s_add_i32 s9, s7, 0xfffff7f4
	v_fma_f32 v26, -v4, v40, v26
	v_mov_b32_e32 v40, s9
	ds_read2_b32 v[32:33], v32 offset1:1
	ds_read2_b32 v[34:35], v34 offset1:1
	;; [unrolled: 1-line block ×3, first 2 shown]
	s_waitcnt lgkmcnt(3)
	v_fma_f32 v26, -v11, v31, v26
	v_fma_f32 v26, -v10, v30, v26
	s_waitcnt lgkmcnt(2)
	v_fma_f32 v26, -v9, v33, v26
	v_fma_f32 v26, -v8, v32, v26
	s_add_i32 s9, s7, 0xfffff7ec
	s_waitcnt lgkmcnt(1)
	v_fma_f32 v26, -v15, v35, v26
	v_mov_b32_e32 v30, s9
	s_add_i32 s9, s7, 0xfffff7e4
	v_fma_f32 v26, -v14, v34, v26
	v_mov_b32_e32 v32, s9
	s_add_i32 s9, s8, 0xfffff7d8
	s_waitcnt lgkmcnt(0)
	v_fma_f32 v26, -v13, v41, v26
	v_mov_b32_e32 v34, s9
	s_add_i32 s9, s7, 0xfffff7b0
	v_fma_f32 v26, -v12, v40, v26
	ds_read2_b32 v[30:31], v30 offset1:1
	v_mov_b32_e32 v40, s9
	ds_read2_b32 v[32:33], v32 offset1:1
	ds_read2_b32 v[34:35], v34 offset1:1
	ds_read_b32 v40, v40
	s_add_i32 s9, s7, 0xfffff7a8
	s_waitcnt lgkmcnt(3)
	v_fma_f32 v26, -v19, v31, v26
	v_fma_f32 v26, -v18, v30, v26
	s_waitcnt lgkmcnt(0)
	v_mul_f32_e32 v30, v7, v40
	v_fma_f32 v26, -v17, v33, v26
	v_fma_f32 v25, v25, s16, -v30
	v_mov_b32_e32 v30, s9
	v_fma_f32 v26, -v16, v32, v26
	s_add_i32 s9, s7, 0xfffff7a0
	ds_read2_b32 v[30:31], v30 offset1:1
	v_fma_f32 v26, -v27, v35, v26
	v_mov_b32_e32 v32, s9
	s_add_i32 s9, s7, 0xfffff798
	v_mul_f32_e32 v26, v34, v26
	v_mov_b32_e32 v34, s9
	s_add_i32 s9, s7, 0xfffff790
	v_mov_b32_e32 v40, s9
	ds_read2_b32 v[32:33], v32 offset1:1
	ds_read2_b32 v[34:35], v34 offset1:1
	;; [unrolled: 1-line block ×3, first 2 shown]
	s_waitcnt lgkmcnt(3)
	v_fma_f32 v25, -v6, v31, v25
	v_fma_f32 v25, -v5, v30, v25
	s_waitcnt lgkmcnt(2)
	v_fma_f32 v25, -v4, v33, v25
	s_add_i32 s9, s7, 0xfffff788
	v_fma_f32 v25, -v11, v32, v25
	v_mov_b32_e32 v30, s9
	s_waitcnt lgkmcnt(1)
	v_fma_f32 v25, -v10, v35, v25
	s_add_i32 s9, s7, 0xfffff780
	ds_read2_b32 v[30:31], v30 offset1:1
	v_fma_f32 v25, -v9, v34, v25
	v_mov_b32_e32 v32, s9
	s_add_i32 s9, s7, 0xfffff778
	s_waitcnt lgkmcnt(1)
	v_fma_f32 v25, -v8, v41, v25
	v_mov_b32_e32 v34, s9
	s_add_i32 s9, s7, 0xfffff770
	v_fma_f32 v25, -v15, v40, v25
	v_mov_b32_e32 v40, s9
	ds_read2_b32 v[32:33], v32 offset1:1
	ds_read2_b32 v[34:35], v34 offset1:1
	;; [unrolled: 1-line block ×3, first 2 shown]
	s_waitcnt lgkmcnt(3)
	v_fma_f32 v25, -v14, v31, v25
	v_fma_f32 v25, -v13, v30, v25
	s_waitcnt lgkmcnt(2)
	v_fma_f32 v25, -v12, v33, v25
	v_fma_f32 v25, -v19, v32, v25
	s_add_i32 s9, s8, 0xfffff764
	s_waitcnt lgkmcnt(1)
	v_fma_f32 v25, -v18, v35, v25
	v_mov_b32_e32 v30, s9
	s_add_i32 s9, s7, 0xfffff73c
	v_fma_f32 v25, -v17, v34, v25
	v_mov_b32_e32 v32, s9
	s_add_i32 s9, s7, 0xfffff734
	ds_read2_b32 v[30:31], v30 offset1:1
	s_waitcnt lgkmcnt(1)
	v_fma_f32 v25, -v16, v41, v25
	v_mov_b32_e32 v34, s9
	s_add_i32 s9, s7, 0xfffff72c
	v_fma_f32 v25, -v27, v40, v25
	v_mov_b32_e32 v40, s9
	ds_read2_b32 v[32:33], v32 offset1:1
	ds_read2_b32 v[34:35], v34 offset1:1
	;; [unrolled: 1-line block ×3, first 2 shown]
	s_waitcnt lgkmcnt(3)
	v_fma_f32 v25, -v26, v31, v25
	v_mul_f32_e32 v25, v30, v25
	s_waitcnt lgkmcnt(2)
	v_mul_f32_e32 v30, v7, v33
	v_fma_f32 v24, v24, s16, -v30
	s_add_i32 s9, s7, 0xfffff724
	v_fma_f32 v24, -v6, v32, v24
	v_mov_b32_e32 v30, s9
	s_waitcnt lgkmcnt(1)
	v_fma_f32 v24, -v5, v35, v24
	s_add_i32 s9, s7, 0xfffff71c
	ds_read2_b32 v[30:31], v30 offset1:1
	v_fma_f32 v24, -v4, v34, v24
	v_mov_b32_e32 v32, s9
	s_add_i32 s9, s7, 0xfffff714
	s_waitcnt lgkmcnt(1)
	v_fma_f32 v24, -v11, v41, v24
	v_mov_b32_e32 v34, s9
	s_add_i32 s9, s7, 0xfffff70c
	v_fma_f32 v24, -v10, v40, v24
	v_mov_b32_e32 v40, s9
	ds_read2_b32 v[32:33], v32 offset1:1
	ds_read2_b32 v[34:35], v34 offset1:1
	;; [unrolled: 1-line block ×3, first 2 shown]
	s_waitcnt lgkmcnt(3)
	v_fma_f32 v24, -v9, v31, v24
	v_fma_f32 v24, -v8, v30, v24
	s_waitcnt lgkmcnt(2)
	v_fma_f32 v24, -v15, v33, v24
	v_fma_f32 v24, -v14, v32, v24
	s_add_i32 s9, s7, 0xfffff704
	s_waitcnt lgkmcnt(1)
	v_fma_f32 v24, -v13, v35, v24
	v_mov_b32_e32 v30, s9
	s_add_i32 s9, s7, 0xfffff6fc
	v_fma_f32 v24, -v12, v34, v24
	v_mov_b32_e32 v32, s9
	s_add_i32 s9, s8, 0xfffff6f0
	s_waitcnt lgkmcnt(0)
	v_fma_f32 v24, -v19, v41, v24
	v_mov_b32_e32 v34, s9
	s_add_i32 s9, s7, 0xfffff6d0
	v_fma_f32 v24, -v18, v40, v24
	ds_read2_b32 v[30:31], v30 offset1:1
	v_mov_b32_e32 v40, s9
	ds_read2_b32 v[32:33], v32 offset1:1
	ds_read2_b32 v[34:35], v34 offset1:1
	ds_read_b32 v40, v40
	s_add_i32 s9, s7, 0xfffff6c8
	s_waitcnt lgkmcnt(3)
	v_fma_f32 v24, -v17, v31, v24
	v_fma_f32 v24, -v16, v30, v24
	s_waitcnt lgkmcnt(0)
	v_mul_f32_e32 v30, v7, v40
	v_fma_f32 v24, -v27, v33, v24
	v_fma_f32 v23, v23, s16, -v30
	v_mov_b32_e32 v30, s9
	v_fma_f32 v24, -v26, v32, v24
	s_add_i32 s9, s7, 0xfffff6c0
	ds_read2_b32 v[30:31], v30 offset1:1
	v_fma_f32 v24, -v25, v35, v24
	v_mov_b32_e32 v32, s9
	s_add_i32 s9, s7, 0xfffff6b8
	v_mul_f32_e32 v24, v34, v24
	v_mov_b32_e32 v34, s9
	s_add_i32 s9, s7, 0xfffff6b0
	global_store_dwordx4 v[28:29], v[24:27], off offset:-80
	v_mov_b32_e32 v40, s9
	ds_read2_b32 v[32:33], v32 offset1:1
	ds_read2_b32 v[34:35], v34 offset1:1
	;; [unrolled: 1-line block ×3, first 2 shown]
	s_waitcnt lgkmcnt(3)
	v_fma_f32 v23, -v6, v31, v23
	v_fma_f32 v23, -v5, v30, v23
	s_waitcnt lgkmcnt(2)
	v_fma_f32 v23, -v4, v33, v23
	s_add_i32 s9, s7, 0xfffff6a8
	v_fma_f32 v23, -v11, v32, v23
	v_mov_b32_e32 v30, s9
	s_waitcnt lgkmcnt(1)
	v_fma_f32 v23, -v10, v35, v23
	s_add_i32 s9, s7, 0xfffff6a0
	ds_read2_b32 v[30:31], v30 offset1:1
	v_fma_f32 v23, -v9, v34, v23
	v_mov_b32_e32 v32, s9
	s_add_i32 s9, s7, 0xfffff698
	s_waitcnt lgkmcnt(1)
	v_fma_f32 v23, -v8, v41, v23
	v_mov_b32_e32 v34, s9
	s_add_i32 s9, s7, 0xfffff690
	v_fma_f32 v23, -v15, v40, v23
	v_mov_b32_e32 v40, s9
	ds_read2_b32 v[32:33], v32 offset1:1
	ds_read2_b32 v[34:35], v34 offset1:1
	;; [unrolled: 1-line block ×3, first 2 shown]
	s_waitcnt lgkmcnt(3)
	v_fma_f32 v23, -v14, v31, v23
	v_fma_f32 v23, -v13, v30, v23
	s_waitcnt lgkmcnt(2)
	v_fma_f32 v23, -v12, v33, v23
	v_fma_f32 v23, -v19, v32, v23
	s_add_i32 s9, s7, 0xfffff688
	s_waitcnt lgkmcnt(1)
	v_fma_f32 v23, -v18, v35, v23
	v_mov_b32_e32 v30, s9
	s_add_i32 s9, s8, 0xfffff67c
	v_fma_f32 v23, -v17, v34, v23
	v_mov_b32_e32 v32, s9
	s_add_i32 s9, s7, 0xfffff65c
	s_waitcnt lgkmcnt(0)
	v_fma_f32 v23, -v16, v41, v23
	v_mov_b32_e32 v34, s9
	s_add_i32 s9, s7, 0xfffff654
	ds_read2_b32 v[30:31], v30 offset1:1
	v_fma_f32 v23, -v27, v40, v23
	v_mov_b32_e32 v40, s9
	ds_read2_b32 v[32:33], v32 offset1:1
	ds_read2_b32 v[34:35], v34 offset1:1
	;; [unrolled: 1-line block ×3, first 2 shown]
	s_add_i32 s9, s7, 0xfffff64c
	s_waitcnt lgkmcnt(3)
	v_fma_f32 v23, -v26, v31, v23
	v_fma_f32 v23, -v25, v30, v23
	s_waitcnt lgkmcnt(1)
	v_mul_f32_e32 v30, v7, v35
	v_fma_f32 v22, v22, s16, -v30
	v_mov_b32_e32 v30, s9
	v_fma_f32 v23, -v24, v33, v23
	s_add_i32 s9, s7, 0xfffff644
	ds_read2_b32 v[30:31], v30 offset1:1
	v_mul_f32_e32 v23, v32, v23
	v_fma_f32 v22, -v6, v34, v22
	v_mov_b32_e32 v32, s9
	s_add_i32 s9, s7, 0xfffff63c
	s_waitcnt lgkmcnt(1)
	v_fma_f32 v22, -v5, v41, v22
	v_mov_b32_e32 v34, s9
	s_add_i32 s9, s7, 0xfffff634
	v_fma_f32 v22, -v4, v40, v22
	v_mov_b32_e32 v40, s9
	ds_read2_b32 v[32:33], v32 offset1:1
	ds_read2_b32 v[34:35], v34 offset1:1
	;; [unrolled: 1-line block ×3, first 2 shown]
	s_waitcnt lgkmcnt(3)
	v_fma_f32 v22, -v11, v31, v22
	v_fma_f32 v22, -v10, v30, v22
	s_waitcnt lgkmcnt(2)
	v_fma_f32 v22, -v9, v33, v22
	s_add_i32 s9, s7, 0xfffff62c
	v_fma_f32 v22, -v8, v32, v22
	v_mov_b32_e32 v30, s9
	s_waitcnt lgkmcnt(1)
	v_fma_f32 v22, -v15, v35, v22
	s_add_i32 s9, s7, 0xfffff624
	ds_read2_b32 v[30:31], v30 offset1:1
	v_fma_f32 v22, -v14, v34, v22
	v_mov_b32_e32 v32, s9
	s_add_i32 s9, s7, 0xfffff61c
	s_waitcnt lgkmcnt(1)
	v_fma_f32 v22, -v13, v41, v22
	v_mov_b32_e32 v34, s9
	s_add_i32 s9, s7, 0xfffff614
	v_fma_f32 v22, -v12, v40, v22
	v_mov_b32_e32 v40, s9
	ds_read2_b32 v[32:33], v32 offset1:1
	ds_read2_b32 v[34:35], v34 offset1:1
	;; [unrolled: 1-line block ×3, first 2 shown]
	s_waitcnt lgkmcnt(3)
	v_fma_f32 v22, -v19, v31, v22
	v_fma_f32 v22, -v18, v30, v22
	s_waitcnt lgkmcnt(2)
	v_fma_f32 v22, -v17, v33, v22
	s_add_i32 s9, s8, 0xfffff608
	v_fma_f32 v22, -v16, v32, v22
	v_mov_b32_e32 v30, s9
	s_add_i32 s9, s7, 0xfffff5f0
	s_waitcnt lgkmcnt(1)
	v_fma_f32 v22, -v27, v35, v22
	v_mov_b32_e32 v32, s9
	s_add_i32 s9, s7, 0xfffff5e8
	ds_read2_b32 v[30:31], v30 offset1:1
	v_fma_f32 v22, -v26, v34, v22
	v_mov_b32_e32 v33, s9
	s_add_i32 s9, s7, 0xfffff5e0
	s_waitcnt lgkmcnt(1)
	v_fma_f32 v22, -v25, v41, v22
	v_mov_b32_e32 v34, s9
	v_fma_f32 v22, -v24, v40, v22
	ds_read_b32 v40, v32
	ds_read2_b32 v[32:33], v33 offset1:1
	ds_read2_b32 v[34:35], v34 offset1:1
	s_waitcnt lgkmcnt(3)
	v_fma_f32 v22, -v23, v31, v22
	v_mul_f32_e32 v22, v30, v22
	s_waitcnt lgkmcnt(2)
	v_mul_f32_e32 v30, v7, v40
	v_fma_f32 v21, v21, s16, -v30
	s_add_i32 s9, s7, 0xfffff5d8
	s_waitcnt lgkmcnt(1)
	v_fma_f32 v21, -v6, v33, v21
	v_mov_b32_e32 v30, s9
	v_fma_f32 v21, -v5, v32, v21
	s_add_i32 s9, s7, 0xfffff5d0
	ds_read2_b32 v[30:31], v30 offset1:1
	s_waitcnt lgkmcnt(1)
	v_fma_f32 v21, -v4, v35, v21
	v_mov_b32_e32 v32, s9
	s_add_i32 s9, s7, 0xfffff5c8
	v_fma_f32 v21, -v11, v34, v21
	v_mov_b32_e32 v34, s9
	s_add_i32 s9, s7, 0xfffff5c0
	v_mov_b32_e32 v40, s9
	ds_read2_b32 v[32:33], v32 offset1:1
	ds_read2_b32 v[34:35], v34 offset1:1
	;; [unrolled: 1-line block ×3, first 2 shown]
	s_waitcnt lgkmcnt(3)
	v_fma_f32 v21, -v10, v31, v21
	v_fma_f32 v21, -v9, v30, v21
	s_waitcnt lgkmcnt(2)
	v_fma_f32 v21, -v8, v33, v21
	s_add_i32 s9, s7, 0xfffff5b8
	v_fma_f32 v21, -v15, v32, v21
	v_mov_b32_e32 v30, s9
	s_waitcnt lgkmcnt(1)
	v_fma_f32 v21, -v14, v35, v21
	s_add_i32 s9, s7, 0xfffff5b0
	ds_read2_b32 v[30:31], v30 offset1:1
	v_fma_f32 v21, -v13, v34, v21
	v_mov_b32_e32 v32, s9
	s_add_i32 s9, s7, 0xfffff5a8
	s_waitcnt lgkmcnt(1)
	v_fma_f32 v21, -v12, v41, v21
	v_mov_b32_e32 v34, s9
	s_add_i32 s9, s7, 0xfffff5a0
	v_fma_f32 v21, -v19, v40, v21
	v_mov_b32_e32 v40, s9
	ds_read2_b32 v[32:33], v32 offset1:1
	ds_read2_b32 v[34:35], v34 offset1:1
	;; [unrolled: 1-line block ×3, first 2 shown]
	s_waitcnt lgkmcnt(3)
	v_fma_f32 v21, -v18, v31, v21
	v_fma_f32 v21, -v17, v30, v21
	s_waitcnt lgkmcnt(2)
	v_fma_f32 v21, -v16, v33, v21
	v_fma_f32 v21, -v27, v32, v21
	s_add_i32 s9, s8, 0xfffff594
	s_waitcnt lgkmcnt(1)
	v_fma_f32 v21, -v26, v35, v21
	v_mov_b32_e32 v30, s9
	s_add_i32 s9, s7, 0xfffff57c
	v_fma_f32 v21, -v25, v34, v21
	v_mov_b32_e32 v32, s9
	s_add_i32 s9, s7, 0xfffff574
	ds_read2_b32 v[30:31], v30 offset1:1
	s_waitcnt lgkmcnt(1)
	v_fma_f32 v21, -v24, v41, v21
	v_mov_b32_e32 v34, s9
	s_add_i32 s9, s7, 0xfffff56c
	v_fma_f32 v21, -v23, v40, v21
	v_mov_b32_e32 v40, s9
	ds_read2_b32 v[32:33], v32 offset1:1
	ds_read2_b32 v[34:35], v34 offset1:1
	;; [unrolled: 1-line block ×3, first 2 shown]
	s_waitcnt lgkmcnt(3)
	v_fma_f32 v21, -v22, v31, v21
	v_mul_f32_e32 v21, v30, v21
	s_waitcnt lgkmcnt(2)
	v_mul_f32_e32 v30, v7, v33
	v_fma_f32 v20, v20, s16, -v30
	s_add_i32 s9, s7, 0xfffff564
	v_fma_f32 v20, -v6, v32, v20
	v_mov_b32_e32 v30, s9
	s_waitcnt lgkmcnt(1)
	v_fma_f32 v20, -v5, v35, v20
	s_add_i32 s9, s7, 0xfffff55c
	ds_read2_b32 v[30:31], v30 offset1:1
	v_fma_f32 v20, -v4, v34, v20
	v_mov_b32_e32 v32, s9
	s_add_i32 s9, s7, 0xfffff554
	s_waitcnt lgkmcnt(1)
	v_fma_f32 v20, -v11, v41, v20
	v_mov_b32_e32 v34, s9
	s_add_i32 s9, s7, 0xfffff54c
	v_fma_f32 v20, -v10, v40, v20
	v_mov_b32_e32 v40, s9
	ds_read2_b32 v[32:33], v32 offset1:1
	ds_read2_b32 v[34:35], v34 offset1:1
	;; [unrolled: 1-line block ×3, first 2 shown]
	s_waitcnt lgkmcnt(3)
	v_fma_f32 v20, -v9, v31, v20
	v_fma_f32 v20, -v8, v30, v20
	s_waitcnt lgkmcnt(2)
	v_fma_f32 v20, -v15, v33, v20
	s_add_i32 s9, s7, 0xfffff544
	v_fma_f32 v20, -v14, v32, v20
	v_mov_b32_e32 v30, s9
	s_waitcnt lgkmcnt(1)
	v_fma_f32 v20, -v13, v35, v20
	s_add_i32 s9, s7, 0xfffff53c
	ds_read2_b32 v[30:31], v30 offset1:1
	v_fma_f32 v20, -v12, v34, v20
	v_mov_b32_e32 v32, s9
	s_add_i32 s9, s7, 0xfffff534
	s_waitcnt lgkmcnt(1)
	v_fma_f32 v20, -v19, v41, v20
	v_mov_b32_e32 v34, s9
	s_add_i32 s9, s7, 0xfffff52c
	v_fma_f32 v20, -v18, v40, v20
	v_mov_b32_e32 v40, s9
	ds_read2_b32 v[32:33], v32 offset1:1
	ds_read2_b32 v[34:35], v34 offset1:1
	;; [unrolled: 1-line block ×3, first 2 shown]
	s_waitcnt lgkmcnt(3)
	v_fma_f32 v20, -v17, v31, v20
	v_fma_f32 v20, -v16, v30, v20
	s_waitcnt lgkmcnt(2)
	v_fma_f32 v20, -v27, v33, v20
	s_add_i32 s9, s8, 0xfffff520
	v_fma_f32 v20, -v26, v32, v20
	v_mov_b32_e32 v30, s9
	s_add_i32 s9, s7, 0xfffff510
	s_waitcnt lgkmcnt(1)
	v_fma_f32 v20, -v25, v35, v20
	v_mov_b32_e32 v32, s9
	s_add_i32 s9, s7, 0xfffff508
	ds_read2_b32 v[30:31], v30 offset1:1
	v_fma_f32 v20, -v24, v34, v20
	v_mov_b32_e32 v33, s9
	s_add_i32 s9, s7, 0xfffff500
	s_waitcnt lgkmcnt(1)
	v_fma_f32 v20, -v23, v41, v20
	v_mov_b32_e32 v34, s9
	v_fma_f32 v20, -v22, v40, v20
	ds_read_b32 v40, v32
	ds_read2_b32 v[32:33], v33 offset1:1
	ds_read2_b32 v[34:35], v34 offset1:1
	s_waitcnt lgkmcnt(3)
	v_fma_f32 v20, -v21, v31, v20
	v_mul_f32_e32 v20, v30, v20
	s_waitcnt lgkmcnt(2)
	v_mul_f32_e32 v30, v7, v40
	v_fma_f32 v3, v3, s16, -v30
	s_add_i32 s9, s7, 0xfffff4f8
	s_waitcnt lgkmcnt(1)
	v_fma_f32 v3, -v6, v33, v3
	v_mov_b32_e32 v30, s9
	v_fma_f32 v3, -v5, v32, v3
	s_add_i32 s9, s7, 0xfffff4f0
	ds_read2_b32 v[30:31], v30 offset1:1
	s_waitcnt lgkmcnt(1)
	v_fma_f32 v3, -v4, v35, v3
	v_mov_b32_e32 v32, s9
	s_add_i32 s9, s7, 0xfffff4e8
	v_fma_f32 v3, -v11, v34, v3
	v_mov_b32_e32 v34, s9
	s_add_i32 s9, s7, 0xfffff4e0
	global_store_dwordx4 v[28:29], v[20:23], off offset:-96
	v_mov_b32_e32 v40, s9
	ds_read2_b32 v[32:33], v32 offset1:1
	ds_read2_b32 v[34:35], v34 offset1:1
	;; [unrolled: 1-line block ×3, first 2 shown]
	s_waitcnt lgkmcnt(3)
	v_fma_f32 v3, -v10, v31, v3
	v_fma_f32 v3, -v9, v30, v3
	s_waitcnt lgkmcnt(2)
	v_fma_f32 v3, -v8, v33, v3
	s_add_i32 s9, s7, 0xfffff4d8
	v_fma_f32 v3, -v15, v32, v3
	v_mov_b32_e32 v30, s9
	s_waitcnt lgkmcnt(1)
	v_fma_f32 v3, -v14, v35, v3
	s_add_i32 s9, s7, 0xfffff4d0
	ds_read2_b32 v[30:31], v30 offset1:1
	v_fma_f32 v3, -v13, v34, v3
	v_mov_b32_e32 v32, s9
	s_add_i32 s9, s7, 0xfffff4c8
	s_waitcnt lgkmcnt(1)
	v_fma_f32 v3, -v12, v41, v3
	v_mov_b32_e32 v34, s9
	s_add_i32 s9, s7, 0xfffff4c0
	v_fma_f32 v3, -v19, v40, v3
	v_mov_b32_e32 v40, s9
	ds_read2_b32 v[32:33], v32 offset1:1
	ds_read2_b32 v[34:35], v34 offset1:1
	;; [unrolled: 1-line block ×3, first 2 shown]
	s_waitcnt lgkmcnt(3)
	v_fma_f32 v3, -v18, v31, v3
	v_fma_f32 v3, -v17, v30, v3
	s_waitcnt lgkmcnt(2)
	v_fma_f32 v3, -v16, v33, v3
	v_fma_f32 v3, -v27, v32, v3
	s_add_i32 s9, s7, 0xfffff4b8
	s_waitcnt lgkmcnt(1)
	v_fma_f32 v3, -v26, v35, v3
	v_mov_b32_e32 v30, s9
	s_add_i32 s9, s8, 0xfffff4ac
	v_fma_f32 v3, -v25, v34, v3
	v_mov_b32_e32 v32, s9
	s_add_i32 s9, s7, 0xfffff49c
	s_waitcnt lgkmcnt(0)
	v_fma_f32 v3, -v24, v41, v3
	v_mov_b32_e32 v34, s9
	s_add_i32 s9, s7, 0xfffff494
	ds_read2_b32 v[30:31], v30 offset1:1
	v_fma_f32 v3, -v23, v40, v3
	v_mov_b32_e32 v40, s9
	ds_read2_b32 v[32:33], v32 offset1:1
	ds_read2_b32 v[34:35], v34 offset1:1
	;; [unrolled: 1-line block ×3, first 2 shown]
	s_add_i32 s9, s7, 0xfffff48c
	s_waitcnt lgkmcnt(3)
	v_fma_f32 v3, -v22, v31, v3
	v_fma_f32 v3, -v21, v30, v3
	s_waitcnt lgkmcnt(1)
	v_mul_f32_e32 v30, v7, v35
	v_fma_f32 v2, v2, s16, -v30
	v_mov_b32_e32 v30, s9
	v_fma_f32 v3, -v20, v33, v3
	s_add_i32 s9, s7, 0xfffff484
	ds_read2_b32 v[30:31], v30 offset1:1
	v_mul_f32_e32 v3, v32, v3
	v_fma_f32 v2, -v6, v34, v2
	v_mov_b32_e32 v32, s9
	s_add_i32 s9, s7, 0xfffff47c
	s_waitcnt lgkmcnt(1)
	v_fma_f32 v2, -v5, v41, v2
	v_mov_b32_e32 v34, s9
	s_add_i32 s9, s7, 0xfffff474
	v_fma_f32 v2, -v4, v40, v2
	v_mov_b32_e32 v40, s9
	ds_read2_b32 v[32:33], v32 offset1:1
	ds_read2_b32 v[34:35], v34 offset1:1
	;; [unrolled: 1-line block ×3, first 2 shown]
	s_waitcnt lgkmcnt(3)
	v_fma_f32 v2, -v11, v31, v2
	v_fma_f32 v2, -v10, v30, v2
	s_waitcnt lgkmcnt(2)
	v_fma_f32 v2, -v9, v33, v2
	s_add_i32 s9, s7, 0xfffff46c
	v_fma_f32 v2, -v8, v32, v2
	v_mov_b32_e32 v30, s9
	s_waitcnt lgkmcnt(1)
	v_fma_f32 v2, -v15, v35, v2
	s_add_i32 s9, s7, 0xfffff464
	ds_read2_b32 v[30:31], v30 offset1:1
	v_fma_f32 v2, -v14, v34, v2
	v_mov_b32_e32 v32, s9
	s_add_i32 s9, s7, 0xfffff45c
	s_waitcnt lgkmcnt(1)
	v_fma_f32 v2, -v13, v41, v2
	v_mov_b32_e32 v34, s9
	s_add_i32 s9, s7, 0xfffff454
	v_fma_f32 v2, -v12, v40, v2
	v_mov_b32_e32 v40, s9
	ds_read2_b32 v[32:33], v32 offset1:1
	ds_read2_b32 v[34:35], v34 offset1:1
	;; [unrolled: 1-line block ×3, first 2 shown]
	s_waitcnt lgkmcnt(3)
	v_fma_f32 v2, -v19, v31, v2
	v_fma_f32 v2, -v18, v30, v2
	s_waitcnt lgkmcnt(2)
	v_fma_f32 v2, -v17, v33, v2
	v_fma_f32 v2, -v16, v32, v2
	s_add_i32 s9, s7, 0xfffff44c
	s_waitcnt lgkmcnt(1)
	v_fma_f32 v2, -v27, v35, v2
	v_mov_b32_e32 v30, s9
	s_add_i32 s9, s7, 0xfffff444
	v_fma_f32 v2, -v26, v34, v2
	v_mov_b32_e32 v32, s9
	s_add_i32 s9, s8, 0xfffff438
	s_waitcnt lgkmcnt(0)
	v_fma_f32 v2, -v25, v41, v2
	v_mov_b32_e32 v34, s9
	s_add_i32 s9, s7, 0xfffff430
	v_fma_f32 v2, -v24, v40, v2
	ds_read2_b32 v[30:31], v30 offset1:1
	v_mov_b32_e32 v40, s9
	ds_read2_b32 v[32:33], v32 offset1:1
	ds_read2_b32 v[34:35], v34 offset1:1
	ds_read_b32 v40, v40
	s_add_i32 s9, s7, 0xfffff428
	s_waitcnt lgkmcnt(3)
	v_fma_f32 v2, -v23, v31, v2
	v_fma_f32 v2, -v22, v30, v2
	s_waitcnt lgkmcnt(0)
	v_mul_f32_e32 v30, v7, v40
	v_fma_f32 v2, -v21, v33, v2
	v_fma_f32 v1, v1, s16, -v30
	v_mov_b32_e32 v30, s9
	v_fma_f32 v2, -v20, v32, v2
	s_add_i32 s9, s7, 0xfffff420
	ds_read2_b32 v[30:31], v30 offset1:1
	v_fma_f32 v2, -v3, v35, v2
	v_mov_b32_e32 v32, s9
	s_add_i32 s9, s7, 0xfffff418
	v_mul_f32_e32 v2, v34, v2
	v_mov_b32_e32 v34, s9
	s_add_i32 s9, s7, 0xfffff410
	v_mov_b32_e32 v40, s9
	ds_read2_b32 v[32:33], v32 offset1:1
	ds_read2_b32 v[34:35], v34 offset1:1
	;; [unrolled: 1-line block ×3, first 2 shown]
	s_waitcnt lgkmcnt(3)
	v_fma_f32 v1, -v6, v31, v1
	v_fma_f32 v1, -v5, v30, v1
	s_waitcnt lgkmcnt(2)
	v_fma_f32 v1, -v4, v33, v1
	s_add_i32 s9, s7, 0xfffff408
	v_fma_f32 v1, -v11, v32, v1
	v_mov_b32_e32 v30, s9
	s_waitcnt lgkmcnt(1)
	v_fma_f32 v1, -v10, v35, v1
	s_add_i32 s9, s7, 0xfffff400
	ds_read2_b32 v[30:31], v30 offset1:1
	v_fma_f32 v1, -v9, v34, v1
	v_mov_b32_e32 v32, s9
	s_add_i32 s9, s7, 0xfffff3f8
	s_waitcnt lgkmcnt(1)
	v_fma_f32 v1, -v8, v41, v1
	v_mov_b32_e32 v34, s9
	s_add_i32 s9, s7, 0xfffff3f0
	v_fma_f32 v1, -v15, v40, v1
	v_mov_b32_e32 v40, s9
	ds_read2_b32 v[32:33], v32 offset1:1
	ds_read2_b32 v[34:35], v34 offset1:1
	;; [unrolled: 1-line block ×3, first 2 shown]
	s_waitcnt lgkmcnt(3)
	v_fma_f32 v1, -v14, v31, v1
	v_fma_f32 v1, -v13, v30, v1
	s_waitcnt lgkmcnt(2)
	v_fma_f32 v1, -v12, v33, v1
	s_add_i32 s9, s7, 0xfffff3e8
	v_fma_f32 v1, -v19, v32, v1
	v_mov_b32_e32 v30, s9
	s_waitcnt lgkmcnt(1)
	v_fma_f32 v1, -v18, v35, v1
	s_add_i32 s9, s7, 0xfffff3e0
	ds_read2_b32 v[30:31], v30 offset1:1
	v_fma_f32 v1, -v17, v34, v1
	v_mov_b32_e32 v32, s9
	s_add_i32 s9, s7, 0xfffff3d8
	s_waitcnt lgkmcnt(1)
	v_fma_f32 v1, -v16, v41, v1
	v_mov_b32_e32 v34, s9
	s_add_i32 s9, s7, 0xfffff3d0
	v_fma_f32 v1, -v27, v40, v1
	v_mov_b32_e32 v40, s9
	ds_read2_b32 v[32:33], v32 offset1:1
	ds_read2_b32 v[34:35], v34 offset1:1
	;; [unrolled: 1-line block ×3, first 2 shown]
	s_waitcnt lgkmcnt(3)
	v_fma_f32 v1, -v26, v31, v1
	v_fma_f32 v1, -v25, v30, v1
	s_waitcnt lgkmcnt(2)
	v_fma_f32 v1, -v24, v33, v1
	v_fma_f32 v1, -v23, v32, v1
	s_add_i32 s9, s8, 0xfffff3c4
	s_waitcnt lgkmcnt(1)
	v_fma_f32 v1, -v22, v35, v1
	v_mov_b32_e32 v30, s9
	s_add_i32 s9, s7, 0xfffff3bc
	v_fma_f32 v1, -v21, v34, v1
	v_mov_b32_e32 v32, s9
	s_add_i32 s9, s7, 0xfffff3b4
	s_waitcnt lgkmcnt(0)
	v_fma_f32 v1, -v20, v41, v1
	v_mov_b32_e32 v34, s9
	s_add_i32 s9, s7, 0xfffff3ac
	v_fma_f32 v1, -v3, v40, v1
	v_mov_b32_e32 v40, s9
	ds_read2_b32 v[30:31], v30 offset1:1
	ds_read2_b32 v[32:33], v32 offset1:1
	;; [unrolled: 1-line block ×4, first 2 shown]
	s_add_i32 s9, s7, 0xfffff3a4
	s_waitcnt lgkmcnt(2)
	v_mul_f32_e32 v7, v7, v33
	v_fma_f32 v0, v0, s16, -v7
	v_fma_f32 v0, -v6, v32, v0
	s_waitcnt lgkmcnt(1)
	v_fma_f32 v0, -v5, v35, v0
	v_fma_f32 v0, -v4, v34, v0
	v_mov_b32_e32 v4, s9
	s_add_i32 s9, s7, 0xfffff39c
	ds_read2_b32 v[4:5], v4 offset1:1
	s_waitcnt lgkmcnt(1)
	v_fma_f32 v0, -v11, v41, v0
	v_mov_b32_e32 v6, s9
	s_add_i32 s9, s7, 0xfffff394
	v_fma_f32 v1, -v2, v31, v1
	v_fma_f32 v0, -v10, v40, v0
	v_mov_b32_e32 v10, s9
	s_add_i32 s9, s7, 0xfffff38c
	v_mul_f32_e32 v1, v30, v1
	v_mov_b32_e32 v30, s9
	ds_read2_b32 v[6:7], v6 offset1:1
	ds_read2_b32 v[10:11], v10 offset1:1
	;; [unrolled: 1-line block ×3, first 2 shown]
	s_waitcnt lgkmcnt(3)
	v_fma_f32 v0, -v9, v5, v0
	v_fma_f32 v0, -v8, v4, v0
	s_add_i32 s9, s7, 0xfffff384
	s_waitcnt lgkmcnt(2)
	v_fma_f32 v0, -v15, v7, v0
	v_mov_b32_e32 v4, s9
	v_fma_f32 v0, -v14, v6, v0
	s_add_i32 s9, s7, 0xfffff37c
	ds_read2_b32 v[4:5], v4 offset1:1
	s_waitcnt lgkmcnt(2)
	v_fma_f32 v0, -v13, v11, v0
	v_mov_b32_e32 v6, s9
	s_add_i32 s9, s7, 0xfffff374
	v_fma_f32 v0, -v12, v10, v0
	v_mov_b32_e32 v8, s9
	s_add_i32 s9, s7, 0xfffff36c
	s_waitcnt lgkmcnt(1)
	v_fma_f32 v0, -v19, v31, v0
	v_mov_b32_e32 v10, s9
	v_fma_f32 v0, -v18, v30, v0
	ds_read2_b32 v[6:7], v6 offset1:1
	ds_read2_b32 v[8:9], v8 offset1:1
	;; [unrolled: 1-line block ×3, first 2 shown]
	s_waitcnt lgkmcnt(3)
	v_fma_f32 v0, -v17, v5, v0
	v_fma_f32 v0, -v16, v4, v0
	s_add_i32 s9, s7, 0xfffff364
	s_waitcnt lgkmcnt(2)
	v_fma_f32 v0, -v27, v7, v0
	v_mov_b32_e32 v4, s9
	v_fma_f32 v0, -v26, v6, v0
	s_addk_i32 s7, 0xf35c
	ds_read2_b32 v[4:5], v4 offset1:1
	s_waitcnt lgkmcnt(2)
	v_fma_f32 v0, -v25, v9, v0
	v_mov_b32_e32 v6, s7
	ds_read2_b32 v[6:7], v6 offset1:1
	v_fma_f32 v0, -v24, v8, v0
	s_add_i32 s7, s8, 0xfffff350
	s_waitcnt lgkmcnt(2)
	v_fma_f32 v0, -v23, v11, v0
	v_mov_b32_e32 v8, s7
	ds_read2_b32 v[8:9], v8 offset1:1
	v_fma_f32 v0, -v22, v10, v0
	s_waitcnt lgkmcnt(2)
	v_fma_f32 v0, -v21, v5, v0
	v_fma_f32 v0, -v20, v4, v0
	s_waitcnt lgkmcnt(1)
	v_fma_f32 v0, -v3, v7, v0
	v_fma_f32 v0, -v2, v6, v0
	s_waitcnt lgkmcnt(0)
	v_fma_f32 v0, -v1, v9, v0
	v_mul_f32_e32 v0, v8, v0
	s_sub_i32 s8, s18, 29
	global_store_dwordx4 v[28:29], v[0:3], off offset:-112
.LBB34_19:
	s_cmp_gt_i32 s8, -1
	s_cbranch_scc0 .LBB34_38
; %bb.20:
	s_cmp_lt_u32 s8, 23
	s_cbranch_scc1 .LBB34_25
; %bb.21:
	s_mov_b32 s9, 0
	s_lshl_b64 s[12:13], s[8:9], 2
	v_mov_b32_e32 v0, s13
	v_add_co_u32_e32 v16, vcc, s12, v36
	v_addc_co_u32_e32 v17, vcc, v37, v0, vcc
	global_load_dwordx4 v[0:3], v[16:17], off offset:-12
	global_load_dwordx4 v[4:7], v[16:17], off offset:-28
	;; [unrolled: 1-line block ×6, first 2 shown]
	s_cmp_le_i32 s6, s8
	s_waitcnt vmcnt(5)
	v_pk_mul_f32 v[18:19], v[2:3], s[16:17] op_sel_hi:[1,0]
	v_pk_mul_f32 v[26:27], v[0:1], s[16:17] op_sel_hi:[1,0]
	s_waitcnt vmcnt(4)
	v_pk_mul_f32 v[2:3], v[6:7], s[16:17] op_sel_hi:[1,0]
	v_pk_mul_f32 v[0:1], v[4:5], s[16:17] op_sel_hi:[1,0]
	;; [unrolled: 3-line block ×6, first 2 shown]
	s_cbranch_scc1 .LBB34_24
; %bb.22:
	s_mul_i32 s7, s8, 0x70
	s_lshl_b32 s9, s18, 2
	s_add_i32 s7, s7, s9
	s_add_i32 s9, s7, 0xfffff5ec
	s_ashr_i32 s7, s6, 31
	s_lshl_b64 s[12:13], s[6:7], 2
	s_add_u32 s7, s2, s12
	s_addc_u32 s11, s3, s13
	s_add_u32 s7, s7, s4
	s_addc_u32 s11, s11, s5
	;; [unrolled: 2-line block ×3, first 2 shown]
	v_mov_b32_e32 v25, s11
	v_add_co_u32_e32 v24, vcc, s7, v38
	v_addc_co_u32_e32 v25, vcc, v25, v39, vcc
	s_mov_b32 s7, s6
.LBB34_23:                              ; =>This Inner Loop Header: Depth=1
	global_load_dword v28, v[24:25], off
	v_mov_b32_e32 v29, s9
	v_add_u32_e32 v46, 0x800, v29
	v_add_u32_e32 v48, 0x600, v29
	;; [unrolled: 1-line block ×3, first 2 shown]
	ds_read2_b32 v[30:31], v29 offset0:224 offset1:252
	ds_read2_b32 v[32:33], v29 offset0:168 offset1:196
	;; [unrolled: 1-line block ×4, first 2 shown]
	ds_read2_b32 v[42:43], v29 offset1:28
	ds_read2_b32 v[44:45], v46 offset0:104 offset1:132
	ds_read2_b32 v[46:47], v46 offset0:48 offset1:76
	;; [unrolled: 1-line block ×7, first 2 shown]
	s_add_i32 s7, s7, -1
	s_add_i32 s9, s9, -4
	v_add_co_u32_e32 v24, vcc, -4, v24
	v_addc_co_u32_e32 v25, vcc, -1, v25, vcc
	s_cmp_gt_i32 s7, s8
	s_waitcnt vmcnt(0) lgkmcnt(6)
	v_pk_fma_f32 v[18:19], v[28:29], v[44:45], v[18:19] op_sel_hi:[0,1,1] neg_lo:[1,0,0] neg_hi:[1,0,0]
	s_waitcnt lgkmcnt(5)
	v_pk_fma_f32 v[26:27], v[28:29], v[46:47], v[26:27] op_sel_hi:[0,1,1] neg_lo:[1,0,0] neg_hi:[1,0,0]
	s_waitcnt lgkmcnt(4)
	;; [unrolled: 2-line block ×6, first 2 shown]
	v_pk_fma_f32 v[10:11], v[28:29], v[56:57], v[10:11] op_sel_hi:[0,1,1] neg_lo:[1,0,0] neg_hi:[1,0,0]
	v_pk_fma_f32 v[8:9], v[28:29], v[30:31], v[8:9] op_sel_hi:[0,1,1] neg_lo:[1,0,0] neg_hi:[1,0,0]
	v_pk_fma_f32 v[14:15], v[28:29], v[32:33], v[14:15] op_sel_hi:[0,1,1] neg_lo:[1,0,0] neg_hi:[1,0,0]
	v_pk_fma_f32 v[12:13], v[28:29], v[34:35], v[12:13] op_sel_hi:[0,1,1] neg_lo:[1,0,0] neg_hi:[1,0,0]
	v_pk_fma_f32 v[22:23], v[28:29], v[40:41], v[22:23] op_sel_hi:[0,1,1] neg_lo:[1,0,0] neg_hi:[1,0,0]
	v_pk_fma_f32 v[20:21], v[28:29], v[42:43], v[20:21] op_sel_hi:[0,1,1] neg_lo:[1,0,0] neg_hi:[1,0,0]
	s_cbranch_scc1 .LBB34_23
.LBB34_24:
	s_mul_i32 s7, s8, 0x74
	v_mov_b32_e32 v24, s7
	s_add_i32 s9, s7, 0xffffff8c
	v_mov_b32_e32 v25, s9
	s_add_i32 s9, s7, 0xffffff20
	ds_read_b32 v30, v24
	v_mov_b32_e32 v28, s9
	s_add_i32 s9, s7, 0xffffff18
	v_mov_b32_e32 v29, s9
	ds_read2_b32 v[24:25], v25 offset1:1
	ds_read_b32 v31, v28
	ds_read2_b32 v[28:29], v29 offset1:1
	s_waitcnt lgkmcnt(3)
	v_mul_f32_e32 v19, v30, v19
	s_ashr_i32 s9, s8, 31
	global_store_dword v[16:17], v19, off
	s_waitcnt lgkmcnt(2)
	v_fma_f32 v16, -v19, v25, v18
	s_lshl_b64 s[12:13], s[8:9], 2
	v_mul_f32_e32 v18, v24, v16
	v_mov_b32_e32 v16, s13
	v_add_co_u32_e32 v24, vcc, s12, v36
	v_addc_co_u32_e32 v25, vcc, v37, v16, vcc
	s_waitcnt lgkmcnt(1)
	v_fma_f32 v16, -v19, v31, v27
	s_waitcnt lgkmcnt(0)
	v_fma_f32 v16, -v18, v29, v16
	s_add_i32 s9, s7, 0xfffffeac
	v_mul_f32_e32 v17, v28, v16
	v_mov_b32_e32 v16, s9
	s_add_i32 s9, s7, 0xfffffea4
	v_mov_b32_e32 v27, s9
	s_add_i32 s9, s7, 0xfffffe40
	ds_read2_b32 v[28:29], v16 offset1:1
	v_mov_b32_e32 v32, s9
	s_add_i32 s9, s7, 0xfffffe38
	v_mov_b32_e32 v16, s9
	ds_read2_b32 v[30:31], v27 offset1:1
	ds_read_b32 v27, v32
	ds_read2_b32 v[32:33], v16 offset1:1
	s_add_i32 s9, s7, 0xfffffe30
	s_waitcnt lgkmcnt(3)
	v_fma_f32 v16, -v19, v29, v26
	v_mov_b32_e32 v26, s9
	s_waitcnt lgkmcnt(1)
	v_fma_f32 v3, -v19, v27, v3
	ds_read2_b32 v[26:27], v26 offset1:1
	v_fma_f32 v16, -v18, v28, v16
	s_add_i32 s9, s7, 0xfffffdcc
	v_fma_f32 v16, -v17, v31, v16
	s_waitcnt lgkmcnt(1)
	v_fma_f32 v3, -v18, v33, v3
	v_mov_b32_e32 v28, s9
	s_add_i32 s9, s7, 0xfffffdc4
	v_mul_f32_e32 v16, v30, v16
	v_fma_f32 v3, -v17, v32, v3
	v_mov_b32_e32 v30, s9
	s_add_i32 s9, s7, 0xfffffdbc
	v_mov_b32_e32 v32, s9
	s_waitcnt lgkmcnt(0)
	v_fma_f32 v3, -v16, v27, v3
	s_add_i32 s9, s7, 0xfffffd60
	global_store_dwordx3 v[24:25], v[16:18], off offset:-12
	v_mul_f32_e32 v3, v26, v3
	v_mov_b32_e32 v26, s9
	ds_read2_b32 v[28:29], v28 offset1:1
	ds_read2_b32 v[30:31], v30 offset1:1
	;; [unrolled: 1-line block ×3, first 2 shown]
	ds_read_b32 v26, v26
	s_add_i32 s9, s7, 0xfffffd5c
	s_waitcnt lgkmcnt(3)
	v_fma_f32 v2, -v19, v29, v2
	v_fma_f32 v2, -v18, v28, v2
	s_waitcnt lgkmcnt(2)
	v_fma_f32 v2, -v17, v31, v2
	s_waitcnt lgkmcnt(0)
	v_fma_f32 v1, -v19, v26, v1
	v_mov_b32_e32 v26, s9
	s_add_i32 s9, s7, 0xfffffd54
	v_mov_b32_e32 v27, s9
	v_fma_f32 v2, -v16, v30, v2
	ds_read_b32 v30, v26
	ds_read2_b32 v[26:27], v27 offset1:1
	s_add_i32 s9, s7, 0xfffffd4c
	v_mov_b32_e32 v28, s9
	ds_read2_b32 v[28:29], v28 offset1:1
	s_waitcnt lgkmcnt(2)
	v_fma_f32 v1, -v18, v30, v1
	s_add_i32 s9, s7, 0xfffffd48
	s_waitcnt lgkmcnt(1)
	v_fma_f32 v1, -v17, v27, v1
	v_mov_b32_e32 v27, s9
	ds_read_b32 v27, v27
	s_add_i32 s9, s7, 0xfffffcf0
	v_fma_f32 v2, -v3, v33, v2
	v_mov_b32_e32 v30, s9
	ds_read_b32 v30, v30
	v_fma_f32 v1, -v16, v26, v1
	v_mul_f32_e32 v2, v32, v2
	s_waitcnt lgkmcnt(2)
	v_fma_f32 v1, -v3, v29, v1
	s_add_i32 s9, s7, 0xfffffce8
	v_fma_f32 v1, -v2, v28, v1
	v_mov_b32_e32 v26, s9
	s_waitcnt lgkmcnt(1)
	v_mul_f32_e32 v1, v27, v1
	ds_read2_b32 v[26:27], v26 offset1:1
	s_add_i32 s9, s7, 0xfffffce0
	v_mov_b32_e32 v28, s9
	ds_read2_b32 v[28:29], v28 offset1:1
	s_add_i32 s9, s7, 0xfffffcd8
	s_waitcnt lgkmcnt(2)
	v_fma_f32 v0, -v19, v30, v0
	v_mov_b32_e32 v30, s9
	ds_read2_b32 v[30:31], v30 offset1:1
	s_waitcnt lgkmcnt(2)
	v_fma_f32 v0, -v18, v27, v0
	s_add_i32 s9, s7, 0xfffffcd4
	v_fma_f32 v0, -v17, v26, v0
	v_mov_b32_e32 v26, s9
	s_add_i32 s9, s7, 0xfffffc80
	ds_read_b32 v26, v26
	v_mov_b32_e32 v27, s9
	ds_read_b32 v27, v27
	s_waitcnt lgkmcnt(3)
	v_fma_f32 v0, -v16, v29, v0
	v_fma_f32 v0, -v3, v28, v0
	s_waitcnt lgkmcnt(2)
	v_fma_f32 v0, -v2, v31, v0
	v_fma_f32 v0, -v1, v30, v0
	s_add_i32 s9, s7, 0xfffffc7c
	s_waitcnt lgkmcnt(1)
	v_mul_f32_e32 v0, v26, v0
	v_mov_b32_e32 v26, s9
	s_add_i32 s9, s7, 0xfffffc74
	global_store_dwordx4 v[24:25], v[0:3], off offset:-28
	s_waitcnt lgkmcnt(0)
	v_fma_f32 v7, -v19, v27, v7
	v_mov_b32_e32 v27, s9
	ds_read_b32 v32, v26
	ds_read2_b32 v[26:27], v27 offset1:1
	s_add_i32 s9, s7, 0xfffffc6c
	v_mov_b32_e32 v28, s9
	s_add_i32 s9, s7, 0xfffffc64
	v_mov_b32_e32 v30, s9
	ds_read2_b32 v[28:29], v28 offset1:1
	ds_read2_b32 v[30:31], v30 offset1:1
	s_waitcnt lgkmcnt(3)
	v_fma_f32 v7, -v18, v32, v7
	s_waitcnt lgkmcnt(2)
	v_fma_f32 v7, -v17, v27, v7
	s_add_i32 s9, s7, 0xfffffc60
	v_fma_f32 v7, -v16, v26, v7
	v_mov_b32_e32 v26, s9
	s_add_i32 s9, s7, 0xfffffc10
	ds_read_b32 v26, v26
	v_mov_b32_e32 v27, s9
	s_waitcnt lgkmcnt(2)
	v_fma_f32 v7, -v3, v29, v7
	ds_read_b32 v27, v27
	v_fma_f32 v7, -v2, v28, v7
	s_waitcnt lgkmcnt(2)
	v_fma_f32 v7, -v1, v31, v7
	v_fma_f32 v7, -v0, v30, v7
	s_add_i32 s9, s7, 0xfffffc08
	s_waitcnt lgkmcnt(1)
	v_mul_f32_e32 v7, v26, v7
	v_mov_b32_e32 v26, s9
	s_waitcnt lgkmcnt(0)
	v_fma_f32 v6, -v19, v27, v6
	s_add_i32 s9, s7, 0xfffffc00
	ds_read2_b32 v[26:27], v26 offset1:1
	v_mov_b32_e32 v28, s9
	s_add_i32 s9, s7, 0xfffffbf8
	v_mov_b32_e32 v30, s9
	s_add_i32 s9, s7, 0xfffffbf0
	v_mov_b32_e32 v32, s9
	ds_read2_b32 v[28:29], v28 offset1:1
	ds_read2_b32 v[30:31], v30 offset1:1
	;; [unrolled: 1-line block ×3, first 2 shown]
	s_waitcnt lgkmcnt(3)
	v_fma_f32 v6, -v18, v27, v6
	v_fma_f32 v6, -v17, v26, v6
	s_add_i32 s9, s7, 0xfffffbec
	s_waitcnt lgkmcnt(2)
	v_fma_f32 v6, -v16, v29, v6
	v_mov_b32_e32 v26, s9
	s_add_i32 s9, s7, 0xfffffba0
	v_fma_f32 v6, -v3, v28, v6
	ds_read_b32 v26, v26
	v_mov_b32_e32 v27, s9
	s_waitcnt lgkmcnt(2)
	v_fma_f32 v6, -v2, v31, v6
	ds_read_b32 v27, v27
	v_fma_f32 v6, -v1, v30, v6
	s_waitcnt lgkmcnt(2)
	v_fma_f32 v6, -v0, v33, v6
	v_fma_f32 v6, -v7, v32, v6
	s_add_i32 s9, s7, 0xfffffb9c
	s_waitcnt lgkmcnt(1)
	v_mul_f32_e32 v6, v26, v6
	v_mov_b32_e32 v26, s9
	s_add_i32 s9, s7, 0xfffffb94
	s_waitcnt lgkmcnt(0)
	v_fma_f32 v5, -v19, v27, v5
	v_mov_b32_e32 v27, s9
	ds_read_b32 v32, v26
	ds_read2_b32 v[26:27], v27 offset1:1
	s_add_i32 s9, s7, 0xfffffb8c
	v_mov_b32_e32 v28, s9
	s_add_i32 s9, s7, 0xfffffb84
	v_mov_b32_e32 v30, s9
	ds_read2_b32 v[28:29], v28 offset1:1
	ds_read2_b32 v[30:31], v30 offset1:1
	s_waitcnt lgkmcnt(3)
	v_fma_f32 v5, -v18, v32, v5
	s_waitcnt lgkmcnt(2)
	v_fma_f32 v5, -v17, v27, v5
	s_add_i32 s9, s7, 0xfffffb7c
	v_fma_f32 v5, -v16, v26, v5
	v_mov_b32_e32 v26, s9
	ds_read2_b32 v[26:27], v26 offset1:1
	s_waitcnt lgkmcnt(2)
	v_fma_f32 v5, -v3, v29, v5
	v_fma_f32 v5, -v2, v28, v5
	s_waitcnt lgkmcnt(1)
	v_fma_f32 v5, -v1, v31, v5
	v_fma_f32 v5, -v0, v30, v5
	s_waitcnt lgkmcnt(0)
	v_fma_f32 v5, -v7, v27, v5
	s_add_i32 s9, s7, 0xfffffb78
	v_fma_f32 v5, -v6, v26, v5
	v_mov_b32_e32 v26, s9
	s_add_i32 s9, s7, 0xfffffb2c
	v_mov_b32_e32 v27, s9
	s_add_i32 s9, s7, 0xfffffb24
	ds_read_b32 v32, v26
	ds_read2_b32 v[26:27], v27 offset1:1
	v_mov_b32_e32 v28, s9
	s_add_i32 s9, s7, 0xfffffb1c
	v_mov_b32_e32 v30, s9
	ds_read2_b32 v[28:29], v28 offset1:1
	ds_read2_b32 v[30:31], v30 offset1:1
	s_waitcnt lgkmcnt(2)
	v_fma_f32 v4, -v19, v27, v4
	v_fma_f32 v4, -v18, v26, v4
	s_add_i32 s9, s7, 0xfffffb14
	s_waitcnt lgkmcnt(1)
	v_fma_f32 v4, -v17, v29, v4
	v_mov_b32_e32 v26, s9
	v_fma_f32 v4, -v16, v28, v4
	s_add_i32 s9, s7, 0xfffffb0c
	ds_read2_b32 v[26:27], v26 offset1:1
	s_waitcnt lgkmcnt(1)
	v_fma_f32 v4, -v3, v31, v4
	v_mov_b32_e32 v28, s9
	s_add_i32 s9, s7, 0xfffffb04
	v_fma_f32 v4, -v2, v30, v4
	v_mov_b32_e32 v30, s9
	s_add_i32 s9, s7, 0xfffffac0
	v_mul_f32_e32 v5, v32, v5
	v_mov_b32_e32 v32, s9
	ds_read2_b32 v[28:29], v28 offset1:1
	ds_read2_b32 v[30:31], v30 offset1:1
	ds_read_b32 v32, v32
	s_waitcnt lgkmcnt(3)
	v_fma_f32 v4, -v1, v27, v4
	v_fma_f32 v4, -v0, v26, v4
	s_add_i32 s9, s7, 0xfffffab8
	s_waitcnt lgkmcnt(2)
	v_fma_f32 v4, -v7, v29, v4
	v_mov_b32_e32 v26, s9
	v_fma_f32 v4, -v6, v28, v4
	s_add_i32 s9, s7, 0xfffffab0
	ds_read2_b32 v[26:27], v26 offset1:1
	s_waitcnt lgkmcnt(2)
	v_fma_f32 v4, -v5, v31, v4
	v_mov_b32_e32 v28, s9
	s_add_i32 s9, s7, 0xfffffaa8
	v_mul_f32_e32 v4, v30, v4
	v_mov_b32_e32 v30, s9
	s_add_i32 s9, s7, 0xfffffaa0
	global_store_dwordx4 v[24:25], v[4:7], off offset:-44
	s_waitcnt lgkmcnt(1)
	v_fma_f32 v11, -v19, v32, v11
	v_mov_b32_e32 v32, s9
	ds_read2_b32 v[28:29], v28 offset1:1
	ds_read2_b32 v[30:31], v30 offset1:1
	;; [unrolled: 1-line block ×3, first 2 shown]
	s_waitcnt lgkmcnt(3)
	v_fma_f32 v11, -v18, v27, v11
	v_fma_f32 v11, -v17, v26, v11
	s_waitcnt lgkmcnt(2)
	v_fma_f32 v11, -v16, v29, v11
	v_fma_f32 v11, -v3, v28, v11
	s_add_i32 s9, s7, 0xfffffa98
	s_waitcnt lgkmcnt(1)
	v_fma_f32 v11, -v2, v31, v11
	v_mov_b32_e32 v26, s9
	s_add_i32 s9, s7, 0xfffffa90
	v_fma_f32 v11, -v1, v30, v11
	v_mov_b32_e32 v28, s9
	s_add_i32 s9, s7, 0xfffffa4c
	ds_read2_b32 v[26:27], v26 offset1:1
	s_waitcnt lgkmcnt(1)
	v_fma_f32 v11, -v0, v33, v11
	v_mov_b32_e32 v30, s9
	s_add_i32 s9, s7, 0xfffffa44
	v_fma_f32 v11, -v7, v32, v11
	v_mov_b32_e32 v32, s9
	ds_read2_b32 v[28:29], v28 offset1:1
	ds_read2_b32 v[30:31], v30 offset1:1
	;; [unrolled: 1-line block ×3, first 2 shown]
	s_waitcnt lgkmcnt(3)
	v_fma_f32 v11, -v6, v27, v11
	s_add_i32 s9, s7, 0xfffffa3c
	v_fma_f32 v11, -v5, v26, v11
	v_mov_b32_e32 v26, s9
	s_waitcnt lgkmcnt(2)
	v_fma_f32 v11, -v4, v29, v11
	s_waitcnt lgkmcnt(1)
	v_fma_f32 v10, -v19, v31, v10
	s_add_i32 s9, s7, 0xfffffa34
	ds_read2_b32 v[26:27], v26 offset1:1
	v_mul_f32_e32 v11, v28, v11
	v_fma_f32 v10, -v18, v30, v10
	v_mov_b32_e32 v28, s9
	s_add_i32 s9, s7, 0xfffffa2c
	s_waitcnt lgkmcnt(1)
	v_fma_f32 v10, -v17, v33, v10
	v_mov_b32_e32 v30, s9
	s_add_i32 s9, s7, 0xfffffa24
	v_fma_f32 v10, -v16, v32, v10
	v_mov_b32_e32 v32, s9
	ds_read2_b32 v[28:29], v28 offset1:1
	ds_read2_b32 v[30:31], v30 offset1:1
	ds_read2_b32 v[32:33], v32 offset1:1
	s_waitcnt lgkmcnt(3)
	v_fma_f32 v10, -v3, v27, v10
	v_fma_f32 v10, -v2, v26, v10
	s_waitcnt lgkmcnt(2)
	v_fma_f32 v10, -v1, v29, v10
	s_add_i32 s9, s7, 0xfffffa1c
	v_fma_f32 v10, -v0, v28, v10
	v_mov_b32_e32 v26, s9
	s_add_i32 s9, s7, 0xfffff9e0
	s_waitcnt lgkmcnt(1)
	v_fma_f32 v10, -v7, v31, v10
	v_mov_b32_e32 v28, s9
	s_add_i32 s9, s7, 0xfffff9d8
	v_fma_f32 v10, -v6, v30, v10
	v_mov_b32_e32 v29, s9
	s_add_i32 s9, s7, 0xfffff9d0
	ds_read2_b32 v[26:27], v26 offset1:1
	s_waitcnt lgkmcnt(1)
	v_fma_f32 v10, -v5, v33, v10
	v_mov_b32_e32 v30, s9
	v_fma_f32 v10, -v4, v32, v10
	ds_read_b32 v32, v28
	ds_read2_b32 v[28:29], v29 offset1:1
	ds_read2_b32 v[30:31], v30 offset1:1
	s_waitcnt lgkmcnt(3)
	v_fma_f32 v10, -v11, v27, v10
	s_add_i32 s9, s7, 0xfffff9c8
	s_waitcnt lgkmcnt(2)
	v_fma_f32 v9, -v19, v32, v9
	v_mul_f32_e32 v10, v26, v10
	s_waitcnt lgkmcnt(1)
	v_fma_f32 v9, -v18, v29, v9
	v_mov_b32_e32 v26, s9
	v_fma_f32 v9, -v17, v28, v9
	s_add_i32 s9, s7, 0xfffff9c0
	ds_read2_b32 v[26:27], v26 offset1:1
	s_waitcnt lgkmcnt(1)
	v_fma_f32 v9, -v16, v31, v9
	v_mov_b32_e32 v28, s9
	s_add_i32 s9, s7, 0xfffff9b8
	v_fma_f32 v9, -v3, v30, v9
	v_mov_b32_e32 v30, s9
	s_add_i32 s9, s7, 0xfffff9b0
	v_mov_b32_e32 v32, s9
	ds_read2_b32 v[28:29], v28 offset1:1
	ds_read2_b32 v[30:31], v30 offset1:1
	;; [unrolled: 1-line block ×3, first 2 shown]
	s_waitcnt lgkmcnt(3)
	v_fma_f32 v9, -v2, v27, v9
	v_fma_f32 v9, -v1, v26, v9
	s_waitcnt lgkmcnt(2)
	v_fma_f32 v9, -v0, v29, v9
	v_fma_f32 v9, -v7, v28, v9
	s_add_i32 s9, s7, 0xfffff9a8
	s_waitcnt lgkmcnt(1)
	v_fma_f32 v9, -v6, v31, v9
	v_mov_b32_e32 v26, s9
	s_add_i32 s9, s7, 0xfffff96c
	v_fma_f32 v9, -v5, v30, v9
	v_mov_b32_e32 v28, s9
	s_add_i32 s9, s7, 0xfffff964
	s_waitcnt lgkmcnt(0)
	v_fma_f32 v9, -v4, v33, v9
	v_mov_b32_e32 v30, s9
	s_add_i32 s9, s7, 0xfffff95c
	ds_read2_b32 v[26:27], v26 offset1:1
	v_fma_f32 v9, -v11, v32, v9
	v_mov_b32_e32 v32, s9
	ds_read2_b32 v[28:29], v28 offset1:1
	ds_read2_b32 v[30:31], v30 offset1:1
	ds_read2_b32 v[32:33], v32 offset1:1
	s_add_i32 s9, s7, 0xfffff954
	s_waitcnt lgkmcnt(3)
	v_fma_f32 v9, -v10, v27, v9
	s_waitcnt lgkmcnt(2)
	v_fma_f32 v8, -v19, v29, v8
	v_mul_f32_e32 v9, v26, v9
	v_fma_f32 v8, -v18, v28, v8
	v_mov_b32_e32 v26, s9
	s_waitcnt lgkmcnt(1)
	v_fma_f32 v8, -v17, v31, v8
	s_add_i32 s9, s7, 0xfffff94c
	ds_read2_b32 v[26:27], v26 offset1:1
	v_fma_f32 v8, -v16, v30, v8
	v_mov_b32_e32 v28, s9
	s_add_i32 s9, s7, 0xfffff944
	s_waitcnt lgkmcnt(1)
	v_fma_f32 v8, -v3, v33, v8
	v_mov_b32_e32 v30, s9
	s_add_i32 s9, s7, 0xfffff93c
	v_fma_f32 v8, -v2, v32, v8
	v_mov_b32_e32 v32, s9
	ds_read2_b32 v[28:29], v28 offset1:1
	ds_read2_b32 v[30:31], v30 offset1:1
	;; [unrolled: 1-line block ×3, first 2 shown]
	s_waitcnt lgkmcnt(3)
	v_fma_f32 v8, -v1, v27, v8
	v_fma_f32 v8, -v0, v26, v8
	s_waitcnt lgkmcnt(2)
	v_fma_f32 v8, -v7, v29, v8
	s_add_i32 s9, s7, 0xfffff934
	v_fma_f32 v8, -v6, v28, v8
	v_mov_b32_e32 v26, s9
	s_add_i32 s9, s7, 0xfffff900
	s_waitcnt lgkmcnt(1)
	v_fma_f32 v8, -v5, v31, v8
	v_mov_b32_e32 v28, s9
	s_add_i32 s9, s7, 0xfffff8f8
	v_fma_f32 v8, -v4, v30, v8
	v_mov_b32_e32 v29, s9
	s_add_i32 s9, s7, 0xfffff8f0
	ds_read2_b32 v[26:27], v26 offset1:1
	s_waitcnt lgkmcnt(1)
	v_fma_f32 v8, -v11, v33, v8
	v_mov_b32_e32 v30, s9
	v_fma_f32 v8, -v10, v32, v8
	ds_read_b32 v32, v28
	ds_read2_b32 v[28:29], v29 offset1:1
	ds_read2_b32 v[30:31], v30 offset1:1
	s_waitcnt lgkmcnt(3)
	v_fma_f32 v8, -v9, v27, v8
	s_add_i32 s9, s7, 0xfffff8e8
	s_waitcnt lgkmcnt(2)
	v_fma_f32 v15, -v19, v32, v15
	v_mul_f32_e32 v8, v26, v8
	s_waitcnt lgkmcnt(1)
	v_fma_f32 v15, -v18, v29, v15
	v_mov_b32_e32 v26, s9
	v_fma_f32 v15, -v17, v28, v15
	s_add_i32 s9, s7, 0xfffff8e0
	ds_read2_b32 v[26:27], v26 offset1:1
	s_waitcnt lgkmcnt(1)
	v_fma_f32 v15, -v16, v31, v15
	v_mov_b32_e32 v28, s9
	s_add_i32 s9, s7, 0xfffff8d8
	v_fma_f32 v15, -v3, v30, v15
	v_mov_b32_e32 v30, s9
	s_add_i32 s9, s7, 0xfffff8d0
	global_store_dwordx4 v[24:25], v[8:11], off offset:-60
	v_mov_b32_e32 v32, s9
	ds_read2_b32 v[28:29], v28 offset1:1
	ds_read2_b32 v[30:31], v30 offset1:1
	;; [unrolled: 1-line block ×3, first 2 shown]
	s_waitcnt lgkmcnt(3)
	v_fma_f32 v15, -v2, v27, v15
	v_fma_f32 v15, -v1, v26, v15
	s_waitcnt lgkmcnt(2)
	v_fma_f32 v15, -v0, v29, v15
	v_fma_f32 v15, -v7, v28, v15
	s_add_i32 s9, s7, 0xfffff8c8
	s_waitcnt lgkmcnt(1)
	v_fma_f32 v15, -v6, v31, v15
	v_mov_b32_e32 v26, s9
	s_add_i32 s9, s7, 0xfffff8c0
	v_fma_f32 v15, -v5, v30, v15
	v_mov_b32_e32 v28, s9
	s_add_i32 s9, s7, 0xfffff88c
	ds_read2_b32 v[26:27], v26 offset1:1
	s_waitcnt lgkmcnt(1)
	v_fma_f32 v15, -v4, v33, v15
	v_mov_b32_e32 v30, s9
	s_add_i32 s9, s7, 0xfffff884
	v_fma_f32 v15, -v11, v32, v15
	v_mov_b32_e32 v32, s9
	ds_read2_b32 v[28:29], v28 offset1:1
	ds_read2_b32 v[30:31], v30 offset1:1
	;; [unrolled: 1-line block ×3, first 2 shown]
	s_waitcnt lgkmcnt(3)
	v_fma_f32 v15, -v10, v27, v15
	s_add_i32 s9, s7, 0xfffff87c
	v_fma_f32 v15, -v9, v26, v15
	v_mov_b32_e32 v26, s9
	s_waitcnt lgkmcnt(2)
	v_fma_f32 v15, -v8, v29, v15
	s_waitcnt lgkmcnt(1)
	v_fma_f32 v14, -v19, v31, v14
	s_add_i32 s9, s7, 0xfffff874
	ds_read2_b32 v[26:27], v26 offset1:1
	v_mul_f32_e32 v15, v28, v15
	v_fma_f32 v14, -v18, v30, v14
	v_mov_b32_e32 v28, s9
	s_add_i32 s9, s7, 0xfffff86c
	s_waitcnt lgkmcnt(1)
	v_fma_f32 v14, -v17, v33, v14
	v_mov_b32_e32 v30, s9
	s_add_i32 s9, s7, 0xfffff864
	v_fma_f32 v14, -v16, v32, v14
	v_mov_b32_e32 v32, s9
	ds_read2_b32 v[28:29], v28 offset1:1
	ds_read2_b32 v[30:31], v30 offset1:1
	;; [unrolled: 1-line block ×3, first 2 shown]
	s_waitcnt lgkmcnt(3)
	v_fma_f32 v14, -v3, v27, v14
	v_fma_f32 v14, -v2, v26, v14
	s_waitcnt lgkmcnt(2)
	v_fma_f32 v14, -v1, v29, v14
	s_add_i32 s9, s7, 0xfffff85c
	v_fma_f32 v14, -v0, v28, v14
	v_mov_b32_e32 v26, s9
	s_waitcnt lgkmcnt(1)
	v_fma_f32 v14, -v7, v31, v14
	s_add_i32 s9, s7, 0xfffff854
	ds_read2_b32 v[26:27], v26 offset1:1
	v_fma_f32 v14, -v6, v30, v14
	v_mov_b32_e32 v28, s9
	s_add_i32 s9, s7, 0xfffff84c
	s_waitcnt lgkmcnt(1)
	v_fma_f32 v14, -v5, v33, v14
	v_mov_b32_e32 v30, s9
	s_add_i32 s9, s7, 0xfffff820
	v_fma_f32 v14, -v4, v32, v14
	v_mov_b32_e32 v32, s9
	ds_read2_b32 v[28:29], v28 offset1:1
	ds_read2_b32 v[30:31], v30 offset1:1
	ds_read_b32 v32, v32
	s_waitcnt lgkmcnt(3)
	v_fma_f32 v14, -v11, v27, v14
	v_fma_f32 v14, -v10, v26, v14
	s_add_i32 s9, s7, 0xfffff818
	s_waitcnt lgkmcnt(2)
	v_fma_f32 v14, -v9, v29, v14
	v_mov_b32_e32 v26, s9
	v_fma_f32 v14, -v8, v28, v14
	s_add_i32 s9, s7, 0xfffff810
	ds_read2_b32 v[26:27], v26 offset1:1
	s_waitcnt lgkmcnt(2)
	v_fma_f32 v14, -v15, v31, v14
	v_mov_b32_e32 v28, s9
	s_add_i32 s9, s7, 0xfffff808
	v_mul_f32_e32 v14, v30, v14
	v_mov_b32_e32 v30, s9
	s_add_i32 s9, s7, 0xfffff800
	s_waitcnt lgkmcnt(1)
	v_fma_f32 v13, -v19, v32, v13
	v_mov_b32_e32 v32, s9
	ds_read2_b32 v[28:29], v28 offset1:1
	ds_read2_b32 v[30:31], v30 offset1:1
	;; [unrolled: 1-line block ×3, first 2 shown]
	s_waitcnt lgkmcnt(3)
	v_fma_f32 v13, -v18, v27, v13
	v_fma_f32 v13, -v17, v26, v13
	s_waitcnt lgkmcnt(2)
	v_fma_f32 v13, -v16, v29, v13
	s_add_i32 s9, s7, 0xfffff7f8
	v_fma_f32 v13, -v3, v28, v13
	v_mov_b32_e32 v26, s9
	s_waitcnt lgkmcnt(1)
	v_fma_f32 v13, -v2, v31, v13
	s_add_i32 s9, s7, 0xfffff7f0
	ds_read2_b32 v[26:27], v26 offset1:1
	v_fma_f32 v13, -v1, v30, v13
	v_mov_b32_e32 v28, s9
	s_add_i32 s9, s7, 0xfffff7e8
	s_waitcnt lgkmcnt(1)
	v_fma_f32 v13, -v0, v33, v13
	v_mov_b32_e32 v30, s9
	s_add_i32 s9, s7, 0xfffff7e0
	v_fma_f32 v13, -v7, v32, v13
	v_mov_b32_e32 v32, s9
	ds_read2_b32 v[28:29], v28 offset1:1
	ds_read2_b32 v[30:31], v30 offset1:1
	;; [unrolled: 1-line block ×3, first 2 shown]
	s_waitcnt lgkmcnt(3)
	v_fma_f32 v13, -v6, v27, v13
	v_fma_f32 v13, -v5, v26, v13
	s_waitcnt lgkmcnt(2)
	v_fma_f32 v13, -v4, v29, v13
	v_fma_f32 v13, -v11, v28, v13
	s_add_i32 s9, s7, 0xfffff7d8
	s_waitcnt lgkmcnt(1)
	v_fma_f32 v13, -v10, v31, v13
	v_mov_b32_e32 v26, s9
	s_add_i32 s9, s7, 0xfffff7ac
	v_fma_f32 v13, -v9, v30, v13
	v_mov_b32_e32 v28, s9
	s_add_i32 s9, s7, 0xfffff7a4
	s_waitcnt lgkmcnt(0)
	v_fma_f32 v13, -v8, v33, v13
	v_mov_b32_e32 v30, s9
	s_add_i32 s9, s7, 0xfffff79c
	ds_read2_b32 v[26:27], v26 offset1:1
	v_fma_f32 v13, -v15, v32, v13
	v_mov_b32_e32 v32, s9
	ds_read2_b32 v[28:29], v28 offset1:1
	ds_read2_b32 v[30:31], v30 offset1:1
	;; [unrolled: 1-line block ×3, first 2 shown]
	s_add_i32 s9, s7, 0xfffff794
	s_waitcnt lgkmcnt(3)
	v_fma_f32 v13, -v14, v27, v13
	s_waitcnt lgkmcnt(2)
	v_fma_f32 v12, -v19, v29, v12
	v_mul_f32_e32 v13, v26, v13
	v_fma_f32 v12, -v18, v28, v12
	v_mov_b32_e32 v26, s9
	s_waitcnt lgkmcnt(1)
	v_fma_f32 v12, -v17, v31, v12
	s_add_i32 s9, s7, 0xfffff78c
	ds_read2_b32 v[26:27], v26 offset1:1
	v_fma_f32 v12, -v16, v30, v12
	v_mov_b32_e32 v28, s9
	s_add_i32 s9, s7, 0xfffff784
	s_waitcnt lgkmcnt(1)
	v_fma_f32 v12, -v3, v33, v12
	v_mov_b32_e32 v30, s9
	s_add_i32 s9, s7, 0xfffff77c
	v_fma_f32 v12, -v2, v32, v12
	v_mov_b32_e32 v32, s9
	ds_read2_b32 v[28:29], v28 offset1:1
	ds_read2_b32 v[30:31], v30 offset1:1
	;; [unrolled: 1-line block ×3, first 2 shown]
	s_waitcnt lgkmcnt(3)
	v_fma_f32 v12, -v1, v27, v12
	v_fma_f32 v12, -v0, v26, v12
	s_waitcnt lgkmcnt(2)
	v_fma_f32 v12, -v7, v29, v12
	s_add_i32 s9, s7, 0xfffff774
	v_fma_f32 v12, -v6, v28, v12
	v_mov_b32_e32 v26, s9
	s_waitcnt lgkmcnt(1)
	v_fma_f32 v12, -v5, v31, v12
	s_add_i32 s9, s7, 0xfffff76c
	ds_read2_b32 v[26:27], v26 offset1:1
	v_fma_f32 v12, -v4, v30, v12
	v_mov_b32_e32 v28, s9
	s_add_i32 s9, s7, 0xfffff764
	s_waitcnt lgkmcnt(1)
	v_fma_f32 v12, -v11, v33, v12
	v_mov_b32_e32 v30, s9
	s_add_i32 s9, s7, 0xfffff740
	v_fma_f32 v12, -v10, v32, v12
	v_mov_b32_e32 v32, s9
	ds_read2_b32 v[28:29], v28 offset1:1
	ds_read2_b32 v[30:31], v30 offset1:1
	ds_read_b32 v32, v32
	s_waitcnt lgkmcnt(3)
	v_fma_f32 v12, -v9, v27, v12
	v_fma_f32 v12, -v8, v26, v12
	s_add_i32 s9, s7, 0xfffff738
	s_waitcnt lgkmcnt(2)
	v_fma_f32 v12, -v15, v29, v12
	v_mov_b32_e32 v26, s9
	v_fma_f32 v12, -v14, v28, v12
	s_add_i32 s9, s7, 0xfffff730
	ds_read2_b32 v[26:27], v26 offset1:1
	s_waitcnt lgkmcnt(2)
	v_fma_f32 v12, -v13, v31, v12
	v_mov_b32_e32 v28, s9
	s_add_i32 s9, s7, 0xfffff728
	v_mul_f32_e32 v12, v30, v12
	v_mov_b32_e32 v30, s9
	s_add_i32 s9, s7, 0xfffff720
	global_store_dwordx4 v[24:25], v[12:15], off offset:-76
	s_waitcnt lgkmcnt(1)
	v_fma_f32 v23, -v19, v32, v23
	v_mov_b32_e32 v32, s9
	ds_read2_b32 v[28:29], v28 offset1:1
	ds_read2_b32 v[30:31], v30 offset1:1
	;; [unrolled: 1-line block ×3, first 2 shown]
	s_waitcnt lgkmcnt(3)
	v_fma_f32 v23, -v18, v27, v23
	v_fma_f32 v23, -v17, v26, v23
	s_waitcnt lgkmcnt(2)
	v_fma_f32 v23, -v16, v29, v23
	s_add_i32 s9, s7, 0xfffff718
	v_fma_f32 v23, -v3, v28, v23
	v_mov_b32_e32 v26, s9
	s_waitcnt lgkmcnt(1)
	v_fma_f32 v23, -v2, v31, v23
	s_add_i32 s9, s7, 0xfffff710
	ds_read2_b32 v[26:27], v26 offset1:1
	v_fma_f32 v23, -v1, v30, v23
	v_mov_b32_e32 v28, s9
	s_add_i32 s9, s7, 0xfffff708
	s_waitcnt lgkmcnt(1)
	v_fma_f32 v23, -v0, v33, v23
	v_mov_b32_e32 v30, s9
	s_add_i32 s9, s7, 0xfffff700
	v_fma_f32 v23, -v7, v32, v23
	v_mov_b32_e32 v32, s9
	ds_read2_b32 v[28:29], v28 offset1:1
	ds_read2_b32 v[30:31], v30 offset1:1
	;; [unrolled: 1-line block ×3, first 2 shown]
	s_waitcnt lgkmcnt(3)
	v_fma_f32 v23, -v6, v27, v23
	v_fma_f32 v23, -v5, v26, v23
	s_waitcnt lgkmcnt(2)
	v_fma_f32 v23, -v4, v29, v23
	v_fma_f32 v23, -v11, v28, v23
	s_add_i32 s9, s7, 0xfffff6f8
	s_waitcnt lgkmcnt(1)
	v_fma_f32 v23, -v10, v31, v23
	v_mov_b32_e32 v26, s9
	s_add_i32 s9, s7, 0xfffff6f0
	v_fma_f32 v23, -v9, v30, v23
	v_mov_b32_e32 v28, s9
	s_add_i32 s9, s7, 0xfffff6cc
	ds_read2_b32 v[26:27], v26 offset1:1
	s_waitcnt lgkmcnt(1)
	v_fma_f32 v23, -v8, v33, v23
	v_mov_b32_e32 v30, s9
	s_add_i32 s9, s7, 0xfffff6c4
	v_fma_f32 v23, -v15, v32, v23
	v_mov_b32_e32 v32, s9
	ds_read2_b32 v[28:29], v28 offset1:1
	ds_read2_b32 v[30:31], v30 offset1:1
	;; [unrolled: 1-line block ×3, first 2 shown]
	s_waitcnt lgkmcnt(3)
	v_fma_f32 v23, -v14, v27, v23
	s_add_i32 s9, s7, 0xfffff6bc
	v_fma_f32 v23, -v13, v26, v23
	v_mov_b32_e32 v26, s9
	s_waitcnt lgkmcnt(2)
	v_fma_f32 v23, -v12, v29, v23
	s_waitcnt lgkmcnt(1)
	v_fma_f32 v22, -v19, v31, v22
	s_add_i32 s9, s7, 0xfffff6b4
	ds_read2_b32 v[26:27], v26 offset1:1
	v_mul_f32_e32 v23, v28, v23
	v_fma_f32 v22, -v18, v30, v22
	v_mov_b32_e32 v28, s9
	s_add_i32 s9, s7, 0xfffff6ac
	s_waitcnt lgkmcnt(1)
	v_fma_f32 v22, -v17, v33, v22
	v_mov_b32_e32 v30, s9
	s_add_i32 s9, s7, 0xfffff6a4
	v_fma_f32 v22, -v16, v32, v22
	v_mov_b32_e32 v32, s9
	ds_read2_b32 v[28:29], v28 offset1:1
	ds_read2_b32 v[30:31], v30 offset1:1
	;; [unrolled: 1-line block ×3, first 2 shown]
	s_waitcnt lgkmcnt(3)
	v_fma_f32 v22, -v3, v27, v22
	v_fma_f32 v22, -v2, v26, v22
	s_waitcnt lgkmcnt(2)
	v_fma_f32 v22, -v1, v29, v22
	s_add_i32 s9, s7, 0xfffff69c
	v_fma_f32 v22, -v0, v28, v22
	v_mov_b32_e32 v26, s9
	s_waitcnt lgkmcnt(1)
	v_fma_f32 v22, -v7, v31, v22
	s_add_i32 s9, s7, 0xfffff694
	ds_read2_b32 v[26:27], v26 offset1:1
	v_fma_f32 v22, -v6, v30, v22
	v_mov_b32_e32 v28, s9
	s_add_i32 s9, s7, 0xfffff68c
	s_waitcnt lgkmcnt(1)
	v_fma_f32 v22, -v5, v33, v22
	v_mov_b32_e32 v30, s9
	s_add_i32 s9, s7, 0xfffff684
	v_fma_f32 v22, -v4, v32, v22
	v_mov_b32_e32 v32, s9
	ds_read2_b32 v[28:29], v28 offset1:1
	ds_read2_b32 v[30:31], v30 offset1:1
	;; [unrolled: 1-line block ×3, first 2 shown]
	s_waitcnt lgkmcnt(3)
	v_fma_f32 v22, -v11, v27, v22
	v_fma_f32 v22, -v10, v26, v22
	s_waitcnt lgkmcnt(2)
	v_fma_f32 v22, -v9, v29, v22
	s_add_i32 s9, s7, 0xfffff67c
	v_fma_f32 v22, -v8, v28, v22
	v_mov_b32_e32 v26, s9
	s_add_i32 s9, s7, 0xfffff660
	s_waitcnt lgkmcnt(1)
	v_fma_f32 v22, -v15, v31, v22
	v_mov_b32_e32 v28, s9
	s_add_i32 s9, s7, 0xfffff658
	v_fma_f32 v22, -v14, v30, v22
	v_mov_b32_e32 v29, s9
	s_add_i32 s9, s7, 0xfffff650
	ds_read2_b32 v[26:27], v26 offset1:1
	s_waitcnt lgkmcnt(1)
	v_fma_f32 v22, -v13, v33, v22
	v_mov_b32_e32 v30, s9
	v_fma_f32 v22, -v12, v32, v22
	ds_read_b32 v32, v28
	ds_read2_b32 v[28:29], v29 offset1:1
	ds_read2_b32 v[30:31], v30 offset1:1
	s_waitcnt lgkmcnt(3)
	v_fma_f32 v22, -v23, v27, v22
	s_add_i32 s9, s7, 0xfffff648
	s_waitcnt lgkmcnt(2)
	v_fma_f32 v21, -v19, v32, v21
	v_mul_f32_e32 v22, v26, v22
	s_waitcnt lgkmcnt(1)
	v_fma_f32 v21, -v18, v29, v21
	v_mov_b32_e32 v26, s9
	v_fma_f32 v21, -v17, v28, v21
	s_add_i32 s9, s7, 0xfffff640
	ds_read2_b32 v[26:27], v26 offset1:1
	s_waitcnt lgkmcnt(1)
	v_fma_f32 v21, -v16, v31, v21
	v_mov_b32_e32 v28, s9
	s_add_i32 s9, s7, 0xfffff638
	v_fma_f32 v21, -v3, v30, v21
	v_mov_b32_e32 v30, s9
	s_add_i32 s9, s7, 0xfffff630
	v_mov_b32_e32 v32, s9
	ds_read2_b32 v[28:29], v28 offset1:1
	ds_read2_b32 v[30:31], v30 offset1:1
	;; [unrolled: 1-line block ×3, first 2 shown]
	s_waitcnt lgkmcnt(3)
	v_fma_f32 v21, -v2, v27, v21
	v_fma_f32 v21, -v1, v26, v21
	s_waitcnt lgkmcnt(2)
	v_fma_f32 v21, -v0, v29, v21
	s_add_i32 s9, s7, 0xfffff628
	v_fma_f32 v21, -v7, v28, v21
	v_mov_b32_e32 v26, s9
	s_waitcnt lgkmcnt(1)
	v_fma_f32 v21, -v6, v31, v21
	s_add_i32 s9, s7, 0xfffff620
	ds_read2_b32 v[26:27], v26 offset1:1
	v_fma_f32 v21, -v5, v30, v21
	v_mov_b32_e32 v28, s9
	s_add_i32 s9, s7, 0xfffff618
	s_waitcnt lgkmcnt(1)
	v_fma_f32 v21, -v4, v33, v21
	v_mov_b32_e32 v30, s9
	s_add_i32 s9, s7, 0xfffff610
	v_fma_f32 v21, -v11, v32, v21
	v_mov_b32_e32 v32, s9
	ds_read2_b32 v[28:29], v28 offset1:1
	ds_read2_b32 v[30:31], v30 offset1:1
	;; [unrolled: 1-line block ×3, first 2 shown]
	s_waitcnt lgkmcnt(3)
	v_fma_f32 v21, -v10, v27, v21
	v_fma_f32 v21, -v9, v26, v21
	s_waitcnt lgkmcnt(2)
	v_fma_f32 v21, -v8, v29, v21
	v_fma_f32 v21, -v15, v28, v21
	s_add_i32 s9, s7, 0xfffff608
	s_waitcnt lgkmcnt(1)
	v_fma_f32 v21, -v14, v31, v21
	v_mov_b32_e32 v26, s9
	s_add_i32 s9, s7, 0xfffff5ec
	v_fma_f32 v21, -v13, v30, v21
	v_mov_b32_e32 v28, s9
	s_add_i32 s9, s7, 0xfffff5e4
	s_waitcnt lgkmcnt(0)
	v_fma_f32 v21, -v12, v33, v21
	v_mov_b32_e32 v30, s9
	s_add_i32 s9, s7, 0xfffff5dc
	v_fma_f32 v21, -v23, v32, v21
	v_mov_b32_e32 v32, s9
	ds_read2_b32 v[26:27], v26 offset1:1
	ds_read2_b32 v[28:29], v28 offset1:1
	;; [unrolled: 1-line block ×4, first 2 shown]
	s_add_i32 s9, s7, 0xfffff5d4
	s_sub_i32 s8, s8, 24
	s_waitcnt lgkmcnt(2)
	v_fma_f32 v19, -v19, v29, v20
	v_fma_f32 v18, -v18, v28, v19
	s_waitcnt lgkmcnt(1)
	v_fma_f32 v17, -v17, v31, v18
	v_fma_f32 v16, -v16, v30, v17
	;; [unrolled: 3-line block ×3, first 2 shown]
	v_mov_b32_e32 v2, s9
	s_add_i32 s9, s7, 0xfffff5cc
	ds_read2_b32 v[2:3], v2 offset1:1
	v_mov_b32_e32 v16, s9
	s_add_i32 s9, s7, 0xfffff5c4
	v_fma_f32 v21, -v22, v27, v21
	v_mov_b32_e32 v18, s9
	s_add_i32 s9, s7, 0xfffff5bc
	v_mul_f32_e32 v21, v26, v21
	v_mov_b32_e32 v26, s9
	ds_read2_b32 v[16:17], v16 offset1:1
	ds_read2_b32 v[18:19], v18 offset1:1
	;; [unrolled: 1-line block ×3, first 2 shown]
	s_waitcnt lgkmcnt(3)
	v_fma_f32 v1, -v1, v3, v20
	v_fma_f32 v0, -v0, v2, v1
	s_waitcnt lgkmcnt(2)
	v_fma_f32 v0, -v7, v17, v0
	v_fma_f32 v0, -v6, v16, v0
	;; [unrolled: 3-line block ×3, first 2 shown]
	s_waitcnt lgkmcnt(0)
	v_fma_f32 v0, -v11, v27, v0
	s_add_i32 s9, s7, 0xfffff5b4
	v_fma_f32 v10, -v10, v26, v0
	v_mov_b32_e32 v0, s9
	s_add_i32 s9, s7, 0xfffff5ac
	ds_read2_b32 v[0:1], v0 offset1:1
	v_mov_b32_e32 v2, s9
	s_add_i32 s9, s7, 0xfffff5a4
	v_mov_b32_e32 v4, s9
	s_add_i32 s9, s7, 0xfffff59c
	v_mov_b32_e32 v6, s9
	ds_read2_b32 v[2:3], v2 offset1:1
	ds_read2_b32 v[4:5], v4 offset1:1
	;; [unrolled: 1-line block ×3, first 2 shown]
	s_waitcnt lgkmcnt(3)
	v_fma_f32 v1, -v9, v1, v10
	v_fma_f32 v0, -v8, v0, v1
	s_waitcnt lgkmcnt(2)
	v_fma_f32 v0, -v15, v3, v0
	s_addk_i32 s7, 0xf594
	v_fma_f32 v2, -v14, v2, v0
	v_mov_b32_e32 v0, s7
	ds_read2_b32 v[0:1], v0 offset1:1
	s_waitcnt lgkmcnt(2)
	v_fma_f32 v2, -v13, v5, v2
	v_fma_f32 v2, -v12, v4, v2
	s_waitcnt lgkmcnt(1)
	v_fma_f32 v2, -v23, v7, v2
	v_fma_f32 v2, -v22, v6, v2
	s_waitcnt lgkmcnt(0)
	v_fma_f32 v1, -v21, v1, v2
	v_mul_f32_e32 v20, v0, v1
	global_store_dwordx4 v[24:25], v[20:23], off offset:-92
.LBB34_25:
	s_cmp_lt_i32 s8, 0
	s_cbranch_scc1 .LBB34_38
; %bb.26:
	s_bitcmp1_b32 s8, 0
	s_cselect_b64 s[12:13], -1, 0
	s_and_b64 vcc, exec, s[12:13]
	s_mov_b32 s12, s8
	s_cbranch_vccnz .LBB34_31
; %bb.27:
	s_mov_b32 s9, 0
	s_lshl_b64 s[12:13], s[8:9], 2
	v_mov_b32_e32 v1, s13
	v_add_co_u32_e32 v0, vcc, s12, v36
	v_addc_co_u32_e32 v1, vcc, v37, v1, vcc
	global_load_dword v2, v[0:1], off
	s_cmp_le_i32 s6, s8
	s_waitcnt vmcnt(0)
	v_mul_f32_e32 v4, s16, v2
	s_cbranch_scc1 .LBB34_30
; %bb.28:
	s_mul_i32 s7, s8, 0x70
	s_lshl_b32 s9, s18, 2
	s_add_i32 s7, s7, s9
	s_add_i32 s9, s7, -4
	s_ashr_i32 s7, s6, 31
	s_lshl_b64 s[12:13], s[6:7], 2
	s_add_u32 s7, s2, s12
	s_addc_u32 s11, s3, s13
	s_add_u32 s7, s7, s4
	s_addc_u32 s11, s11, s5
	;; [unrolled: 2-line block ×3, first 2 shown]
	v_mov_b32_e32 v3, s11
	v_add_co_u32_e32 v2, vcc, s7, v38
	v_addc_co_u32_e32 v3, vcc, v3, v39, vcc
	s_mov_b32 s7, s6
.LBB34_29:                              ; =>This Inner Loop Header: Depth=1
	global_load_dword v5, v[2:3], off
	v_mov_b32_e32 v6, s9
	ds_read_b32 v6, v6
	s_add_i32 s7, s7, -1
	s_add_i32 s9, s9, -4
	v_add_co_u32_e32 v2, vcc, -4, v2
	v_addc_co_u32_e32 v3, vcc, -1, v3, vcc
	s_cmp_gt_i32 s7, s8
	s_waitcnt vmcnt(0) lgkmcnt(0)
	v_fma_f32 v4, -v5, v6, v4
	s_cbranch_scc1 .LBB34_29
.LBB34_30:
	s_mul_i32 s7, s8, 0x74
	v_mov_b32_e32 v2, s7
	ds_read_b32 v2, v2
	s_add_i32 s12, s8, -1
	s_waitcnt lgkmcnt(0)
	v_mul_f32_e32 v2, v2, v4
	global_store_dword v[0:1], v2, off
.LBB34_31:
	s_cmp_eq_u32 s8, 0
	s_mov_b32 s13, 0
	s_cbranch_scc1 .LBB34_38
; %bb.32:
	s_mul_i32 s7, s12, 0x70
	s_lshl_b32 s8, s18, 2
	s_add_i32 s9, s7, s8
	s_add_i32 s8, s9, -4
	s_add_u32 s7, s4, s0
	s_addc_u32 s11, s5, s1
	v_add_co_u32_e32 v2, vcc, s7, v38
	s_ashr_i32 s7, s6, 31
	s_lshl_b64 s[14:15], s[6:7], 2
	s_add_u32 s7, s2, s14
	v_mov_b32_e32 v0, s11
	s_addc_u32 s11, s3, s15
	v_addc_co_u32_e32 v3, vcc, v0, v39, vcc
	v_mov_b32_e32 v1, s11
	s_ashr_i32 s11, s10, 31
	v_add_co_u32_e32 v0, vcc, s7, v2
	s_add_i32 s7, s9, 0xffffff8c
	v_cmp_lt_i64_e64 s[14:15], s[10:11], 28
	s_and_b64 s[14:15], s[14:15], exec
	s_cselect_b32 s15, s11, 0
	s_cselect_b32 s14, s10, 28
	s_lshl_b64 s[14:15], s[14:15], 2
	s_add_u32 s9, s2, s14
	v_addc_co_u32_e32 v1, vcc, v1, v3, vcc
	s_addc_u32 s11, s3, s15
	v_mov_b32_e32 v4, s11
	v_add_co_u32_e32 v2, vcc, s9, v2
	v_addc_co_u32_e32 v3, vcc, v4, v3, vcc
	v_add_co_u32_e32 v2, vcc, -4, v2
	v_addc_co_u32_e32 v3, vcc, -1, v3, vcc
	s_branch .LBB34_34
.LBB34_33:                              ;   in Loop: Header=BB34_34 Depth=1
	s_addk_i32 s9, 0xff8c
	v_mov_b32_e32 v6, s9
	ds_read_b32 v6, v6
	s_add_i32 s9, s12, -2
	s_addk_i32 s8, 0xff20
	s_addk_i32 s7, 0xff20
	s_cmp_lt_i32 s12, 2
	s_waitcnt lgkmcnt(0)
	v_mul_f32_e32 v6, v6, v8
	s_mov_b32 s12, s9
	global_store_dword v[4:5], v6, off offset:-4
	s_cbranch_scc1 .LBB34_38
.LBB34_34:                              ; =>This Loop Header: Depth=1
                                        ;     Child Loop BB34_35 Depth 2
                                        ;     Child Loop BB34_37 Depth 2
	s_lshl_b64 s[14:15], s[12:13], 2
	v_mov_b32_e32 v5, s15
	v_add_co_u32_e32 v4, vcc, s14, v36
	v_addc_co_u32_e32 v5, vcc, v37, v5, vcc
	global_load_dword v6, v[4:5], off
	v_pk_mov_b32 v[4:5], v[0:1], v[0:1] op_sel:[0,1]
	s_mov_b32 s9, s8
	s_cmp_le_i32 s6, s12
	s_mov_b32 s11, s6
	s_waitcnt vmcnt(0)
	v_mul_f32_e32 v8, s16, v6
	s_cbranch_scc1 .LBB34_36
.LBB34_35:                              ;   Parent Loop BB34_34 Depth=1
                                        ; =>  This Inner Loop Header: Depth=2
	global_load_dword v6, v[4:5], off
	v_mov_b32_e32 v7, s9
	ds_read_b32 v7, v7
	s_add_i32 s11, s11, -1
	s_add_i32 s9, s9, -4
	v_add_co_u32_e32 v4, vcc, -4, v4
	v_addc_co_u32_e32 v5, vcc, -1, v5, vcc
	s_cmp_gt_i32 s11, s12
	s_waitcnt vmcnt(0) lgkmcnt(0)
	v_fma_f32 v8, -v6, v7, v8
	s_cbranch_scc1 .LBB34_35
.LBB34_36:                              ;   in Loop: Header=BB34_34 Depth=1
	s_add_i32 s14, s12, -1
	s_mov_b32 s15, s13
	s_lshl_b64 s[14:15], s[14:15], 2
	v_mov_b32_e32 v5, s15
	v_add_co_u32_e32 v4, vcc, s14, v36
	v_addc_co_u32_e32 v5, vcc, v37, v5, vcc
	global_load_dword v9, v[4:5], off
	s_mul_i32 s9, s12, 0x74
	v_mov_b32_e32 v4, s9
	ds_read_b32 v10, v4
	s_ashr_i32 s15, s12, 31
	s_mov_b32 s14, s12
	s_lshl_b64 s[14:15], s[14:15], 2
	v_mov_b32_e32 v5, s15
	v_add_co_u32_e32 v4, vcc, s14, v36
	v_addc_co_u32_e32 v5, vcc, v37, v5, vcc
	s_waitcnt lgkmcnt(0)
	v_mul_f32_e32 v8, v10, v8
	v_pk_mov_b32 v[6:7], v[2:3], v[2:3] op_sel:[0,1]
	s_mov_b32 s11, s7
	s_cmp_le_i32 s18, s12
	global_store_dword v[4:5], v8, off
	s_mov_b32 s14, s18
	s_waitcnt vmcnt(1)
	v_mul_f32_e32 v8, s16, v9
	s_cbranch_scc1 .LBB34_33
.LBB34_37:                              ;   Parent Loop BB34_34 Depth=1
                                        ; =>  This Inner Loop Header: Depth=2
	global_load_dword v9, v[6:7], off
	v_mov_b32_e32 v10, s11
	ds_read_b32 v10, v10
	s_add_i32 s14, s14, -1
	s_add_i32 s11, s11, -4
	v_add_co_u32_e32 v6, vcc, -4, v6
	v_addc_co_u32_e32 v7, vcc, -1, v7, vcc
	s_cmp_gt_i32 s14, s12
	s_waitcnt vmcnt(0) lgkmcnt(0)
	v_fma_f32 v8, -v9, v10, v8
	s_cbranch_scc1 .LBB34_37
	s_branch .LBB34_33
.LBB34_38:
	s_mov_b64 s[6:7], 0
.LBB34_39:
	s_and_b64 vcc, exec, s[6:7]
	s_cbranch_vccz .LBB34_62
; %bb.40:
	s_cmp_gt_i32 s10, 27
	s_cselect_b64 s[6:7], -1, 0
	s_mov_b32 s8, 0
	s_and_b64 vcc, exec, s[6:7]
	s_cbranch_vccz .LBB34_42
; %bb.41:
	global_load_dwordx4 v[10:13], v[36:37], off
	global_load_dwordx4 v[6:9], v[36:37], off offset:16
	global_load_dwordx4 v[16:19], v[36:37], off offset:32
	;; [unrolled: 1-line block ×3, first 2 shown]
	v_mov_b32_e32 v44, 0
	ds_read_b128 v[20:23], v44
	ds_read_b128 v[28:31], v44 offset:16
	ds_read_b128 v[46:49], v44 offset:464
	;; [unrolled: 1-line block ×3, first 2 shown]
	ds_read2_b32 v[14:15], v44 offset0:31 offset1:32
	ds_read2_b32 v[40:41], v44 offset0:33 offset1:34
	;; [unrolled: 1-line block ×8, first 2 shown]
	ds_read2_b64 v[54:57], v44 offset0:31 offset1:32
	ds_read2_b64 v[32:35], v44 offset0:33 offset1:34
	;; [unrolled: 1-line block ×4, first 2 shown]
	ds_read2_b32 v[82:83], v44 offset0:145 offset1:146
	ds_read2_b32 v[84:85], v44 offset0:147 offset1:148
	;; [unrolled: 1-line block ×4, first 2 shown]
	ds_read_b128 v[62:65], v44 offset:32
	v_mov_b32_e32 v45, 0x414
	s_movk_i32 s8, 0x200
	s_waitcnt vmcnt(3)
	v_mul_f32_e32 v4, s16, v10
	s_waitcnt lgkmcnt(14)
	v_mul_f32_e32 v4, v20, v4
	v_mul_f32_e32 v5, v4, v21
	;; [unrolled: 1-line block ×4, first 2 shown]
	v_fma_f32 v5, v11, s16, -v5
	v_fma_f32 v12, v12, s16, -v10
	;; [unrolled: 1-line block ×3, first 2 shown]
	ds_read_b128 v[20:23], v44 offset:48
	ds_read2_b32 v[10:11], v44 offset0:29 offset1:30
	v_mul_f32_e32 v28, v4, v28
	v_mul_f32_e32 v29, v4, v29
	;; [unrolled: 1-line block ×4, first 2 shown]
	s_waitcnt vmcnt(2)
	v_fma_f32 v6, v6, s16, -v28
	s_waitcnt lgkmcnt(0)
	v_mul_f32_e32 v5, v10, v5
	v_fma_f32 v28, v7, s16, -v29
	v_fma_f32 v29, v8, s16, -v30
	;; [unrolled: 1-line block ×3, first 2 shown]
	v_fma_f32 v10, -v5, v11, v12
	v_fma_f32 v12, -v5, v15, v6
	ds_read2_b64 v[6:9], v44 offset0:29 offset1:30
	v_fma_f32 v11, -v5, v14, v13
	v_mul_f32_e32 v13, v4, v62
	s_waitcnt vmcnt(1)
	v_fma_f32 v13, v16, s16, -v13
	v_fma_f32 v14, -v5, v40, v28
	v_fma_f32 v15, -v5, v41, v29
	v_fma_f32 v16, -v5, v70, v30
	ds_read_b128 v[28:31], v44 offset:944
	s_waitcnt lgkmcnt(1)
	v_mul_f32_e32 v6, v6, v10
	v_fma_f32 v7, -v6, v7, v11
	v_fma_f32 v12, -v6, v8, v12
	v_mul_f32_e32 v7, v74, v7
	v_fma_f32 v13, -v5, v71, v13
	v_fma_f32 v14, -v6, v9, v14
	v_mul_f32_e32 v40, v4, v63
	v_fma_f32 v12, -v7, v75, v12
	v_fma_f32 v17, v17, s16, -v40
	v_fma_f32 v15, -v6, v54, v15
	v_fma_f32 v13, -v6, v56, v13
	v_fma_f32 v14, -v7, v76, v14
	v_mul_f32_e32 v12, v46, v12
	v_fma_f32 v17, -v5, v72, v17
	v_fma_f32 v54, -v6, v55, v16
	;; [unrolled: 1-line block ×5, first 2 shown]
	ds_read_b128 v[66:69], v44 offset:928
	ds_read_b128 v[8:11], v44 offset:96
	v_fma_f32 v55, -v6, v57, v17
	ds_read2_b32 v[16:17], v44 offset0:203 offset1:204
	ds_read2_b32 v[40:41], v44 offset0:205 offset1:206
	v_fma_f32 v54, -v7, v78, v54
	v_fma_f32 v15, -v12, v48, v15
	;; [unrolled: 1-line block ×3, first 2 shown]
	v_mul_f32_e32 v13, v82, v14
	v_fma_f32 v46, -v12, v49, v54
	v_fma_f32 v14, -v13, v83, v15
	;; [unrolled: 1-line block ×4, first 2 shown]
	v_mul_f32_e32 v14, v58, v14
	v_fma_f32 v48, -v12, v51, v55
	v_fma_f32 v46, -v13, v85, v47
	;; [unrolled: 1-line block ×5, first 2 shown]
	s_waitcnt lgkmcnt(1)
	v_mul_f32_e32 v15, v16, v15
	v_fma_f32 v47, -v14, v61, v47
	v_fma_f32 v16, -v15, v17, v46
	v_mul_f32_e32 v16, v66, v16
	s_waitcnt lgkmcnt(0)
	v_fma_f32 v17, -v15, v40, v47
	v_mov_b32_e32 v40, 0x41c
	ds_read2_b32 v[62:63], v44 offset0:207 offset1:208
	ds_read2_b32 v[74:75], v44 offset0:209 offset1:210
	v_fma_f32 v17, -v16, v67, v17
	ds_read2_b32 v[66:67], v40 offset1:1
	ds_read2_b32 v[58:59], v44 offset0:39 offset1:40
	v_mul_f32_e32 v40, v4, v64
	v_fma_f32 v18, v18, s16, -v40
	v_fma_f32 v18, -v5, v73, v18
	v_fma_f32 v18, -v6, v32, v18
	v_fma_f32 v18, -v7, v81, v18
	v_fma_f32 v18, -v12, v52, v18
	v_fma_f32 v18, -v13, v87, v18
	v_fma_f32 v18, -v14, v24, v18
	ds_read2_b32 v[50:51], v45 offset1:1
	ds_read2_b64 v[46:49], v44 offset0:145 offset1:146
	v_fma_f32 v18, -v15, v41, v18
	v_mul_f32_e32 v24, v4, v65
	ds_read2_b32 v[64:65], v44 offset0:41 offset1:42
	ds_read2_b32 v[78:79], v44 offset0:43 offset1:44
	;; [unrolled: 1-line block ×4, first 2 shown]
	v_fma_f32 v19, v19, s16, -v24
	s_waitcnt lgkmcnt(6)
	v_fma_f32 v19, -v5, v58, v19
	v_fma_f32 v19, -v6, v33, v19
	s_waitcnt lgkmcnt(5)
	v_mul_f32_e32 v17, v50, v17
	v_fma_f32 v18, -v16, v68, v18
	s_waitcnt lgkmcnt(0)
	v_fma_f32 v19, -v7, v60, v19
	v_fma_f32 v18, -v17, v51, v18
	ds_read2_b32 v[70:71], v44 offset0:97 offset1:98
	ds_read2_b32 v[80:81], v44 offset0:99 offset1:100
	;; [unrolled: 1-line block ×3, first 2 shown]
	v_fma_f32 v19, -v12, v53, v19
	global_load_dwordx4 v[50:53], v[36:37], off offset:64
	v_fma_f32 v19, -v13, v42, v19
	v_mov_b32_e32 v24, 0x4fc
	v_mov_b32_e32 v42, 0x424
	;; [unrolled: 1-line block ×3, first 2 shown]
	v_mul_f32_e32 v18, v46, v18
	v_fma_f32 v19, -v14, v25, v19
	ds_read2_b32 v[24:25], v24 offset1:1
	ds_read2_b32 v[76:77], v42 offset1:1
	v_mov_b32_e32 v46, 0x5e4
	ds_read2_b32 v[82:83], v45 offset1:1
	ds_read2_b32 v[84:85], v46 offset1:1
	v_mul_f32_e32 v20, v4, v20
	ds_read_b128 v[54:57], v44 offset:496
	s_waitcnt vmcnt(1)
	v_fma_f32 v0, v0, s16, -v20
	v_fma_f32 v0, -v5, v59, v0
	v_fma_f32 v0, -v6, v34, v0
	;; [unrolled: 1-line block ×3, first 2 shown]
	ds_read_b128 v[58:61], v44 offset:512
	s_waitcnt lgkmcnt(1)
	v_fma_f32 v0, -v12, v54, v0
	v_fma_f32 v0, -v13, v43, v0
	;; [unrolled: 1-line block ×10, first 2 shown]
	v_mul_f32_e32 v19, v24, v19
	v_fma_f32 v0, -v18, v48, v0
	v_fma_f32 v42, -v19, v25, v0
	v_mul_f32_e32 v0, v4, v21
	v_fma_f32 v0, v1, s16, -v0
	v_fma_f32 v0, -v5, v64, v0
	v_fma_f32 v0, -v6, v35, v0
	;; [unrolled: 1-line block ×3, first 2 shown]
	ds_read2_b32 v[0:1], v44 offset0:153 offset1:154
	v_fma_f32 v24, -v12, v55, v20
	ds_read2_b32 v[34:35], v44 offset0:155 offset1:156
	ds_read2_b32 v[86:87], v44 offset0:157 offset1:158
	;; [unrolled: 1-line block ×3, first 2 shown]
	v_mul_f32_e32 v8, v4, v8
	v_mul_f32_e32 v10, v4, v10
	s_waitcnt lgkmcnt(3)
	v_fma_f32 v0, -v13, v0, v24
	v_fma_f32 v0, -v14, v27, v0
	;; [unrolled: 1-line block ×6, first 2 shown]
	ds_read2_b64 v[46:49], v44 offset0:35 offset1:36
	v_fma_f32 v43, -v19, v82, v0
	v_mul_f32_e32 v0, v4, v22
	v_fma_f32 v0, v2, s16, -v0
	v_fma_f32 v0, -v5, v65, v0
	ds_read2_b64 v[62:65], v44 offset0:37 offset1:38
	ds_read2_b64 v[66:69], v44 offset0:91 offset1:92
	s_waitcnt lgkmcnt(2)
	v_fma_f32 v0, -v6, v46, v0
	v_fma_f32 v0, -v7, v71, v0
	;; [unrolled: 1-line block ×4, first 2 shown]
	ds_read2_b64 v[70:73], v44 offset0:147 offset1:148
	s_waitcnt lgkmcnt(1)
	v_fma_f32 v0, -v14, v66, v0
	v_fma_f32 v0, -v15, v75, v0
	;; [unrolled: 1-line block ×4, first 2 shown]
	s_waitcnt lgkmcnt(0)
	v_fma_f32 v0, -v18, v70, v0
	v_fma_f32 v45, -v19, v83, v0
	v_mul_f32_e32 v0, v4, v23
	v_fma_f32 v0, v3, s16, -v0
	v_fma_f32 v0, -v5, v78, v0
	v_fma_f32 v2, -v6, v47, v0
	ds_read2_b32 v[0:1], v44 offset0:211 offset1:212
	ds_read2_b64 v[74:77], v44 offset0:149 offset1:150
	ds_read_b128 v[22:25], v44 offset:1392
	v_fma_f32 v2, -v7, v80, v2
	ds_read2_b64 v[26:29], v44 offset0:93 offset1:94
	v_fma_f32 v2, -v12, v57, v2
	ds_read_b128 v[54:57], v44 offset:64
	v_fma_f32 v2, -v13, v34, v2
	v_fma_f32 v2, -v14, v67, v2
	s_waitcnt lgkmcnt(4)
	v_fma_f32 v0, -v15, v0, v2
	v_fma_f32 v34, -v16, v31, v0
	s_waitcnt lgkmcnt(2)
	v_mul_f32_e32 v0, v22, v42
	v_mov_b32_e32 v2, 0x42c
	v_mov_b32_e32 v22, 0x50c
	ds_read2_b32 v[2:3], v2 offset1:1
	ds_read2_b32 v[30:31], v22 offset1:1
	v_fma_f32 v70, -v0, v23, v43
	s_waitcnt lgkmcnt(2)
	v_mul_f32_e32 v22, v4, v54
	v_mul_f32_e32 v23, v4, v55
	s_waitcnt vmcnt(0)
	v_fma_f32 v22, v50, s16, -v22
	v_fma_f32 v23, v51, s16, -v23
	v_fma_f32 v22, -v5, v79, v22
	v_fma_f32 v23, -v5, v40, v23
	;; [unrolled: 1-line block ×10, first 2 shown]
	ds_read2_b32 v[50:51], v44 offset0:213 offset1:214
	v_fma_f32 v22, -v14, v68, v22
	v_fma_f32 v23, -v14, v69, v23
	ds_read_b128 v[66:69], v44 offset:960
	s_waitcnt lgkmcnt(3)
	v_fma_f32 v2, -v17, v2, v34
	v_fma_f32 v2, -v18, v71, v2
	;; [unrolled: 1-line block ×3, first 2 shown]
	s_waitcnt lgkmcnt(2)
	v_fma_f32 v2, -v19, v30, v2
	s_waitcnt lgkmcnt(0)
	v_fma_f32 v1, -v16, v66, v1
	v_fma_f32 v45, -v0, v24, v45
	;; [unrolled: 1-line block ×3, first 2 shown]
	v_mov_b32_e32 v24, 0x5ec
	v_mov_b32_e32 v25, 0x6cc
	v_fma_f32 v1, -v17, v3, v1
	v_mov_b32_e32 v3, 0x434
	ds_read2_b32 v[34:35], v24 offset1:1
	ds_read2_b32 v[42:43], v25 offset1:1
	;; [unrolled: 1-line block ×3, first 2 shown]
	v_fma_f32 v3, -v18, v72, v1
	v_fma_f32 v1, -v15, v50, v23
	global_load_dwordx4 v[22:25], v[36:37], off offset:80
	v_fma_f32 v1, -v16, v67, v1
	ds_read_b128 v[46:49], v44 offset:1408
	s_waitcnt lgkmcnt(1)
	v_fma_f32 v1, -v17, v54, v1
	v_fma_f32 v32, -v18, v73, v1
	v_mul_f32_e32 v1, v84, v70
	ds_read2_b64 v[70:73], v44 offset0:203 offset1:204
	v_mov_b32_e32 v30, 0x514
	v_mov_b32_e32 v40, 0x5f4
	v_fma_f32 v3, -v19, v31, v3
	ds_read2_b32 v[30:31], v30 offset1:1
	ds_read2_b32 v[58:59], v40 offset1:1
	v_fma_f32 v45, -v1, v85, v45
	v_fma_f32 v34, -v1, v34, v2
	s_waitcnt lgkmcnt(3)
	v_fma_f32 v2, -v0, v46, v3
	v_fma_f32 v3, -v1, v35, v2
	s_waitcnt lgkmcnt(2)
	v_mul_f32_e32 v2, v70, v45
	v_fma_f32 v45, -v2, v72, v3
	s_waitcnt lgkmcnt(1)
	v_fma_f32 v3, -v19, v30, v32
	v_mul_f32_e32 v32, v4, v56
	v_fma_f32 v32, v52, s16, -v32
	v_fma_f32 v32, -v5, v41, v32
	v_fma_f32 v32, -v6, v62, v32
	;; [unrolled: 1-line block ×3, first 2 shown]
	v_mov_b32_e32 v46, 0x6d4
	v_fma_f32 v47, -v7, v33, v32
	v_fma_f32 v40, -v2, v71, v34
	ds_read2_b32 v[66:67], v44 offset0:215 offset1:216
	ds_read2_b32 v[34:35], v44 offset0:217 offset1:218
	ds_read2_b32 v[32:33], v46 offset1:1
	v_fma_f32 v46, -v12, v60, v47
	v_fma_f32 v46, -v13, v87, v46
	;; [unrolled: 1-line block ×4, first 2 shown]
	s_waitcnt lgkmcnt(3)
	v_fma_f32 v3, -v1, v58, v3
	v_fma_f32 v26, -v16, v68, v26
	;; [unrolled: 1-line block ×3, first 2 shown]
	ds_read2_b64 v[70:73], v44 offset0:205 offset1:206
	ds_read_b128 v[78:81], v44 offset:976
	v_fma_f32 v26, -v17, v55, v26
	v_fma_f32 v26, -v18, v74, v26
	;; [unrolled: 1-line block ×5, first 2 shown]
	v_mul_f32_e32 v3, v42, v40
	s_waitcnt lgkmcnt(1)
	v_fma_f32 v26, -v2, v70, v26
	v_fma_f32 v45, -v3, v43, v45
	ds_read_b128 v[40:43], v44 offset:80
	v_fma_f32 v46, -v3, v32, v30
	v_fma_f32 v26, -v3, v33, v26
	ds_read2_b32 v[32:33], v44 offset0:47 offset1:48
	v_mul_f32_e32 v30, v4, v57
	v_fma_f32 v47, v53, s16, -v30
	ds_read2_b32 v[54:55], v44 offset0:103 offset1:104
	ds_read2_b32 v[82:83], v44 offset0:49 offset1:50
	;; [unrolled: 1-line block ×3, first 2 shown]
	s_waitcnt lgkmcnt(3)
	v_fma_f32 v32, -v5, v32, v47
	v_fma_f32 v32, -v6, v63, v32
	s_waitcnt lgkmcnt(2)
	v_fma_f32 v32, -v7, v54, v32
	v_fma_f32 v32, -v12, v61, v32
	;; [unrolled: 1-line block ×4, first 2 shown]
	v_mov_b32_e32 v27, 0x43c
	ds_read2_b32 v[56:57], v27 offset1:1
	v_mov_b32_e32 v32, 0x51c
	v_fma_f32 v20, -v15, v66, v20
	v_mov_b32_e32 v47, 0x5fc
	v_mov_b32_e32 v27, 0x6dc
	ds_read2_b32 v[58:59], v32 offset1:1
	ds_read2_b32 v[60:61], v47 offset1:1
	;; [unrolled: 1-line block ×3, first 2 shown]
	ds_read_b128 v[50:53], v44 offset:1856
	v_fma_f32 v20, -v16, v69, v20
	s_waitcnt lgkmcnt(4)
	v_fma_f32 v20, -v17, v56, v20
	v_fma_f32 v20, -v18, v75, v20
	s_waitcnt lgkmcnt(3)
	v_fma_f32 v20, -v19, v58, v20
	v_fma_f32 v27, -v0, v49, v20
	s_waitcnt lgkmcnt(0)
	v_mul_f32_e32 v20, v50, v45
	v_fma_f32 v58, -v20, v52, v26
	v_fma_f32 v26, -v1, v60, v27
	;; [unrolled: 1-line block ×5, first 2 shown]
	v_mul_f32_e32 v26, v4, v40
	v_fma_f32 v45, -v20, v51, v46
	ds_read_b128 v[46:49], v44 offset:528
	s_waitcnt vmcnt(0)
	v_fma_f32 v22, v22, s16, -v26
	v_fma_f32 v22, -v5, v33, v22
	v_fma_f32 v32, -v6, v64, v22
	v_mul_f32_e32 v22, v4, v41
	v_fma_f32 v22, v23, s16, -v22
	v_fma_f32 v22, -v5, v82, v22
	v_fma_f32 v40, -v6, v65, v22
	ds_read2_b32 v[26:27], v44 offset0:53 offset1:54
	ds_read2_b32 v[22:23], v44 offset0:105 offset1:106
	v_fma_f32 v32, -v7, v55, v32
	s_waitcnt lgkmcnt(2)
	v_fma_f32 v41, -v12, v46, v32
	ds_read2_b32 v[32:33], v44 offset0:161 offset1:162
	v_fma_f32 v21, -v13, v21, v41
	v_fma_f32 v21, -v14, v28, v21
	s_waitcnt lgkmcnt(1)
	v_fma_f32 v22, -v7, v22, v40
	v_fma_f32 v21, -v15, v67, v21
	;; [unrolled: 1-line block ×5, first 2 shown]
	ds_read_b128 v[54:57], v44 offset:1424
	s_waitcnt lgkmcnt(1)
	v_fma_f32 v22, -v13, v32, v22
	v_mov_b32_e32 v28, 0x444
	v_fma_f32 v22, -v14, v29, v22
	ds_read2_b32 v[28:29], v28 offset1:1
	v_mov_b32_e32 v32, 0x524
	ds_read2_b32 v[46:47], v32 offset1:1
	v_fma_f32 v21, -v18, v76, v21
	v_fma_f32 v22, -v15, v34, v22
	;; [unrolled: 1-line block ×4, first 2 shown]
	s_waitcnt lgkmcnt(1)
	v_fma_f32 v22, -v17, v28, v22
	v_fma_f32 v21, -v0, v54, v21
	;; [unrolled: 1-line block ×5, first 2 shown]
	s_waitcnt lgkmcnt(0)
	v_fma_f32 v21, -v19, v46, v22
	v_mov_b32_e32 v22, 0x604
	ds_read_b128 v[50:53], v44 offset:1872
	ds_read2_b32 v[66:67], v22 offset1:1
	v_fma_f32 v21, -v0, v55, v21
	v_mov_b32_e32 v22, 0x6e4
	v_mov_b32_e32 v32, 0x7c4
	ds_read2_b32 v[54:55], v22 offset1:1
	s_waitcnt lgkmcnt(1)
	v_fma_f32 v21, -v1, v66, v21
	v_fma_f32 v34, -v2, v73, v21
	v_mov_b32_e32 v21, 0x7b4
	ds_read2_b32 v[40:41], v21 offset1:1
	ds_read2_b32 v[68:69], v32 offset1:1
	v_mov_b32_e32 v21, 0x7bc
	ds_read2_b32 v[64:65], v21 offset1:1
	v_mov_b32_e32 v22, 0x828
	s_waitcnt lgkmcnt(2)
	v_mul_f32_e32 v21, v40, v45
	v_fma_f32 v32, -v21, v41, v58
	ds_read2_b64 v[58:61], v22 offset1:1
	v_fma_f32 v22, -v3, v63, v28
	v_fma_f32 v22, -v20, v50, v22
	s_waitcnt lgkmcnt(1)
	v_fma_f32 v28, -v21, v64, v62
	v_fma_f32 v40, -v21, v65, v22
	global_load_dwordx4 v[62:65], v[36:37], off offset:96
	s_waitcnt lgkmcnt(0)
	v_mul_f32_e32 v22, v58, v32
	v_fma_f32 v45, -v22, v59, v28
	v_fma_f32 v28, -v3, v54, v34
	;; [unrolled: 1-line block ×6, first 2 shown]
	ds_read2_b32 v[70:71], v44 offset0:107 offset1:108
	ds_read2_b32 v[72:73], v44 offset0:163 offset1:164
	v_mul_f32_e32 v28, v4, v42
	v_mul_f32_e32 v32, v4, v43
	ds_read2_b64 v[40:43], v44 offset0:39 offset1:40
	ds_read2_b64 v[58:61], v44 offset0:95 offset1:96
	v_fma_f32 v28, v24, s16, -v28
	v_fma_f32 v28, -v5, v83, v28
	v_fma_f32 v32, v25, s16, -v32
	s_waitcnt lgkmcnt(1)
	v_fma_f32 v28, -v6, v40, v28
	v_fma_f32 v23, -v7, v23, v28
	;; [unrolled: 1-line block ×7, first 2 shown]
	ds_read2_b32 v[74:75], v44 offset0:219 offset1:220
	v_fma_f32 v23, -v13, v33, v23
	v_fma_f32 v28, -v13, v72, v28
	v_mov_b32_e32 v30, 0x44c
	s_waitcnt lgkmcnt(1)
	v_fma_f32 v23, -v14, v58, v23
	v_fma_f32 v28, -v14, v59, v28
	ds_read2_b32 v[58:59], v30 offset1:1
	s_waitcnt lgkmcnt(1)
	v_fma_f32 v28, -v15, v74, v28
	v_fma_f32 v23, -v15, v35, v23
	;; [unrolled: 1-line block ×3, first 2 shown]
	v_mov_b32_e32 v24, 0x8a4
	v_mov_b32_e32 v34, 0x89c
	v_fma_f32 v23, -v16, v80, v23
	s_waitcnt lgkmcnt(0)
	v_fma_f32 v30, -v17, v58, v28
	v_mov_b32_e32 v28, 0x52c
	ds_read2_b32 v[24:25], v24 offset1:1
	ds_read2_b32 v[40:41], v34 offset1:1
	v_fma_f32 v23, -v17, v29, v23
	ds_read2_b32 v[28:29], v28 offset1:1
	ds_read2_b64 v[32:35], v44 offset0:151 offset1:152
	v_mov_b32_e32 v50, 0x7cc
	s_waitcnt lgkmcnt(0)
	v_fma_f32 v23, -v18, v32, v23
	v_fma_f32 v23, -v19, v47, v23
	;; [unrolled: 1-line block ×3, first 2 shown]
	v_mov_b32_e32 v32, 0x60c
	v_mov_b32_e32 v33, 0x6ec
	ds_read2_b64 v[46:49], v44 offset0:207 offset1:208
	ds_read2_b32 v[76:77], v32 offset1:1
	ds_read2_b32 v[78:79], v33 offset1:1
	v_fma_f32 v23, -v0, v56, v23
	v_fma_f32 v23, -v1, v67, v23
	;; [unrolled: 1-line block ×3, first 2 shown]
	s_waitcnt lgkmcnt(2)
	v_fma_f32 v23, -v2, v46, v23
	v_fma_f32 v28, -v0, v57, v28
	;; [unrolled: 1-line block ×4, first 2 shown]
	s_waitcnt lgkmcnt(1)
	v_fma_f32 v23, -v1, v76, v28
	v_fma_f32 v23, -v2, v47, v23
	s_waitcnt lgkmcnt(0)
	v_fma_f32 v23, -v3, v78, v23
	v_mov_b32_e32 v28, 0x838
	ds_read2_b32 v[66:67], v50 offset1:1
	v_fma_f32 v32, -v20, v53, v23
	ds_read2_b64 v[50:53], v28 offset1:1
	v_mul_f32_e32 v23, v40, v45
	ds_read_b128 v[54:57], v44 offset:2320
	v_fma_f32 v30, -v21, v69, v30
	v_fma_f32 v33, -v23, v24, v68
	s_waitcnt lgkmcnt(1)
	v_fma_f32 v24, -v22, v50, v30
	v_fma_f32 v30, -v23, v25, v24
	v_mov_b32_e32 v24, 0x8ac
	ds_read2_b32 v[24:25], v24 offset1:1
	v_fma_f32 v28, -v23, v41, v82
	s_waitcnt lgkmcnt(1)
	v_mul_f32_e32 v28, v54, v28
	v_fma_f32 v58, -v28, v56, v30
	v_fma_f32 v30, -v21, v66, v32
	v_fma_f32 v30, -v22, v51, v30
	s_waitcnt vmcnt(0)
	v_fma_f32 v8, v62, s16, -v8
	v_fma_f32 v8, -v5, v31, v8
	s_waitcnt lgkmcnt(0)
	v_fma_f32 v24, -v23, v24, v30
	v_fma_f32 v30, -v6, v42, v8
	v_mul_f32_e32 v8, v4, v9
	v_fma_f32 v45, -v28, v55, v33
	v_fma_f32 v24, -v28, v57, v24
	ds_read_b128 v[54:57], v44 offset:544
	v_fma_f32 v8, v63, s16, -v8
	v_fma_f32 v8, -v5, v26, v8
	v_fma_f32 v26, -v6, v43, v8
	ds_read2_b32 v[8:9], v44 offset0:109 offset1:110
	ds_read2_b32 v[62:63], v44 offset0:165 offset1:166
	v_fma_f32 v30, -v7, v71, v30
	s_waitcnt lgkmcnt(2)
	v_fma_f32 v30, -v12, v54, v30
	v_fma_f32 v40, -v13, v73, v30
	ds_read_b128 v[30:33], v44 offset:992
	s_waitcnt lgkmcnt(2)
	v_fma_f32 v8, -v7, v8, v26
	v_fma_f32 v8, -v12, v55, v8
	ds_read2_b32 v[54:55], v44 offset0:221 offset1:222
	v_mov_b32_e32 v26, 0x454
	ds_read2_b32 v[68:69], v26 offset1:1
	v_fma_f32 v40, -v14, v60, v40
	s_waitcnt lgkmcnt(3)
	v_fma_f32 v8, -v13, v62, v8
	v_fma_f32 v26, -v15, v75, v40
	;; [unrolled: 1-line block ×3, first 2 shown]
	s_waitcnt lgkmcnt(2)
	v_fma_f32 v26, -v16, v30, v26
	v_fma_f32 v26, -v17, v59, v26
	s_waitcnt lgkmcnt(1)
	v_fma_f32 v8, -v15, v54, v8
	v_fma_f32 v26, -v18, v34, v26
	;; [unrolled: 1-line block ×3, first 2 shown]
	s_waitcnt lgkmcnt(0)
	v_fma_f32 v8, -v17, v68, v8
	v_fma_f32 v26, -v19, v29, v26
	v_mov_b32_e32 v29, 0x534
	ds_read_b128 v[40:43], v44 offset:1440
	v_fma_f32 v8, -v18, v35, v8
	ds_read2_b32 v[34:35], v29 offset1:1
	v_mov_b32_e32 v29, 0x614
	ds_read2_b32 v[70:71], v29 offset1:1
	s_waitcnt lgkmcnt(2)
	v_fma_f32 v26, -v0, v40, v26
	v_fma_f32 v26, -v1, v77, v26
	s_waitcnt lgkmcnt(1)
	v_fma_f32 v8, -v19, v34, v8
	v_fma_f32 v8, -v0, v41, v8
	v_mov_b32_e32 v29, 0x6f4
	s_waitcnt lgkmcnt(0)
	v_fma_f32 v8, -v1, v70, v8
	v_fma_f32 v26, -v2, v48, v26
	;; [unrolled: 1-line block ×3, first 2 shown]
	ds_read_b128 v[46:49], v44 offset:1888
	v_mov_b32_e32 v30, 0x7d4
	ds_read2_b32 v[40:41], v29 offset1:1
	ds_read2_b32 v[72:73], v30 offset1:1
	v_fma_f32 v26, -v3, v79, v26
	v_mov_b32_e32 v29, 0x984
	s_waitcnt lgkmcnt(2)
	v_fma_f32 v26, -v20, v46, v26
	s_waitcnt lgkmcnt(1)
	v_fma_f32 v8, -v3, v40, v8
	v_fma_f32 v8, -v20, v47, v8
	;; [unrolled: 1-line block ×3, first 2 shown]
	s_waitcnt lgkmcnt(0)
	v_fma_f32 v8, -v21, v72, v8
	ds_read2_b32 v[30:31], v29 offset1:1
	v_fma_f32 v26, -v22, v52, v26
	v_fma_f32 v8, -v22, v53, v8
	ds_read_b128 v[50:53], v44 offset:2336
	v_mov_b32_e32 v29, 0x98c
	ds_read2_b32 v[46:47], v29 offset1:1
	s_waitcnt lgkmcnt(2)
	v_mul_f32_e32 v29, v30, v45
	v_fma_f32 v25, -v23, v25, v26
	v_fma_f32 v30, -v29, v31, v58
	v_mov_b32_e32 v26, 0x9f8
	s_waitcnt lgkmcnt(1)
	v_fma_f32 v25, -v28, v50, v25
	v_mov_b32_e32 v31, 0x8b4
	ds_read2_b64 v[58:61], v26 offset1:1
	s_waitcnt lgkmcnt(1)
	v_fma_f32 v24, -v29, v46, v24
	v_fma_f32 v25, -v29, v47, v25
	ds_read2_b32 v[46:47], v31 offset1:1
	v_mov_b32_e32 v26, 0xa6c
	s_waitcnt lgkmcnt(1)
	v_mul_f32_e32 v30, v58, v30
	v_mov_b32_e32 v31, 0x994
	ds_read2_b32 v[66:67], v31 offset1:1
	s_waitcnt lgkmcnt(1)
	v_fma_f32 v8, -v23, v46, v8
	v_fma_f32 v31, -v30, v59, v24
	;; [unrolled: 1-line block ×4, first 2 shown]
	ds_read2_b32 v[24:25], v26 offset1:1
	ds_read_b32 v45, v44 offset:220
	ds_read_b32 v46, v44 offset:3132
	ds_read_b64 v[50:51], v44 offset:328
	ds_read_b64 v[58:59], v44 offset:776
	v_fma_f32 v10, v64, s16, -v10
	v_fma_f32 v10, -v5, v27, v10
	s_waitcnt lgkmcnt(5)
	v_fma_f32 v8, -v29, v66, v8
	s_waitcnt lgkmcnt(1)
	v_fma_f32 v10, -v6, v50, v10
	v_fma_f32 v9, -v7, v9, v10
	;; [unrolled: 1-line block ×4, first 2 shown]
	s_waitcnt lgkmcnt(0)
	v_fma_f32 v9, -v14, v58, v9
	v_fma_f32 v8, -v30, v61, v8
	ds_read_b64 v[60:61], v44 offset:1224
	v_fma_f32 v9, -v15, v55, v9
	ds_read_b64 v[54:55], v44 offset:2120
	v_mov_b32_e32 v10, 0xa74
	v_fma_f32 v9, -v16, v32, v9
	v_fma_f32 v9, -v17, v69, v9
	ds_read2_b32 v[68:69], v10 offset1:1
	ds_read_b64 v[62:63], v44 offset:1672
	s_waitcnt lgkmcnt(3)
	v_fma_f32 v9, -v18, v60, v9
	v_mul_f32_e32 v31, v24, v31
	v_mov_b32_e32 v10, 0xb54
	v_fma_f32 v9, -v19, v35, v9
	v_fma_f32 v66, -v31, v25, v34
	ds_read2_b32 v[34:35], v10 offset1:1
	s_waitcnt lgkmcnt(2)
	v_fma_f32 v10, -v31, v68, v8
	v_fma_f32 v8, -v0, v42, v9
	;; [unrolled: 1-line block ×3, first 2 shown]
	s_waitcnt lgkmcnt(1)
	v_fma_f32 v8, -v2, v62, v8
	ds_read_b128 v[24:27], v44 offset:2784
	v_fma_f32 v8, -v3, v41, v8
	ds_read_b64 v[40:41], v44 offset:2568
	v_fma_f32 v8, -v20, v48, v8
	v_fma_f32 v8, -v21, v73, v8
	;; [unrolled: 1-line block ×4, first 2 shown]
	s_waitcnt lgkmcnt(1)
	v_mul_f32_e32 v8, v24, v66
	v_fma_f32 v9, -v8, v25, v10
	ds_read_b64 v[24:25], v44 offset:3016
	global_store_dwordx4 v[36:37], v[4:7], off
	global_store_dwordx4 v[36:37], v[12:15], off offset:16
	global_store_dwordx4 v[36:37], v[16:19], off offset:32
	;; [unrolled: 1-line block ×5, first 2 shown]
	v_mul_f32_e32 v4, v4, v11
	v_fma_f32 v10, -v28, v52, v32
	v_fma_f32 v4, v65, s16, -v4
	v_fma_f32 v10, -v29, v67, v10
	v_fma_f32 v11, -v5, v45, v4
	ds_read2_b32 v[4:5], v44 offset0:111 offset1:167
	s_waitcnt lgkmcnt(2)
	v_fma_f32 v10, -v30, v40, v10
	v_fma_f32 v10, -v31, v69, v10
	v_mul_f32_e32 v9, v34, v9
	v_fma_f32 v10, -v8, v26, v10
	v_fma_f32 v6, -v6, v51, v11
	v_add_u32_e64 v11, s8, 0
	v_fma_f32 v10, -v9, v35, v10
	ds_read2_b32 v[34:35], v11 offset0:95 offset1:151
	s_waitcnt lgkmcnt(1)
	v_fma_f32 v4, -v7, v4, v6
	v_fma_f32 v4, -v12, v57, v4
	;; [unrolled: 1-line block ×3, first 2 shown]
	s_movk_i32 s8, 0x400
	v_fma_f32 v4, -v14, v59, v4
	v_add_u32_e64 v7, s8, 0
	s_waitcnt lgkmcnt(0)
	v_fma_f32 v6, -v15, v34, v4
	ds_read2_b32 v[4:5], v7 offset0:79 offset1:135
	v_fma_f32 v6, -v16, v33, v6
	v_fma_f32 v6, -v17, v35, v6
	;; [unrolled: 1-line block ×3, first 2 shown]
	ds_read2_b32 v[6:7], v7 offset0:191 offset1:247
	s_waitcnt lgkmcnt(1)
	v_fma_f32 v4, -v19, v4, v11
	v_fma_f32 v0, -v0, v43, v4
	;; [unrolled: 1-line block ×4, first 2 shown]
	s_movk_i32 s8, 0x800
	s_waitcnt lgkmcnt(0)
	v_fma_f32 v2, -v3, v6, v0
	v_add_u32_e64 v3, s8, 0
	ds_read2_b32 v[0:1], v3 offset0:47 offset1:103
	v_fma_f32 v2, -v20, v49, v2
	v_fma_f32 v2, -v21, v7, v2
	;; [unrolled: 1-line block ×3, first 2 shown]
	ds_read2_b32 v[2:3], v3 offset0:159 offset1:215
	s_waitcnt lgkmcnt(1)
	v_fma_f32 v0, -v23, v0, v4
	v_fma_f32 v0, -v28, v53, v0
	;; [unrolled: 1-line block ×4, first 2 shown]
	s_waitcnt lgkmcnt(0)
	v_fma_f32 v0, -v31, v2, v0
	v_fma_f32 v0, -v8, v27, v0
	v_mul_f32_e32 v10, v24, v10
	v_fma_f32 v0, -v9, v3, v0
	v_fma_f32 v0, -v10, v25, v0
	v_mul_f32_e32 v11, v46, v0
	s_mov_b32 s8, 28
	global_store_dwordx4 v[36:37], v[8:11], off offset:96
.LBB34_42:
	s_cmp_lt_i32 s8, s18
	s_cbranch_scc0 .LBB34_62
; %bb.43:
	s_add_i32 s9, s8, 23
	s_cmp_ge_u32 s9, s18
	s_cbranch_scc1 .LBB34_51
; %bb.44:
	s_lshl_b32 s11, s8, 2
	v_add_co_u32_e32 v26, vcc, s11, v36
	v_addc_co_u32_e32 v27, vcc, 0, v37, vcc
	global_load_dwordx4 v[0:3], v[26:27], off
	global_load_dwordx4 v[4:7], v[26:27], off offset:16
	global_load_dwordx4 v[10:13], v[26:27], off offset:32
	global_load_dwordx4 v[14:17], v[26:27], off offset:48
	global_load_dwordx4 v[18:21], v[26:27], off offset:64
	global_load_dwordx4 v[22:25], v[26:27], off offset:80
	s_mov_b32 s10, 0
	s_andn2_b64 vcc, exec, s[6:7]
	s_waitcnt vmcnt(5)
	v_pk_mul_f32 v[0:1], v[0:1], s[16:17] op_sel_hi:[1,0]
	v_pk_mul_f32 v[2:3], v[2:3], s[16:17] op_sel_hi:[1,0]
	s_waitcnt vmcnt(4)
	v_pk_mul_f32 v[8:9], v[4:5], s[16:17] op_sel_hi:[1,0]
	v_pk_mul_f32 v[48:49], v[6:7], s[16:17] op_sel_hi:[1,0]
	;; [unrolled: 3-line block ×6, first 2 shown]
	s_cbranch_vccnz .LBB34_50
; %bb.45:
	s_max_u32 s6, s8, 1
	s_cmp_eq_u32 s6, 1
	s_cbranch_scc1 .LBB34_48
; %bb.46:
	s_and_b32 s10, s6, 28
	s_add_u32 s7, s2, s4
	s_addc_u32 s12, s3, s5
	s_add_u32 s7, s7, s0
	s_addc_u32 s12, s12, s1
	v_mov_b32_e32 v4, s12
	v_add_co_u32_e32 v5, vcc, s7, v38
	v_addc_co_u32_e32 v6, vcc, v4, v39, vcc
	v_add_co_u32_e32 v4, vcc, 4, v5
	v_addc_co_u32_e32 v5, vcc, 0, v6, vcc
	s_mov_b32 s7, 0
.LBB34_47:                              ; =>This Inner Loop Header: Depth=1
	global_load_dwordx2 v[6:7], v[4:5], off offset:-4
	v_mov_b32_e32 v78, s11
	ds_read_b128 v[10:13], v78
	ds_read_b128 v[14:17], v78 offset:16
	ds_read_b128 v[18:21], v78 offset:32
	;; [unrolled: 1-line block ×11, first 2 shown]
	s_add_i32 s7, s7, 2
	s_addk_i32 s11, 0xe0
	v_add_co_u32_e32 v4, vcc, 8, v4
	v_addc_co_u32_e32 v5, vcc, 0, v5, vcc
	s_cmp_lg_u32 s10, s7
	s_waitcnt vmcnt(0) lgkmcnt(11)
	v_pk_fma_f32 v[0:1], v[6:7], v[10:11], v[0:1] op_sel_hi:[0,1,1] neg_lo:[1,0,0] neg_hi:[1,0,0]
	v_pk_fma_f32 v[2:3], v[6:7], v[12:13], v[2:3] op_sel_hi:[0,1,1] neg_lo:[1,0,0] neg_hi:[1,0,0]
	s_waitcnt lgkmcnt(10)
	v_pk_fma_f32 v[8:9], v[6:7], v[14:15], v[8:9] op_sel_hi:[0,1,1] neg_lo:[1,0,0] neg_hi:[1,0,0]
	v_pk_fma_f32 v[10:11], v[6:7], v[16:17], v[48:49] op_sel_hi:[0,1,1] neg_lo:[1,0,0] neg_hi:[1,0,0]
	s_waitcnt lgkmcnt(9)
	;; [unrolled: 3-line block ×6, first 2 shown]
	v_pk_fma_f32 v[0:1], v[6:7], v[58:59], v[0:1] op_sel:[1,0,0] neg_lo:[1,0,0] neg_hi:[1,0,0]
	v_pk_fma_f32 v[2:3], v[6:7], v[60:61], v[2:3] op_sel:[1,0,0] neg_lo:[1,0,0] neg_hi:[1,0,0]
	s_waitcnt lgkmcnt(4)
	v_pk_fma_f32 v[8:9], v[6:7], v[62:63], v[8:9] op_sel:[1,0,0] neg_lo:[1,0,0] neg_hi:[1,0,0]
	v_pk_fma_f32 v[48:49], v[6:7], v[64:65], v[10:11] op_sel:[1,0,0] neg_lo:[1,0,0] neg_hi:[1,0,0]
	s_waitcnt lgkmcnt(3)
	;; [unrolled: 3-line block ×5, first 2 shown]
	v_pk_fma_f32 v[30:31], v[6:7], v[78:79], v[24:25] op_sel:[1,0,0] neg_lo:[1,0,0] neg_hi:[1,0,0]
	v_pk_fma_f32 v[28:29], v[6:7], v[80:81], v[28:29] op_sel:[1,0,0] neg_lo:[1,0,0] neg_hi:[1,0,0]
	s_cbranch_scc1 .LBB34_47
.LBB34_48:
	s_bitcmp0_b32 s6, 0
	s_cbranch_scc1 .LBB34_50
; %bb.49:
	s_lshl_b32 s6, s10, 2
	v_add_co_u32_e32 v4, vcc, s6, v36
	v_addc_co_u32_e32 v5, vcc, 0, v37, vcc
	global_load_dword v54, v[4:5], off
	s_mul_i32 s6, s10, 28
	s_add_i32 s6, s6, s8
	s_lshl_b32 s6, s6, 2
	v_mov_b32_e32 v50, s6
	ds_read_b128 v[4:7], v50
	ds_read_b128 v[10:13], v50 offset:16
	ds_read_b128 v[14:17], v50 offset:32
	;; [unrolled: 1-line block ×5, first 2 shown]
	s_waitcnt vmcnt(0) lgkmcnt(5)
	v_pk_fma_f32 v[0:1], v[54:55], v[4:5], v[0:1] op_sel_hi:[0,1,1] neg_lo:[1,0,0] neg_hi:[1,0,0]
	v_pk_fma_f32 v[2:3], v[54:55], v[6:7], v[2:3] op_sel_hi:[0,1,1] neg_lo:[1,0,0] neg_hi:[1,0,0]
	s_waitcnt lgkmcnt(4)
	v_pk_fma_f32 v[8:9], v[54:55], v[10:11], v[8:9] op_sel_hi:[0,1,1] neg_lo:[1,0,0] neg_hi:[1,0,0]
	v_pk_fma_f32 v[48:49], v[54:55], v[12:13], v[48:49] op_sel_hi:[0,1,1] neg_lo:[1,0,0] neg_hi:[1,0,0]
	s_waitcnt lgkmcnt(3)
	;; [unrolled: 3-line block ×5, first 2 shown]
	v_pk_fma_f32 v[30:31], v[54:55], v[50:51], v[30:31] op_sel_hi:[0,1,1] neg_lo:[1,0,0] neg_hi:[1,0,0]
	v_pk_fma_f32 v[28:29], v[54:55], v[52:53], v[28:29] op_sel_hi:[0,1,1] neg_lo:[1,0,0] neg_hi:[1,0,0]
.LBB34_50:
	s_mul_i32 s6, s8, 0x74
	v_mov_b32_e32 v60, s6
	ds_read_b128 v[14:17], v60
	ds_read_b128 v[4:7], v60 offset:16
	ds_read2_b32 v[10:11], v60 offset0:29 offset1:30
	ds_read2_b32 v[50:51], v60 offset0:31 offset1:32
	;; [unrolled: 1-line block ×4, first 2 shown]
	ds_read2_b64 v[18:21], v60 offset0:29 offset1:30
	s_add_i32 s7, s6, 0x48c
	s_waitcnt lgkmcnt(6)
	v_mul_f32_e32 v0, v14, v0
	v_fma_f32 v1, -v0, v15, v1
	s_waitcnt lgkmcnt(4)
	v_mul_f32_e32 v1, v10, v1
	v_fma_f32 v2, -v0, v16, v2
	v_fma_f32 v2, -v1, v11, v2
	ds_read2_b64 v[12:15], v60 offset0:31 offset1:32
	ds_read2_b32 v[10:11], v60 offset0:87 offset1:88
	v_fma_f32 v3, -v0, v17, v3
	ds_read2_b32 v[62:63], v60 offset0:89 offset1:90
	ds_read2_b32 v[56:57], v60 offset0:91 offset1:92
	;; [unrolled: 1-line block ×3, first 2 shown]
	ds_read_b128 v[22:25], v60 offset:464
	s_waitcnt lgkmcnt(6)
	v_mul_f32_e32 v2, v18, v2
	v_fma_f32 v3, -v1, v50, v3
	v_fma_f32 v4, -v0, v4, v8
	v_fma_f32 v3, -v2, v19, v3
	ds_read_b128 v[16:19], v60 offset:480
	v_fma_f32 v4, -v1, v51, v4
	v_fma_f32 v5, -v0, v5, v9
	s_waitcnt lgkmcnt(5)
	v_mul_f32_e32 v3, v10, v3
	v_fma_f32 v4, -v2, v20, v4
	v_fma_f32 v5, -v1, v52, v5
	;; [unrolled: 1-line block ×3, first 2 shown]
	ds_read2_b32 v[50:51], v60 offset0:107 offset1:145
	v_fma_f32 v5, -v2, v21, v5
	s_waitcnt lgkmcnt(2)
	v_mul_f32_e32 v4, v22, v4
	v_fma_f32 v5, -v3, v62, v5
	v_fma_f32 v6, -v0, v6, v48
	v_fma_f32 v5, -v4, v23, v5
	v_fma_f32 v6, -v1, v53, v6
	ds_read2_b64 v[20:23], v60 offset0:73 offset1:74
	ds_read2_b32 v[52:53], v60 offset0:174 offset1:191
	v_fma_f32 v7, -v0, v7, v49
	v_fma_f32 v6, -v2, v12, v6
	;; [unrolled: 1-line block ×5, first 2 shown]
	s_waitcnt lgkmcnt(2)
	v_mul_f32_e32 v5, v51, v5
	v_fma_f32 v6, -v4, v24, v6
	v_fma_f32 v7, -v3, v56, v7
	s_waitcnt lgkmcnt(1)
	v_fma_f32 v6, -v5, v20, v6
	v_fma_f32 v7, -v4, v25, v7
	ds_read_b128 v[8:11], v60 offset:528
	s_waitcnt lgkmcnt(1)
	v_mul_f32_e32 v6, v52, v6
	v_fma_f32 v7, -v5, v21, v7
	ds_read2_b32 v[12:13], v60 offset0:203 offset1:232
	ds_read2_b32 v[20:21], v60 offset0:175 offset1:176
	ds_read_b128 v[62:65], v60 offset:32
	ds_read2_b32 v[78:79], v60 offset0:177 offset1:178
	ds_read2_b32 v[80:81], v60 offset0:179 offset1:180
	;; [unrolled: 1-line block ×3, first 2 shown]
	s_waitcnt lgkmcnt(4)
	v_fma_f32 v7, -v6, v20, v7
	v_mul_f32_e32 v7, v12, v7
	s_waitcnt lgkmcnt(3)
	v_fma_f32 v12, -v0, v62, v46
	v_fma_f32 v12, -v1, v55, v12
	;; [unrolled: 1-line block ×4, first 2 shown]
	ds_read_b128 v[54:57], v60 offset:816
	ds_read_b128 v[70:73], v60 offset:832
	v_fma_f32 v12, -v4, v16, v12
	v_fma_f32 v12, -v5, v22, v12
	ds_read_b128 v[66:69], v60 offset:48
	v_fma_f32 v12, -v6, v21, v12
	ds_read2_b32 v[20:21], v60 offset0:37 offset1:38
	s_waitcnt lgkmcnt(3)
	v_fma_f32 v12, -v7, v54, v12
	v_mul_f32_e32 v12, v13, v12
	v_fma_f32 v13, -v0, v63, v47
	ds_read2_b32 v[62:63], v60 offset0:39 offset1:40
	ds_read2_b32 v[84:85], v60 offset0:41 offset1:42
	;; [unrolled: 1-line block ×3, first 2 shown]
	s_waitcnt lgkmcnt(3)
	v_fma_f32 v13, -v1, v20, v13
	v_fma_f32 v13, -v2, v15, v13
	;; [unrolled: 1-line block ×4, first 2 shown]
	ds_read2_b64 v[14:17], v60 offset0:33 offset1:34
	v_fma_f32 v13, -v5, v23, v13
	v_fma_f32 v20, -v0, v64, v44
	ds_read2_b64 v[46:49], v60 offset0:35 offset1:36
	ds_read2_b64 v[22:25], v60 offset0:75 offset1:76
	v_fma_f32 v20, -v1, v21, v20
	s_waitcnt lgkmcnt(2)
	v_fma_f32 v14, -v2, v14, v20
	v_fma_f32 v14, -v3, v59, v14
	;; [unrolled: 1-line block ×3, first 2 shown]
	s_waitcnt lgkmcnt(0)
	v_fma_f32 v14, -v5, v22, v14
	ds_read2_b64 v[74:77], v60 offset0:77 offset1:78
	v_fma_f32 v20, -v6, v79, v14
	v_fma_f32 v14, -v0, v65, v45
	ds_read2_b32 v[44:45], v60 offset0:95 offset1:96
	v_fma_f32 v14, -v1, v62, v14
	v_fma_f32 v14, -v2, v15, v14
	ds_read2_b32 v[58:59], v60 offset0:97 offset1:98
	ds_read2_b32 v[88:89], v60 offset0:99 offset1:100
	;; [unrolled: 1-line block ×3, first 2 shown]
	v_fma_f32 v13, -v6, v78, v13
	s_waitcnt lgkmcnt(3)
	v_fma_f32 v18, -v3, v44, v14
	ds_read2_b32 v[14:15], v60 offset0:233 offset1:234
	v_fma_f32 v13, -v7, v55, v13
	v_fma_f32 v22, -v4, v19, v18
	ds_read2_b32 v[18:19], v60 offset0:235 offset1:236
	ds_read2_b32 v[92:93], v60 offset0:237 offset1:238
	;; [unrolled: 1-line block ×3, first 2 shown]
	v_add_u32_e32 v52, 0x400, v60
	s_waitcnt lgkmcnt(3)
	v_fma_f32 v13, -v12, v14, v13
	v_fma_f32 v14, -v7, v56, v20
	;; [unrolled: 1-line block ×3, first 2 shown]
	v_add_u32_e32 v14, 0x200, v60
	ds_read2_b32 v[20:21], v14 offset0:119 offset1:133
	v_fma_f32 v14, -v5, v23, v22
	v_fma_f32 v14, -v6, v80, v14
	ds_read2_b32 v[22:23], v52 offset0:34 offset1:47
	s_waitcnt lgkmcnt(1)
	v_mul_f32_e32 v13, v21, v13
	v_fma_f32 v21, -v7, v57, v14
	ds_read_b128 v[54:57], v60 offset:496
	v_fma_f32 v14, -v0, v66, v42
	v_fma_f32 v14, -v1, v63, v14
	ds_read_b128 v[62:65], v60 offset:512
	v_fma_f32 v14, -v2, v16, v14
	v_fma_f32 v14, -v3, v45, v14
	s_waitcnt lgkmcnt(1)
	v_fma_f32 v14, -v4, v54, v14
	v_fma_f32 v14, -v5, v24, v14
	;; [unrolled: 1-line block ×6, first 2 shown]
	ds_read2_b64 v[14:17], v60 offset0:131 offset1:132
	v_fma_f32 v42, -v3, v58, v42
	v_fma_f32 v42, -v4, v55, v42
	;; [unrolled: 1-line block ×3, first 2 shown]
	ds_read2_b64 v[42:45], v60 offset0:133 offset1:134
	s_waitcnt lgkmcnt(1)
	v_fma_f32 v14, -v13, v14, v51
	v_mul_f32_e32 v14, v22, v14
	v_fma_f32 v21, -v12, v18, v21
	v_mov_b32_e32 v18, s7
	v_fma_f32 v22, -v7, v70, v24
	v_fma_f32 v22, -v12, v19, v22
	ds_read2_b32 v[18:19], v18 offset1:1
	s_add_i32 s7, s6, 0x494
	v_fma_f32 v15, -v13, v15, v21
	v_mov_b32_e32 v21, s7
	ds_read2_b32 v[24:25], v21 offset1:1
	v_fma_f32 v16, -v13, v16, v22
	s_waitcnt lgkmcnt(1)
	v_fma_f32 v21, -v14, v19, v16
	v_fma_f32 v16, -v6, v82, v54
	;; [unrolled: 1-line block ×7, first 2 shown]
	ds_read2_b32 v[66:67], v52 offset0:63 offset1:92
	v_fma_f32 v16, -v2, v46, v16
	v_fma_f32 v15, -v14, v18, v15
	;; [unrolled: 1-line block ×3, first 2 shown]
	ds_read_b128 v[16:19], v60 offset:1280
	v_fma_f32 v40, -v4, v56, v40
	s_waitcnt lgkmcnt(1)
	v_mul_f32_e32 v15, v66, v15
	v_fma_f32 v40, -v5, v74, v40
	v_fma_f32 v40, -v6, v83, v40
	s_waitcnt lgkmcnt(0)
	v_fma_f32 v21, -v15, v16, v21
	v_fma_f32 v16, -v14, v24, v22
	;; [unrolled: 1-line block ×10, first 2 shown]
	ds_read_b128 v[78:81], v60 offset:1296
	v_fma_f32 v16, -v2, v47, v16
	ds_read2_b32 v[46:47], v60 offset0:183 offset1:184
	v_fma_f32 v16, -v3, v88, v16
	s_add_i32 s7, s6, 0x49c
	v_fma_f32 v16, -v4, v57, v16
	v_mov_b32_e32 v17, s7
	v_fma_f32 v16, -v5, v75, v16
	ds_read2_b32 v[58:59], v60 offset0:185 offset1:186
	ds_read2_b32 v[82:83], v60 offset0:187 offset1:188
	;; [unrolled: 1-line block ×3, first 2 shown]
	ds_read2_b32 v[68:69], v17 offset1:1
	s_waitcnt lgkmcnt(4)
	v_fma_f32 v16, -v6, v46, v16
	ds_read_b128 v[54:57], v60 offset:64
	v_fma_f32 v16, -v7, v73, v16
	v_fma_f32 v16, -v12, v94, v16
	ds_read2_b32 v[70:71], v60 offset0:45 offset1:46
	v_fma_f32 v16, -v13, v43, v16
	s_waitcnt lgkmcnt(2)
	v_fma_f32 v16, -v14, v68, v16
	v_fma_f32 v61, -v15, v19, v16
	ds_read_b128 v[16:19], v60 offset:80
	s_waitcnt lgkmcnt(2)
	v_fma_f32 v34, -v0, v54, v34
	v_fma_f32 v34, -v1, v87, v34
	;; [unrolled: 1-line block ×4, first 2 shown]
	s_waitcnt lgkmcnt(1)
	v_fma_f32 v40, -v1, v70, v40
	v_fma_f32 v46, -v3, v89, v34
	ds_read2_b32 v[84:85], v60 offset0:47 offset1:48
	ds_read2_b32 v[34:35], v60 offset0:49 offset1:50
	ds_read_b32 v102, v60 offset:204
	v_fma_f32 v54, -v2, v49, v40
	ds_read_b128 v[40:43], v60 offset:848
	v_fma_f32 v46, -v4, v62, v46
	v_fma_f32 v46, -v5, v76, v46
	;; [unrolled: 1-line block ×3, first 2 shown]
	ds_read_b128 v[46:49], v60 offset:864
	s_waitcnt lgkmcnt(1)
	v_fma_f32 v40, -v7, v40, v55
	v_fma_f32 v40, -v12, v95, v40
	;; [unrolled: 1-line block ×4, first 2 shown]
	ds_read2_b32 v[72:73], v60 offset0:241 offset1:242
	v_fma_f32 v40, -v4, v63, v40
	v_fma_f32 v40, -v5, v77, v40
	;; [unrolled: 1-line block ×4, first 2 shown]
	s_waitcnt lgkmcnt(0)
	v_fma_f32 v40, -v12, v72, v40
	s_add_i32 s7, s6, 0x574
	v_fma_f32 v58, -v13, v45, v40
	v_mov_b32_e32 v40, s7
	ds_read2_b32 v[86:87], v60 offset0:243 offset1:244
	ds_read2_b32 v[88:89], v60 offset0:245 offset1:246
	ds_read2_b32 v[44:45], v40 offset1:1
	ds_read2_b32 v[92:93], v52 offset0:103 offset1:121
	s_add_i32 s7, s6, 0x57c
	v_mul_f32_e32 v40, v67, v21
	v_mov_b32_e32 v41, s7
	s_waitcnt lgkmcnt(1)
	v_fma_f32 v21, -v40, v44, v22
	v_fma_f32 v22, -v40, v45, v51
	ds_read2_b32 v[44:45], v41 offset1:1
	v_fma_f32 v51, -v14, v69, v55
	s_waitcnt lgkmcnt(1)
	v_mul_f32_e32 v41, v93, v21
	v_fma_f32 v21, -v0, v56, v32
	v_fma_f32 v62, -v0, v57, v33
	ds_read2_b64 v[54:57], v60 offset0:189 offset1:190
	ds_read_b128 v[66:69], v60 offset:1312
	s_waitcnt lgkmcnt(2)
	v_fma_f32 v32, -v40, v44, v61
	v_fma_f32 v33, -v15, v78, v51
	s_add_i32 s7, s6, 0x4a4
	v_fma_f32 v33, -v40, v45, v33
	s_waitcnt lgkmcnt(1)
	v_fma_f32 v51, -v41, v55, v32
	v_mov_b32_e32 v32, s7
	v_fma_f32 v61, -v41, v56, v33
	ds_read2_b32 v[32:33], v32 offset1:1
	s_add_i32 s7, s6, 0x584
	v_mov_b32_e32 v44, s7
	ds_read2_b32 v[74:75], v44 offset1:1
	v_fma_f32 v22, -v41, v54, v22
	s_waitcnt lgkmcnt(1)
	v_fma_f32 v32, -v14, v32, v58
	v_fma_f32 v32, -v15, v79, v32
	;; [unrolled: 1-line block ×3, first 2 shown]
	s_waitcnt lgkmcnt(0)
	v_fma_f32 v32, -v40, v74, v32
	v_fma_f32 v72, -v41, v57, v32
	ds_read_b64 v[94:95], v60 offset:312
	ds_read2_b64 v[54:57], v60 offset0:37 offset1:38
	v_fma_f32 v32, -v1, v84, v62
	s_add_i32 s7, s6, 0x4ac
	v_fma_f32 v16, -v0, v16, v30
	v_fma_f32 v16, -v1, v85, v16
	s_waitcnt lgkmcnt(0)
	v_fma_f32 v21, -v2, v54, v21
	v_fma_f32 v21, -v3, v91, v21
	;; [unrolled: 1-line block ×3, first 2 shown]
	ds_read2_b32 v[54:55], v60 offset0:103 offset1:104
	ds_read2_b32 v[90:91], v60 offset0:105 offset1:106
	v_fma_f32 v21, -v4, v64, v21
	v_fma_f32 v17, -v0, v17, v31
	;; [unrolled: 1-line block ×3, first 2 shown]
	s_waitcnt lgkmcnt(1)
	v_fma_f32 v32, -v3, v54, v32
	v_fma_f32 v32, -v4, v65, v32
	ds_read_b64 v[96:97], v60 offset:648
	ds_read2_b64 v[62:65], v60 offset0:79 offset1:80
	v_fma_f32 v16, -v1, v34, v17
	v_fma_f32 v34, -v2, v57, v16
	;; [unrolled: 1-line block ×4, first 2 shown]
	s_waitcnt lgkmcnt(0)
	v_fma_f32 v21, -v5, v62, v21
	v_fma_f32 v32, -v5, v63, v32
	;; [unrolled: 1-line block ×6, first 2 shown]
	ds_read_b64 v[58:59], v60 offset:1096
	ds_read2_b64 v[42:45], v60 offset0:135 offset1:136
	v_fma_f32 v21, -v12, v73, v21
	v_fma_f32 v32, -v12, v86, v32
	ds_read2_b32 v[62:63], v52 offset0:150 offset1:159
	s_waitcnt lgkmcnt(1)
	v_fma_f32 v21, -v13, v42, v21
	v_fma_f32 v42, -v13, v43, v32
	v_mov_b32_e32 v32, s7
	v_fma_f32 v21, -v14, v33, v21
	ds_read2_b32 v[32:33], v32 offset1:1
	s_add_i32 s7, s6, 0x65c
	v_fma_f32 v21, -v15, v80, v21
	v_fma_f32 v21, -v40, v75, v21
	s_waitcnt lgkmcnt(0)
	v_fma_f32 v32, -v14, v32, v42
	v_mul_f32_e32 v42, v62, v22
	v_mov_b32_e32 v22, s7
	s_add_i32 s7, s6, 0x664
	v_mov_b32_e32 v43, s7
	ds_read2_b32 v[70:71], v22 offset1:1
	ds_read2_b32 v[74:75], v43 offset1:1
	v_fma_f32 v32, -v15, v81, v32
	s_add_i32 s7, s6, 0x58c
	s_waitcnt lgkmcnt(1)
	v_fma_f32 v22, -v42, v70, v51
	v_fma_f32 v51, -v42, v71, v61
	s_waitcnt lgkmcnt(0)
	v_fma_f32 v54, -v42, v74, v72
	ds_read_b64 v[98:99], v60 offset:1544
	ds_read2_b64 v[70:73], v60 offset0:191 offset1:192
	ds_read2_b32 v[100:101], v52 offset0:179 offset1:208
	s_waitcnt lgkmcnt(1)
	v_fma_f32 v21, -v41, v70, v21
	v_fma_f32 v21, -v42, v75, v21
	ds_read_b128 v[74:77], v60 offset:1744
	ds_read_b128 v[78:81], v60 offset:1760
	s_waitcnt lgkmcnt(2)
	v_mul_f32_e32 v43, v100, v22
	s_waitcnt lgkmcnt(1)
	v_fma_f32 v22, -v43, v74, v51
	v_fma_f32 v51, -v43, v75, v54
	v_mov_b32_e32 v54, s7
	s_add_i32 s7, s6, 0x66c
	ds_read2_b32 v[74:75], v54 offset1:1
	v_mov_b32_e32 v54, s7
	s_add_i32 s7, s6, 0x744
	v_mov_b32_e32 v16, s7
	ds_read2_b32 v[16:17], v16 offset1:1
	v_mul_f32_e32 v30, v101, v22
	s_waitcnt lgkmcnt(1)
	v_fma_f32 v32, -v40, v74, v32
	v_fma_f32 v32, -v41, v71, v32
	ds_read2_b32 v[70:71], v54 offset1:1
	s_waitcnt lgkmcnt(1)
	v_fma_f32 v22, -v30, v16, v51
	v_fma_f32 v16, -v3, v55, v31
	;; [unrolled: 1-line block ×8, first 2 shown]
	s_add_i32 s7, s6, 0x74c
	v_fma_f32 v21, -v43, v76, v21
	v_fma_f32 v8, -v14, v33, v8
	v_mov_b32_e32 v16, s7
	v_fma_f32 v21, -v30, v17, v21
	v_fma_f32 v8, -v15, v66, v8
	ds_read2_b32 v[16:17], v16 offset1:1
	v_fma_f32 v8, -v40, v75, v8
	v_fma_f32 v8, -v41, v72, v8
	s_waitcnt lgkmcnt(1)
	v_fma_f32 v32, -v42, v70, v32
	v_fma_f32 v8, -v42, v71, v8
	;; [unrolled: 1-line block ×4, first 2 shown]
	s_waitcnt lgkmcnt(0)
	v_fma_f32 v32, -v30, v16, v32
	v_fma_f32 v33, -v30, v17, v8
	ds_read2_b32 v[16:17], v52 offset0:215 offset1:237
	v_fma_f32 v8, -v3, v90, v34
	v_fma_f32 v8, -v4, v9, v8
	;; [unrolled: 1-line block ×4, first 2 shown]
	s_add_i32 s7, s6, 0x4b4
	s_waitcnt lgkmcnt(0)
	v_mul_f32_e32 v31, v17, v22
	v_fma_f32 v17, -v7, v47, v8
	v_mov_b32_e32 v8, s7
	ds_read2_b32 v[8:9], v8 offset1:1
	s_add_i32 s7, s6, 0x594
	v_mov_b32_e32 v22, s7
	ds_read2_b32 v[54:55], v22 offset1:1
	v_fma_f32 v17, -v12, v88, v17
	v_fma_f32 v17, -v13, v45, v17
	s_add_i32 s7, s6, 0x674
	s_waitcnt lgkmcnt(1)
	v_fma_f32 v8, -v14, v8, v17
	v_mov_b32_e32 v17, s7
	s_add_i32 s7, s6, 0x754
	ds_read2_b64 v[44:47], v60 offset0:247 offset1:248
	ds_read2_b32 v[56:57], v17 offset1:1
	ds_read_b64 v[64:65], v60 offset:1992
	v_mov_b32_e32 v24, s7
	v_fma_f32 v8, -v15, v67, v8
	ds_read2_b32 v[66:67], v24 offset1:1
	s_waitcnt lgkmcnt(4)
	v_fma_f32 v8, -v40, v54, v8
	v_fma_f32 v8, -v41, v73, v8
	s_waitcnt lgkmcnt(2)
	v_fma_f32 v8, -v42, v56, v8
	v_fma_f32 v8, -v43, v79, v8
	s_waitcnt lgkmcnt(0)
	v_fma_f32 v8, -v30, v66, v8
	v_add_u32_e32 v52, 0x800, v60
	s_add_i32 s7, s6, 0x82c
	v_fma_f32 v51, -v31, v47, v8
	ds_read2_b32 v[70:71], v52 offset0:10 offset1:15
	v_mov_b32_e32 v8, s7
	v_fma_f32 v17, -v31, v44, v21
	v_fma_f32 v21, -v31, v45, v32
	ds_read2_b32 v[44:45], v8 offset1:1
	ds_read2_b32 v[34:35], v52 offset0:39 offset1:68
	s_waitcnt lgkmcnt(2)
	v_mul_f32_e32 v32, v70, v17
	global_store_dwordx4 v[26:27], v[0:3], off
	global_store_dwordx4 v[26:27], v[4:7], off offset:16
	global_store_dwordx4 v[26:27], v[12:15], off offset:32
	;; [unrolled: 1-line block ×3, first 2 shown]
	v_fma_f32 v0, -v0, v19, v29
	s_waitcnt lgkmcnt(1)
	v_fma_f32 v8, -v32, v44, v21
	v_fma_f32 v22, -v31, v46, v33
	s_waitcnt lgkmcnt(0)
	v_mul_f32_e32 v33, v34, v8
	v_fma_f32 v8, -v2, v94, v18
	v_fma_f32 v0, -v1, v102, v0
	;; [unrolled: 1-line block ×10, first 2 shown]
	ds_read_b128 v[44:47], v60 offset:2208
	ds_read_b64 v[24:25], v60 offset:2440
	v_fma_f32 v0, -v5, v97, v0
	v_fma_f32 v8, -v7, v48, v8
	;; [unrolled: 1-line block ×7, first 2 shown]
	s_add_i32 s7, s8, 24
	s_add_i32 s8, s6, 0x834
	v_fma_f32 v8, -v14, v9, v8
	v_fma_f32 v0, -v13, v59, v0
	s_waitcnt lgkmcnt(1)
	v_fma_f32 v10, -v33, v44, v17
	v_mov_b32_e32 v17, s8
	v_fma_f32 v8, -v15, v68, v8
	v_fma_f32 v0, -v14, v23, v0
	ds_read2_b32 v[60:61], v17 offset1:1
	s_addk_i32 s6, 0x914
	v_fma_f32 v8, -v40, v55, v8
	v_fma_f32 v0, -v15, v69, v0
	v_mov_b32_e32 v9, s6
	v_fma_f32 v8, -v41, v98, v8
	v_fma_f32 v0, -v40, v92, v0
	ds_read2_b32 v[54:55], v9 offset1:1
	v_fma_f32 v17, -v42, v57, v8
	v_fma_f32 v0, -v41, v99, v0
	ds_read2_b32 v[56:57], v52 offset0:71 offset1:97
	v_mul_f32_e32 v8, v35, v10
	v_fma_f32 v10, -v43, v80, v17
	v_fma_f32 v0, -v42, v63, v0
	;; [unrolled: 1-line block ×4, first 2 shown]
	s_waitcnt lgkmcnt(2)
	v_fma_f32 v9, -v32, v60, v51
	v_fma_f32 v10, -v31, v64, v10
	ds_read2_b32 v[34:35], v52 offset0:126 offset1:127
	v_fma_f32 v0, -v30, v16, v0
	s_mul_i32 s6, s9, 0x74
	v_fma_f32 v9, -v33, v45, v9
	v_fma_f32 v10, -v32, v61, v10
	;; [unrolled: 1-line block ×3, first 2 shown]
	v_mov_b32_e32 v1, s6
	s_waitcnt lgkmcnt(2)
	v_fma_f32 v9, -v8, v54, v9
	v_fma_f32 v10, -v33, v46, v10
	;; [unrolled: 1-line block ×3, first 2 shown]
	ds_read_b32 v1, v1
	s_waitcnt lgkmcnt(2)
	v_mul_f32_e32 v9, v57, v9
	v_fma_f32 v10, -v8, v55, v10
	v_fma_f32 v0, -v33, v47, v0
	;; [unrolled: 1-line block ×4, first 2 shown]
	s_waitcnt lgkmcnt(1)
	v_mul_f32_e32 v10, v34, v10
	v_fma_f32 v0, -v9, v25, v0
	v_fma_f32 v0, -v10, v35, v0
	s_waitcnt lgkmcnt(0)
	v_mul_f32_e32 v11, v1, v0
	s_mov_b32 s8, s7
	global_store_dwordx4 v[26:27], v[30:33], off offset:64
	global_store_dwordx4 v[26:27], v[8:11], off offset:80
.LBB34_51:
	s_cmp_ge_i32 s8, s18
	s_cbranch_scc1 .LBB34_62
; %bb.52:
	s_add_i32 s6, s8, -1
	s_lshl_b32 s7, s8, 2
	s_add_u32 s2, s2, s4
	s_addc_u32 s3, s3, s5
	s_add_u32 s0, s2, s0
	s_addc_u32 s1, s3, s1
	v_mov_b32_e32 v0, s1
	v_add_co_u32_e32 v6, vcc, s0, v38
	v_addc_co_u32_e32 v7, vcc, v0, v39, vcc
	v_add_co_u32_e32 v0, vcc, 28, v6
	v_addc_co_u32_e32 v1, vcc, 0, v7, vcc
	s_mov_b32 s1, 0
	s_mov_b32 s3, s8
	;; [unrolled: 1-line block ×3, first 2 shown]
	s_branch .LBB34_54
.LBB34_53:                              ;   in Loop: Header=BB34_54 Depth=1
	s_mul_i32 s0, s8, 0x74
	v_mov_b32_e32 v4, s0
	ds_read_b32 v4, v4
	s_add_i32 s8, s8, 1
	s_add_i32 s2, s2, 1
	;; [unrolled: 1-line block ×3, first 2 shown]
	v_add_u16_e64 v5, s3, 1
	s_waitcnt lgkmcnt(0)
	v_mul_f32_e32 v4, v4, v8
	s_cmp_ge_i32 s8, s18
	v_readfirstlane_b32 s3, v5
	global_store_dword v[2:3], v4, off
	s_cbranch_scc1 .LBB34_62
.LBB34_54:                              ; =>This Loop Header: Depth=1
                                        ;     Child Loop BB34_57 Depth 2
                                        ;     Child Loop BB34_61 Depth 2
	s_ashr_i32 s9, s8, 31
	s_lshl_b64 s[4:5], s[8:9], 2
	v_mov_b32_e32 v3, s5
	v_add_co_u32_e32 v2, vcc, s4, v36
	v_addc_co_u32_e32 v3, vcc, v37, v3, vcc
	global_load_dword v4, v[2:3], off
	s_cmp_eq_u32 s8, 0
	s_waitcnt vmcnt(0)
	v_mul_f32_e32 v8, s16, v4
	s_cbranch_scc1 .LBB34_53
; %bb.55:                               ;   in Loop: Header=BB34_54 Depth=1
	s_add_i32 s0, s6, s2
	s_cmp_lt_u32 s0, 7
	s_cbranch_scc1 .LBB34_59
; %bb.56:                               ;   in Loop: Header=BB34_54 Depth=1
	s_and_b32 s0, s8, -8
	s_mov_b32 s4, 0
	v_pk_mov_b32 v[4:5], v[0:1], v[0:1] op_sel:[0,1]
	s_mov_b32 s5, s7
.LBB34_57:                              ;   Parent Loop BB34_54 Depth=1
                                        ; =>  This Inner Loop Header: Depth=2
	global_load_dwordx4 v[10:13], v[4:5], off offset:-28
	global_load_dwordx4 v[14:17], v[4:5], off offset:-12
	v_mov_b32_e32 v9, s5
	ds_read2_b32 v[18:19], v9 offset1:28
	ds_read2_b32 v[20:21], v9 offset0:56 offset1:84
	ds_read2_b32 v[22:23], v9 offset0:112 offset1:140
	;; [unrolled: 1-line block ×3, first 2 shown]
	s_add_i32 s4, s4, 8
	s_addk_i32 s5, 0x380
	v_add_co_u32_e32 v4, vcc, 32, v4
	v_addc_co_u32_e32 v5, vcc, 0, v5, vcc
	s_cmp_lg_u32 s0, s4
	s_waitcnt vmcnt(1) lgkmcnt(3)
	v_fma_f32 v8, -v10, v18, v8
	v_fma_f32 v8, -v11, v19, v8
	s_waitcnt lgkmcnt(2)
	v_fma_f32 v8, -v12, v20, v8
	v_fma_f32 v8, -v13, v21, v8
	s_waitcnt vmcnt(0) lgkmcnt(1)
	v_fma_f32 v8, -v14, v22, v8
	v_fma_f32 v8, -v15, v23, v8
	s_waitcnt lgkmcnt(0)
	v_fma_f32 v8, -v16, v24, v8
	v_fma_f32 v8, -v17, v25, v8
	s_cbranch_scc1 .LBB34_57
; %bb.58:                               ;   in Loop: Header=BB34_54 Depth=1
	s_and_b32 s4, s8, 7
	s_cmp_eq_u32 s4, 0
	s_cbranch_scc0 .LBB34_60
	s_branch .LBB34_53
.LBB34_59:                              ;   in Loop: Header=BB34_54 Depth=1
	s_mov_b32 s0, 0
	s_and_b32 s4, s8, 7
	s_cmp_eq_u32 s4, 0
	s_cbranch_scc1 .LBB34_53
.LBB34_60:                              ;   in Loop: Header=BB34_54 Depth=1
	s_lshl_b64 s[10:11], s[0:1], 2
	v_mov_b32_e32 v5, s11
	v_add_co_u32_e32 v4, vcc, s10, v6
	s_and_b32 s4, s3, 7
	s_mul_i32 s5, s0, 0x70
	v_addc_co_u32_e32 v5, vcc, v7, v5, vcc
.LBB34_61:                              ;   Parent Loop BB34_54 Depth=1
                                        ; =>  This Inner Loop Header: Depth=2
	global_load_dword v9, v[4:5], off
	s_add_i32 s0, s7, s5
	v_mov_b32_e32 v10, s0
	ds_read_b32 v10, v10
	s_addk_i32 s5, 0x70
	v_add_co_u32_e32 v4, vcc, 4, v4
	s_add_i32 s4, s4, -1
	v_addc_co_u32_e32 v5, vcc, 0, v5, vcc
	s_cmp_lg_u32 s4, 0
	s_waitcnt vmcnt(0) lgkmcnt(0)
	v_fma_f32 v8, -v9, v10, v8
	s_cbranch_scc1 .LBB34_61
	s_branch .LBB34_53
.LBB34_62:
	s_endpgm
	.section	.rodata,"a",@progbits
	.p2align	6, 0x0
	.amdhsa_kernel _ZL30rocblas_trsm_small_left_deviceILi28ELi28ELb1EffPKfPfEv13rocblas_fill_18rocblas_operation_17rocblas_diagonal_iiT3_T4_lilT5_lili
		.amdhsa_group_segment_fixed_size 3136
		.amdhsa_private_segment_fixed_size 0
		.amdhsa_kernarg_size 352
		.amdhsa_user_sgpr_count 6
		.amdhsa_user_sgpr_private_segment_buffer 1
		.amdhsa_user_sgpr_dispatch_ptr 0
		.amdhsa_user_sgpr_queue_ptr 0
		.amdhsa_user_sgpr_kernarg_segment_ptr 1
		.amdhsa_user_sgpr_dispatch_id 0
		.amdhsa_user_sgpr_flat_scratch_init 0
		.amdhsa_user_sgpr_kernarg_preload_length 0
		.amdhsa_user_sgpr_kernarg_preload_offset 0
		.amdhsa_user_sgpr_private_segment_size 0
		.amdhsa_uses_dynamic_stack 0
		.amdhsa_system_sgpr_private_segment_wavefront_offset 0
		.amdhsa_system_sgpr_workgroup_id_x 1
		.amdhsa_system_sgpr_workgroup_id_y 0
		.amdhsa_system_sgpr_workgroup_id_z 1
		.amdhsa_system_sgpr_workgroup_info 0
		.amdhsa_system_vgpr_workitem_id 0
		.amdhsa_next_free_vgpr 103
		.amdhsa_next_free_sgpr 43
		.amdhsa_accum_offset 104
		.amdhsa_reserve_vcc 1
		.amdhsa_reserve_flat_scratch 0
		.amdhsa_float_round_mode_32 0
		.amdhsa_float_round_mode_16_64 0
		.amdhsa_float_denorm_mode_32 3
		.amdhsa_float_denorm_mode_16_64 3
		.amdhsa_dx10_clamp 1
		.amdhsa_ieee_mode 1
		.amdhsa_fp16_overflow 0
		.amdhsa_tg_split 0
		.amdhsa_exception_fp_ieee_invalid_op 0
		.amdhsa_exception_fp_denorm_src 0
		.amdhsa_exception_fp_ieee_div_zero 0
		.amdhsa_exception_fp_ieee_overflow 0
		.amdhsa_exception_fp_ieee_underflow 0
		.amdhsa_exception_fp_ieee_inexact 0
		.amdhsa_exception_int_div_zero 0
	.end_amdhsa_kernel
	.section	.text._ZL30rocblas_trsm_small_left_deviceILi28ELi28ELb1EffPKfPfEv13rocblas_fill_18rocblas_operation_17rocblas_diagonal_iiT3_T4_lilT5_lili,"axG",@progbits,_ZL30rocblas_trsm_small_left_deviceILi28ELi28ELb1EffPKfPfEv13rocblas_fill_18rocblas_operation_17rocblas_diagonal_iiT3_T4_lilT5_lili,comdat
.Lfunc_end34:
	.size	_ZL30rocblas_trsm_small_left_deviceILi28ELi28ELb1EffPKfPfEv13rocblas_fill_18rocblas_operation_17rocblas_diagonal_iiT3_T4_lilT5_lili, .Lfunc_end34-_ZL30rocblas_trsm_small_left_deviceILi28ELi28ELb1EffPKfPfEv13rocblas_fill_18rocblas_operation_17rocblas_diagonal_iiT3_T4_lilT5_lili
                                        ; -- End function
	.section	.AMDGPU.csdata,"",@progbits
; Kernel info:
; codeLenInByte = 27924
; NumSgprs: 47
; NumVgprs: 103
; NumAgprs: 0
; TotalNumVgprs: 103
; ScratchSize: 0
; MemoryBound: 1
; FloatMode: 240
; IeeeMode: 1
; LDSByteSize: 3136 bytes/workgroup (compile time only)
; SGPRBlocks: 5
; VGPRBlocks: 12
; NumSGPRsForWavesPerEU: 47
; NumVGPRsForWavesPerEU: 103
; AccumOffset: 104
; Occupancy: 4
; WaveLimiterHint : 0
; COMPUTE_PGM_RSRC2:SCRATCH_EN: 0
; COMPUTE_PGM_RSRC2:USER_SGPR: 6
; COMPUTE_PGM_RSRC2:TRAP_HANDLER: 0
; COMPUTE_PGM_RSRC2:TGID_X_EN: 1
; COMPUTE_PGM_RSRC2:TGID_Y_EN: 0
; COMPUTE_PGM_RSRC2:TGID_Z_EN: 1
; COMPUTE_PGM_RSRC2:TIDIG_COMP_CNT: 0
; COMPUTE_PGM_RSRC3_GFX90A:ACCUM_OFFSET: 25
; COMPUTE_PGM_RSRC3_GFX90A:TG_SPLIT: 0
	.section	.text._ZL31rocblas_trsm_small_right_deviceIffPKfPfLi28EEv13rocblas_fill_18rocblas_operation_17rocblas_diagonal_iiT0_T1_lilT2_lili,"axG",@progbits,_ZL31rocblas_trsm_small_right_deviceIffPKfPfLi28EEv13rocblas_fill_18rocblas_operation_17rocblas_diagonal_iiT0_T1_lilT2_lili,comdat
	.globl	_ZL31rocblas_trsm_small_right_deviceIffPKfPfLi28EEv13rocblas_fill_18rocblas_operation_17rocblas_diagonal_iiT0_T1_lilT2_lili ; -- Begin function _ZL31rocblas_trsm_small_right_deviceIffPKfPfLi28EEv13rocblas_fill_18rocblas_operation_17rocblas_diagonal_iiT0_T1_lilT2_lili
	.p2align	8
	.type	_ZL31rocblas_trsm_small_right_deviceIffPKfPfLi28EEv13rocblas_fill_18rocblas_operation_17rocblas_diagonal_iiT0_T1_lilT2_lili,@function
_ZL31rocblas_trsm_small_right_deviceIffPKfPfLi28EEv13rocblas_fill_18rocblas_operation_17rocblas_diagonal_iiT0_T1_lilT2_lili: ; @_ZL31rocblas_trsm_small_right_deviceIffPKfPfLi28EEv13rocblas_fill_18rocblas_operation_17rocblas_diagonal_iiT0_T1_lilT2_lili
; %bb.0:
	s_load_dwordx4 s[8:11], s[4:5], 0x0
	s_load_dwordx2 s[18:19], s[4:5], 0x10
	s_load_dwordx4 s[0:3], s[4:5], 0x30
	s_load_dwordx2 s[16:17], s[4:5], 0x40
	s_mov_b32 s27, 0
	s_waitcnt lgkmcnt(0)
	s_min_i32 s26, s18, 28
	v_cmp_gt_i32_e32 vcc, s26, v0
	s_and_saveexec_b64 s[20:21], vcc
	s_cbranch_execz .LBB35_14
; %bb.1:
	s_load_dword s22, s[4:5], 0x28
	s_load_dwordx4 s[12:15], s[4:5], 0x18
	s_cmp_gt_u32 s26, 1
	s_cselect_b64 s[24:25], -1, 0
	s_mov_b32 s23, 1
	s_waitcnt lgkmcnt(0)
	s_cmp_eq_u32 s22, 1
	s_cselect_b64 s[28:29], -1, 0
	s_and_b64 s[28:29], s[24:25], s[28:29]
	s_mov_b64 s[24:25], -1
	s_and_b64 vcc, exec, s[28:29]
	s_cbranch_vccz .LBB35_9
; %bb.2:
	s_add_i32 s24, s26, -2
	s_lshr_b32 s25, s24, 1
	s_add_i32 s25, s25, 1
	s_cmp_lt_u32 s24, 14
	s_mov_b32 s24, s27
	s_cbranch_scc1 .LBB35_5
; %bb.3:
	s_mul_i32 s23, s1, s7
	s_mul_hi_u32 s24, s0, s7
	s_add_i32 s31, s24, s23
	s_mul_i32 s30, s0, s7
	s_and_b32 s28, s25, -8
	s_lshl_b64 s[30:31], s[30:31], 2
	s_lshl_b64 s[34:35], s[14:15], 2
	s_add_u32 s23, s30, s34
	s_addc_u32 s24, s31, s35
	s_add_u32 s23, s12, s23
	v_lshlrev_b32_e32 v1, 2, v0
	s_addc_u32 s24, s13, s24
	v_mov_b32_e32 v2, s24
	v_add_co_u32_e32 v1, vcc, s23, v1
	v_addc_co_u32_e32 v3, vcc, 0, v2, vcc
	v_add_co_u32_e32 v2, vcc, 56, v1
	v_addc_co_u32_e32 v3, vcc, 0, v3, vcc
	s_mov_b32 s23, 1
	s_mov_b32 s24, 0
.LBB35_4:                               ; =>This Inner Loop Header: Depth=1
	global_load_dwordx4 v[4:7], v[2:3], off offset:-56
	global_load_dwordx4 v[8:11], v[2:3], off offset:-40
	;; [unrolled: 1-line block ×4, first 2 shown]
	s_mul_i32 s29, s23, 28
	s_mul_i32 s30, s27, 28
	s_add_i32 s24, s24, 16
	s_add_i32 s23, s23, 16
	;; [unrolled: 1-line block ×3, first 2 shown]
	s_add_i32 s28, s28, -8
	v_add_co_u32_e32 v2, vcc, 64, v2
	v_add_lshl_u32 v1, s30, v0, 2
	v_add_lshl_u32 v20, s29, v0, 2
	s_add_i32 s31, s29, 56
	s_add_i32 s33, s30, 56
	;; [unrolled: 1-line block ×12, first 2 shown]
	s_addk_i32 s29, 0x188
	s_addk_i32 s30, 0x188
	v_addc_co_u32_e32 v3, vcc, 0, v3, vcc
	s_cmp_lg_u32 s28, 0
	v_add_lshl_u32 v21, s33, v0, 2
	v_add_lshl_u32 v22, s31, v0, 2
	;; [unrolled: 1-line block ×14, first 2 shown]
	s_waitcnt vmcnt(3)
	ds_write_b32 v1, v4
	ds_write_b32 v20, v5
	ds_write_b32 v21, v6
	ds_write_b32 v22, v7
	s_waitcnt vmcnt(2)
	ds_write_b32 v23, v8
	ds_write_b32 v24, v9
	ds_write_b32 v25, v10
	ds_write_b32 v26, v11
	;; [unrolled: 5-line block ×4, first 2 shown]
	s_cbranch_scc1 .LBB35_4
.LBB35_5:
	s_and_b32 s28, s25, 7
	s_cmp_eq_u32 s28, 0
	s_mov_b32 s25, 0
	s_cbranch_scc1 .LBB35_8
; %bb.6:
	s_mul_i32 s29, s1, s7
	s_mul_hi_u32 s30, s0, s7
	s_add_i32 s31, s30, s29
	s_mul_i32 s30, s0, s7
	s_lshl_b64 s[30:31], s[30:31], 2
	s_lshl_b64 s[34:35], s[14:15], 2
	s_add_u32 s29, s30, s34
	s_addc_u32 s30, s31, s35
	s_lshl_b64 s[24:25], s[24:25], 2
	s_add_u32 s24, s12, s24
	s_addc_u32 s25, s13, s25
	s_add_u32 s24, s24, s29
	v_lshlrev_b32_e32 v1, 2, v0
	s_addc_u32 s25, s25, s30
	v_mov_b32_e32 v3, s25
	v_add_co_u32_e32 v2, vcc, s24, v1
	v_addc_co_u32_e32 v3, vcc, 0, v3, vcc
	s_lshl_b32 s24, s28, 3
.LBB35_7:                               ; =>This Inner Loop Header: Depth=1
	global_load_dwordx2 v[4:5], v[2:3], off
	s_mul_i32 s25, s23, 28
	s_mul_i32 s28, s27, 28
	s_add_i32 s23, s23, 2
	s_add_i32 s27, s27, 2
	v_add_co_u32_e32 v2, vcc, 8, v2
	s_add_i32 s24, s24, -8
	v_addc_co_u32_e32 v3, vcc, 0, v3, vcc
	v_add_lshl_u32 v1, s28, v0, 2
	s_cmp_lg_u32 s24, 0
	v_add_lshl_u32 v6, s25, v0, 2
	s_waitcnt vmcnt(0)
	ds_write_b32 v1, v4
	ds_write_b32 v6, v5
	s_cbranch_scc1 .LBB35_7
.LBB35_8:
	s_and_b32 s27, s26, -2
	s_cmp_lg_u32 s26, s27
	s_cselect_b64 s[24:25], -1, 0
.LBB35_9:
	s_and_b64 vcc, exec, s[24:25]
	s_cbranch_vccz .LBB35_12
; %bb.10:
	s_ashr_i32 s23, s22, 31
	s_mul_i32 s1, s1, s7
	s_mul_hi_u32 s24, s0, s7
	s_add_i32 s1, s24, s1
	s_mul_hi_u32 s24, s22, s27
	s_mul_i32 s25, s23, s27
	s_mul_i32 s0, s0, s7
	s_add_i32 s25, s24, s25
	s_mul_i32 s24, s22, s27
	s_lshl_b64 s[0:1], s[0:1], 2
	s_lshl_b64 s[24:25], s[24:25], 2
	s_add_u32 s24, s0, s24
	s_addc_u32 s25, s1, s25
	s_lshl_b64 s[0:1], s[14:15], 2
	s_add_u32 s0, s24, s0
	s_addc_u32 s1, s25, s1
	s_add_u32 s0, s12, s0
	v_lshlrev_b32_e32 v1, 2, v0
	s_addc_u32 s1, s13, s1
	v_mov_b32_e32 v3, s1
	v_add_co_u32_e32 v2, vcc, s0, v1
	s_lshl_b64 s[0:1], s[22:23], 2
	s_mul_i32 s13, s27, 0x70
	v_addc_co_u32_e32 v3, vcc, 0, v3, vcc
	s_sub_i32 s12, s26, s27
	v_lshl_add_u32 v1, v0, 2, s13
	v_mov_b32_e32 v4, s1
.LBB35_11:                              ; =>This Inner Loop Header: Depth=1
	global_load_dword v5, v[2:3], off
	v_add_co_u32_e32 v2, vcc, s0, v2
	s_add_i32 s12, s12, -1
	v_addc_co_u32_e32 v3, vcc, v3, v4, vcc
	s_cmp_eq_u32 s12, 0
	s_waitcnt vmcnt(0)
	ds_write_b32 v1, v5
	v_add_u32_e32 v1, 0x70, v1
	s_cbranch_scc0 .LBB35_11
.LBB35_12:
	s_cmpk_eq_i32 s10, 0x84
	s_cbranch_scc0 .LBB35_14
; %bb.13:
	v_mul_u32_u24_e32 v1, 29, v0
	v_lshlrev_b32_e32 v1, 2, v1
	v_mov_b32_e32 v2, 1.0
	ds_write_b32 v1, v2
.LBB35_14:
	s_or_b64 exec, exec, s[20:21]
	s_load_dword s1, s[4:5], 0x60
	s_load_dword s0, s[4:5], 0x48
	s_load_dwordx2 s[12:13], s[4:5], 0x50
	s_mul_i32 s4, s6, 0xffffffe4
	s_add_i32 s4, s4, s11
	s_waitcnt lgkmcnt(0)
	s_add_i32 s1, s1, -1
	s_cmp_ge_u32 s6, s1
	s_cselect_b32 s1, s4, 28
	s_cmp_gt_i32 s18, 0
	v_cmp_gt_i32_e32 vcc, s1, v0
	s_cselect_b64 s[4:5], -1, 0
	s_mul_hi_i32 s22, s6, 0x70
	s_mulk_i32 s6, 0x70
	s_mov_b32 s21, 0
	s_and_b64 s[4:5], vcc, s[4:5]
	s_and_saveexec_b64 s[10:11], s[4:5]
	s_cbranch_execz .LBB35_26
; %bb.15:
	s_cmp_lt_u32 s18, 2
	s_cselect_b64 s[24:25], -1, 0
	s_cmp_lg_u32 s0, 1
	s_cselect_b64 s[28:29], -1, 0
	s_or_b64 s[24:25], s[24:25], s[28:29]
	s_mov_b32 s1, 1
	s_mov_b64 s[14:15], -1
	s_and_b64 vcc, exec, s[24:25]
	s_cbranch_vccnz .LBB35_23
; %bb.16:
	s_add_i32 s20, s18, -2
	s_lshr_b32 s21, s20, 1
	s_add_i32 s21, s21, 1
	s_mov_b32 s23, 0
	s_mov_b32 s14, s19
	s_mov_b32 s15, s19
	s_cmp_lt_u32 s20, 14
	s_mov_b32 s20, s23
	s_cbranch_scc1 .LBB35_19
; %bb.17:
	s_mul_i32 s1, s13, s7
	s_mul_hi_u32 s20, s12, s7
	s_add_i32 s29, s20, s1
	s_mul_i32 s28, s12, s7
	s_and_b32 s24, s21, -8
	s_lshl_b64 s[28:29], s[28:29], 2
	s_add_u32 s1, s28, s6
	s_addc_u32 s20, s29, s22
	s_lshl_b64 s[28:29], s[16:17], 2
	s_add_u32 s1, s1, s28
	s_addc_u32 s20, s20, s29
	s_add_u32 s1, s2, s1
	v_lshlrev_b32_e32 v1, 2, v0
	s_addc_u32 s20, s3, s20
	v_mov_b32_e32 v2, s20
	v_add_co_u32_e32 v1, vcc, s1, v1
	v_addc_co_u32_e32 v3, vcc, 0, v2, vcc
	v_add_co_u32_e32 v2, vcc, 56, v1
	v_addc_co_u32_e32 v3, vcc, 0, v3, vcc
	s_mov_b32 s1, 1
	s_mov_b32 s20, 0
.LBB35_18:                              ; =>This Inner Loop Header: Depth=1
	global_load_dwordx4 v[4:7], v[2:3], off offset:-56
	global_load_dwordx4 v[8:11], v[2:3], off offset:-40
	;; [unrolled: 1-line block ×4, first 2 shown]
	s_mul_i32 s25, s1, 28
	s_mul_i32 s27, s23, 28
	s_add_i32 s20, s20, 16
	s_add_i32 s1, s1, 16
	;; [unrolled: 1-line block ×3, first 2 shown]
	s_add_i32 s24, s24, -8
	v_add_co_u32_e32 v2, vcc, 64, v2
	v_add_lshl_u32 v1, s27, v0, 2
	v_add_lshl_u32 v20, s25, v0, 2
	s_add_i32 s28, s25, 56
	s_add_i32 s29, s27, 56
	;; [unrolled: 1-line block ×12, first 2 shown]
	s_addk_i32 s25, 0x188
	s_addk_i32 s27, 0x188
	v_addc_co_u32_e32 v3, vcc, 0, v3, vcc
	s_cmp_lg_u32 s24, 0
	v_add_lshl_u32 v21, s29, v0, 2
	v_add_lshl_u32 v22, s28, v0, 2
	;; [unrolled: 1-line block ×14, first 2 shown]
	s_waitcnt vmcnt(3)
	v_pk_mul_f32 v[4:5], v[4:5], s[14:15]
	v_pk_mul_f32 v[6:7], v[6:7], s[14:15]
	s_waitcnt vmcnt(2)
	v_pk_mul_f32 v[8:9], v[8:9], s[14:15]
	v_pk_mul_f32 v[10:11], v[10:11], s[14:15]
	;; [unrolled: 3-line block ×4, first 2 shown]
	ds_write_b32 v1, v4 offset:3136
	ds_write_b32 v20, v5 offset:3136
	;; [unrolled: 1-line block ×16, first 2 shown]
	s_cbranch_scc1 .LBB35_18
.LBB35_19:
	s_and_b32 s24, s21, 7
	s_cmp_eq_u32 s24, 0
	s_mov_b32 s21, 0
	s_cbranch_scc1 .LBB35_22
; %bb.20:
	s_mul_i32 s25, s13, s7
	s_mul_hi_u32 s27, s12, s7
	s_add_i32 s29, s27, s25
	s_mul_i32 s28, s12, s7
	s_lshl_b64 s[28:29], s[28:29], 2
	s_add_u32 s25, s28, s6
	s_addc_u32 s27, s29, s22
	s_lshl_b64 s[28:29], s[16:17], 2
	s_add_u32 s25, s25, s28
	s_addc_u32 s27, s27, s29
	;; [unrolled: 3-line block ×3, first 2 shown]
	s_add_u32 s20, s20, s25
	v_lshlrev_b32_e32 v1, 2, v0
	s_addc_u32 s21, s21, s27
	v_mov_b32_e32 v3, s21
	v_add_co_u32_e32 v2, vcc, s20, v1
	v_addc_co_u32_e32 v3, vcc, 0, v3, vcc
.LBB35_21:                              ; =>This Inner Loop Header: Depth=1
	global_load_dwordx2 v[4:5], v[2:3], off
	s_mul_i32 s20, s1, 28
	s_mul_i32 s21, s23, 28
	s_add_i32 s1, s1, 2
	s_add_i32 s23, s23, 2
	v_add_co_u32_e32 v2, vcc, 8, v2
	s_add_i32 s24, s24, -1
	v_addc_co_u32_e32 v3, vcc, 0, v3, vcc
	v_add_lshl_u32 v1, s21, v0, 2
	s_cmp_lg_u32 s24, 0
	v_add_lshl_u32 v6, s20, v0, 2
	s_waitcnt vmcnt(0)
	v_pk_mul_f32 v[4:5], v[4:5], s[14:15]
	ds_write_b32 v1, v4 offset:3136
	ds_write_b32 v6, v5 offset:3136
	s_cbranch_scc1 .LBB35_21
.LBB35_22:
	s_and_b32 s21, s18, 0x7ffffffe
	s_cmp_lg_u32 s21, s18
	s_cselect_b64 s[14:15], -1, 0
.LBB35_23:
	s_and_b64 vcc, exec, s[14:15]
	s_cbranch_vccz .LBB35_26
; %bb.24:
	s_mul_i32 s14, s21, 0x70
	v_lshl_add_u32 v1, v0, 2, s14
	s_mul_i32 s14, s13, s7
	s_mul_hi_u32 s15, s12, s7
	s_add_i32 s15, s15, s14
	s_mul_i32 s14, s12, s7
	s_mul_hi_i32 s25, s0, s21
	s_mul_i32 s24, s0, s21
	s_ashr_i32 s1, s0, 31
	s_sub_i32 s20, s18, s21
	s_lshl_b64 s[14:15], s[14:15], 2
	s_lshl_b64 s[24:25], s[24:25], 2
	s_add_u32 s14, s14, s24
	s_addc_u32 s15, s15, s25
	s_add_u32 s21, s14, s6
	s_addc_u32 s23, s15, s22
	s_lshl_b64 s[14:15], s[16:17], 2
	s_add_u32 s14, s21, s14
	s_addc_u32 s15, s23, s15
	s_add_u32 s14, s2, s14
	v_lshlrev_b32_e32 v2, 2, v0
	s_addc_u32 s15, s3, s15
	v_mov_b32_e32 v3, s15
	v_add_co_u32_e32 v2, vcc, s14, v2
	s_lshl_b64 s[14:15], s[0:1], 2
	v_add_u32_e32 v1, 0xc40, v1
	v_addc_co_u32_e32 v3, vcc, 0, v3, vcc
	v_mov_b32_e32 v4, s15
.LBB35_25:                              ; =>This Inner Loop Header: Depth=1
	global_load_dword v5, v[2:3], off
	s_add_i32 s20, s20, -1
	v_add_co_u32_e32 v2, vcc, s14, v2
	v_addc_co_u32_e32 v3, vcc, v3, v4, vcc
	s_cmp_lg_u32 s20, 0
	s_waitcnt vmcnt(0)
	v_mul_f32_e32 v5, s19, v5
	ds_write_b32 v1, v5
	v_add_u32_e32 v1, 0x70, v1
	s_cbranch_scc1 .LBB35_25
.LBB35_26:
	s_or_b64 exec, exec, s[10:11]
	s_cmpk_eq_i32 s9, 0x6f
	s_cselect_b64 s[14:15], -1, 0
	s_cmpk_eq_i32 s8, 0x79
	s_cselect_b64 s[20:21], -1, 0
	s_cmpk_lg_i32 s8, 0x79
	s_cselect_b64 s[10:11], -1, 0
	s_and_b64 s[20:21], s[20:21], s[14:15]
	s_andn2_b64 vcc, exec, s[20:21]
	s_mov_b64 s[20:21], -1
	s_waitcnt lgkmcnt(0)
	; wave barrier
	s_waitcnt lgkmcnt(0)
	s_cbranch_vccz .LBB35_101
; %bb.27:
	s_cmpk_lg_i32 s8, 0x7a
	s_cselect_b64 s[8:9], -1, 0
	s_xor_b64 s[14:15], s[14:15], -1
	s_add_i32 s1, s26, -1
	s_or_b64 s[14:15], s[8:9], s[14:15]
	s_cmp_gt_i32 s18, 3
	s_cselect_b64 s[8:9], -1, 0
	s_and_b64 vcc, exec, s[14:15]
	s_cbranch_vccz .LBB35_80
; %bb.28:
	s_andn2_b64 vcc, exec, s[10:11]
	s_mov_b64 s[10:11], -1
	s_cbranch_vccnz .LBB35_53
; %bb.29:
	s_andn2_b64 vcc, exec, s[8:9]
	s_mov_b32 s19, 0
	s_cbranch_vccnz .LBB35_41
; %bb.30:
	v_mov_b32_e32 v1, 0xc40
	v_lshl_add_u32 v1, v0, 2, v1
	s_mov_b32 s14, 0
	s_mov_b32 s15, 0
	s_mov_b64 s[10:11], 0
.LBB35_31:                              ; =>This Loop Header: Depth=1
                                        ;     Child Loop BB35_34 Depth 2
                                        ;     Child Loop BB35_38 Depth 2
	s_mul_i32 s20, s15, 28
	v_add_lshl_u32 v6, s20, v0, 2
	s_add_i32 s19, s20, 28
	s_add_i32 s20, s20, 56
	v_add_lshl_u32 v8, s20, v0, 2
	v_add_u32_e32 v2, 0xc00, v8
	v_add_lshl_u32 v7, s19, v0, 2
	ds_read_b32 v4, v6 offset:3136
	ds_read_b32 v5, v7 offset:3136
	ds_read2_b32 v[2:3], v2 offset0:16 offset1:44
	s_cmp_eq_u32 s15, 0
	s_cbranch_scc1 .LBB35_39
; %bb.32:                               ;   in Loop: Header=BB35_31 Depth=1
	s_cmp_lt_u32 s15, 8
	s_cbranch_scc1 .LBB35_36
; %bb.33:                               ;   in Loop: Header=BB35_31 Depth=1
	s_and_b32 s20, s15, -8
	s_mov_b32 s21, 0
	v_mov_b32_e32 v9, v1
	s_mov_b32 s23, s14
.LBB35_34:                              ;   Parent Loop BB35_31 Depth=1
                                        ; =>  This Inner Loop Header: Depth=2
	ds_read2_b32 v[42:43], v9 offset1:28
	v_mov_b32_e32 v38, s23
	ds_read2_b32 v[44:45], v9 offset0:56 offset1:84
	ds_read2_b32 v[46:47], v9 offset0:112 offset1:140
	;; [unrolled: 1-line block ×3, first 2 shown]
	ds_read_b128 v[10:13], v38
	ds_read_b128 v[14:17], v38 offset:112
	ds_read_b128 v[18:21], v38 offset:224
	;; [unrolled: 1-line block ×7, first 2 shown]
	s_add_i32 s21, s21, 8
	s_waitcnt lgkmcnt(11)
	v_mov_b32_e32 v50, v43
	s_waitcnt lgkmcnt(7)
	v_pk_fma_f32 v[4:5], v[42:43], v[10:11], v[4:5] op_sel_hi:[0,1,1] neg_lo:[1,0,0] neg_hi:[1,0,0]
	v_pk_fma_f32 v[2:3], v[42:43], v[12:13], v[2:3] op_sel_hi:[0,1,1] neg_lo:[1,0,0] neg_hi:[1,0,0]
	s_waitcnt lgkmcnt(6)
	v_pk_fma_f32 v[4:5], v[50:51], v[14:15], v[4:5] op_sel_hi:[0,1,1] neg_lo:[1,0,0] neg_hi:[1,0,0]
	v_pk_fma_f32 v[2:3], v[50:51], v[16:17], v[2:3] op_sel_hi:[0,1,1] neg_lo:[1,0,0] neg_hi:[1,0,0]
	v_mov_b32_e32 v52, v45
	s_waitcnt lgkmcnt(5)
	v_pk_fma_f32 v[4:5], v[44:45], v[18:19], v[4:5] op_sel_hi:[0,1,1] neg_lo:[1,0,0] neg_hi:[1,0,0]
	v_pk_fma_f32 v[2:3], v[44:45], v[20:21], v[2:3] op_sel_hi:[0,1,1] neg_lo:[1,0,0] neg_hi:[1,0,0]
	s_waitcnt lgkmcnt(4)
	v_pk_fma_f32 v[4:5], v[52:53], v[22:23], v[4:5] op_sel_hi:[0,1,1] neg_lo:[1,0,0] neg_hi:[1,0,0]
	v_pk_fma_f32 v[2:3], v[52:53], v[24:25], v[2:3] op_sel_hi:[0,1,1] neg_lo:[1,0,0] neg_hi:[1,0,0]
	;; [unrolled: 7-line block ×3, first 2 shown]
	s_addk_i32 s23, 0x380
	v_mov_b32_e32 v56, v49
	s_waitcnt lgkmcnt(1)
	v_pk_fma_f32 v[4:5], v[48:49], v[34:35], v[4:5] op_sel_hi:[0,1,1] neg_lo:[1,0,0] neg_hi:[1,0,0]
	v_pk_fma_f32 v[2:3], v[48:49], v[36:37], v[2:3] op_sel_hi:[0,1,1] neg_lo:[1,0,0] neg_hi:[1,0,0]
	v_add_u32_e32 v9, 0x380, v9
	s_cmp_eq_u32 s20, s21
	s_waitcnt lgkmcnt(0)
	v_pk_fma_f32 v[4:5], v[56:57], v[38:39], v[4:5] op_sel_hi:[0,1,1] neg_lo:[1,0,0] neg_hi:[1,0,0]
	v_pk_fma_f32 v[2:3], v[56:57], v[40:41], v[2:3] op_sel_hi:[0,1,1] neg_lo:[1,0,0] neg_hi:[1,0,0]
	s_cbranch_scc0 .LBB35_34
; %bb.35:                               ;   in Loop: Header=BB35_31 Depth=1
	s_bitcmp0_b32 s15, 2
	s_cbranch_scc0 .LBB35_37
	s_branch .LBB35_39
.LBB35_36:                              ;   in Loop: Header=BB35_31 Depth=1
	s_mov_b32 s20, 0
	s_bitcmp0_b32 s15, 2
	s_cbranch_scc1 .LBB35_39
.LBB35_37:                              ;   in Loop: Header=BB35_31 Depth=1
	v_cndmask_b32_e64 v9, 0, 1, s[10:11]
	v_readfirstlane_b32 s21, v9
	s_lshl_b32 s21, s21, 2
	s_mulk_i32 s20, 0x70
.LBB35_38:                              ;   Parent Loop BB35_31 Depth=1
                                        ; =>  This Inner Loop Header: Depth=2
	v_add_u32_e32 v9, s20, v1
	s_add_i32 s23, s14, s20
	ds_read_b32 v14, v9
	v_mov_b32_e32 v9, s23
	ds_read_b128 v[10:13], v9
	s_addk_i32 s20, 0x70
	s_add_i32 s21, s21, -1
	s_cmp_lg_u32 s21, 0
	s_waitcnt lgkmcnt(0)
	v_pk_fma_f32 v[4:5], v[14:15], v[10:11], v[4:5] op_sel_hi:[0,1,1] neg_lo:[1,0,0] neg_hi:[1,0,0]
	v_pk_fma_f32 v[2:3], v[14:15], v[12:13], v[2:3] op_sel_hi:[0,1,1] neg_lo:[1,0,0] neg_hi:[1,0,0]
	s_cbranch_scc1 .LBB35_38
.LBB35_39:                              ;   in Loop: Header=BB35_31 Depth=1
	s_mul_i32 s20, s15, 0x74
	v_add_u32_e32 v9, 0xc40, v6
	v_add_u32_e32 v6, 0xc40, v8
	v_mov_b32_e32 v8, s20
	ds_read_b128 v[10:13], v8
	ds_read2_b32 v[14:15], v8 offset0:29 offset1:30
	s_add_i32 s19, s19, s15
	s_lshl_b32 s19, s19, 2
	v_add_u32_e32 v7, 0xc40, v7
	s_waitcnt lgkmcnt(1)
	v_div_scale_f32 v16, s[20:21], v10, v10, v4
	v_rcp_f32_e32 v17, v16
	v_div_scale_f32 v18, vcc, v4, v10, v4
	s_add_i32 s14, s14, 16
	v_fma_f32 v19, -v16, v17, 1.0
	v_fmac_f32_e32 v17, v19, v17
	v_mul_f32_e32 v19, v18, v17
	v_fma_f32 v20, -v16, v19, v18
	v_fmac_f32_e32 v19, v20, v17
	v_fma_f32 v16, -v16, v19, v18
	v_div_fmas_f32 v16, v16, v17, v19
	v_div_fixup_f32 v10, v16, v10, v4
	v_fma_f32 v4, -v10, v11, v5
	s_waitcnt lgkmcnt(0)
	v_div_scale_f32 v5, s[20:21], v14, v14, v4
	v_rcp_f32_e32 v11, v5
	v_fma_f32 v2, -v10, v12, v2
	v_div_scale_f32 v12, vcc, v4, v14, v4
	v_fma_f32 v16, -v5, v11, 1.0
	v_fmac_f32_e32 v11, v16, v11
	v_mul_f32_e32 v16, v12, v11
	v_fma_f32 v17, -v5, v16, v12
	v_fmac_f32_e32 v16, v17, v11
	v_fma_f32 v5, -v5, v16, v12
	v_div_fmas_f32 v5, v5, v11, v16
	v_div_fixup_f32 v11, v5, v14, v4
	ds_read_b64 v[4:5], v8 offset:232
	v_fma_f32 v2, -v11, v15, v2
	v_mov_b32_e32 v15, s19
	ds_read_b32 v15, v15 offset:12
	ds_read_b32 v8, v8 offset:348
	s_waitcnt lgkmcnt(2)
	v_div_scale_f32 v12, s[20:21], v4, v4, v2
	v_rcp_f32_e32 v14, v12
	v_fma_f32 v3, -v10, v13, v3
	s_waitcnt lgkmcnt(1)
	v_fma_f32 v3, -v11, v15, v3
	ds_write_b32 v9, v10
	ds_write_b32 v7, v11
	v_fma_f32 v16, -v12, v14, 1.0
	v_fmac_f32_e32 v14, v16, v14
	v_div_scale_f32 v16, vcc, v2, v4, v2
	v_mul_f32_e32 v17, v16, v14
	v_fma_f32 v18, -v12, v17, v16
	v_fmac_f32_e32 v17, v18, v14
	v_fma_f32 v12, -v12, v17, v16
	v_div_fmas_f32 v12, v12, v14, v17
	v_div_fixup_f32 v2, v12, v4, v2
	v_fma_f32 v3, -v2, v5, v3
	s_waitcnt lgkmcnt(2)
	v_div_scale_f32 v4, s[20:21], v8, v8, v3
	v_rcp_f32_e32 v5, v4
	s_add_i32 s19, s15, 4
	s_add_i32 s15, s15, 7
	s_not_b64 s[10:11], s[10:11]
	v_fma_f32 v7, -v4, v5, 1.0
	v_fmac_f32_e32 v5, v7, v5
	v_div_scale_f32 v7, vcc, v3, v8, v3
	v_mul_f32_e32 v9, v7, v5
	v_fma_f32 v10, -v4, v9, v7
	v_fmac_f32_e32 v9, v10, v5
	v_fma_f32 v4, -v4, v9, v7
	v_div_fmas_f32 v4, v4, v5, v9
	v_div_fixup_f32 v3, v4, v8, v3
	s_cmp_ge_i32 s15, s26
	ds_write2_b32 v6, v2, v3 offset1:28
	s_cbranch_scc1 .LBB35_41
; %bb.40:                               ;   in Loop: Header=BB35_31 Depth=1
	s_mov_b32 s15, s19
	s_branch .LBB35_31
.LBB35_41:
	s_cmp_ge_i32 s19, s26
	s_cbranch_scc1 .LBB35_52
; %bb.42:
	v_mov_b32_e32 v1, 0xc40
	s_add_i32 s10, s19, -1
	s_lshl_b32 s11, s19, 2
	v_lshl_add_u32 v1, v0, 2, v1
	s_mov_b32 s14, 0
	s_mov_b32 s15, s19
	s_branch .LBB35_44
.LBB35_43:                              ;   in Loop: Header=BB35_44 Depth=1
	s_mul_i32 s20, s19, 0x74
	v_mov_b32_e32 v4, s20
	ds_read_b32 v4, v4
	v_add_u32_e32 v3, 0xc40, v3
	s_add_i32 s19, s19, 1
	s_add_i32 s14, s14, 1
	;; [unrolled: 1-line block ×3, first 2 shown]
	s_waitcnt lgkmcnt(0)
	v_div_scale_f32 v5, s[20:21], v4, v4, v2
	v_rcp_f32_e32 v6, v5
	v_div_scale_f32 v7, vcc, v2, v4, v2
	s_cmp_ge_i32 s19, s26
	v_fma_f32 v8, -v5, v6, 1.0
	v_fmac_f32_e32 v6, v8, v6
	v_mul_f32_e32 v8, v7, v6
	v_fma_f32 v9, -v5, v8, v7
	v_fmac_f32_e32 v8, v9, v6
	v_fma_f32 v5, -v5, v8, v7
	v_div_fmas_f32 v5, v5, v6, v8
	v_div_fixup_f32 v2, v5, v4, v2
	ds_write_b32 v3, v2
	v_add_u16_e64 v2, s15, 1
	v_readfirstlane_b32 s15, v2
	s_cbranch_scc1 .LBB35_52
.LBB35_44:                              ; =>This Loop Header: Depth=1
                                        ;     Child Loop BB35_47 Depth 2
                                        ;     Child Loop BB35_51 Depth 2
	s_mul_i32 s20, s19, 28
	v_add_lshl_u32 v3, s20, v0, 2
	ds_read_b32 v2, v3 offset:3136
	s_cmp_eq_u32 s19, 0
	s_cbranch_scc1 .LBB35_43
; %bb.45:                               ;   in Loop: Header=BB35_44 Depth=1
	s_add_i32 s20, s10, s14
	s_cmp_lt_u32 s20, 7
	s_cbranch_scc1 .LBB35_49
; %bb.46:                               ;   in Loop: Header=BB35_44 Depth=1
	s_and_b32 s20, s19, -8
	s_mov_b32 s21, 0
	v_mov_b32_e32 v4, v1
	s_mov_b32 s23, s11
.LBB35_47:                              ;   Parent Loop BB35_44 Depth=1
                                        ; =>  This Inner Loop Header: Depth=2
	ds_read2_b32 v[6:7], v4 offset1:28
	v_mov_b32_e32 v5, s23
	ds_read2_b32 v[8:9], v4 offset0:56 offset1:84
	ds_read2_b32 v[10:11], v4 offset0:112 offset1:140
	;; [unrolled: 1-line block ×3, first 2 shown]
	ds_read2_b32 v[14:15], v5 offset1:28
	ds_read2_b32 v[16:17], v5 offset0:56 offset1:84
	ds_read2_b32 v[18:19], v5 offset0:112 offset1:140
	ds_read2_b32 v[20:21], v5 offset0:168 offset1:196
	s_add_i32 s21, s21, 8
	s_waitcnt lgkmcnt(3)
	v_fma_f32 v2, -v6, v14, v2
	v_fma_f32 v2, -v7, v15, v2
	s_waitcnt lgkmcnt(2)
	v_fma_f32 v2, -v8, v16, v2
	v_fma_f32 v2, -v9, v17, v2
	;; [unrolled: 3-line block ×3, first 2 shown]
	s_addk_i32 s23, 0x380
	s_waitcnt lgkmcnt(0)
	v_fma_f32 v2, -v12, v20, v2
	v_add_u32_e32 v4, 0x380, v4
	s_cmp_eq_u32 s20, s21
	v_fma_f32 v2, -v13, v21, v2
	s_cbranch_scc0 .LBB35_47
; %bb.48:                               ;   in Loop: Header=BB35_44 Depth=1
	s_and_b32 s21, s19, 7
	s_cmp_eq_u32 s21, 0
	s_cbranch_scc0 .LBB35_50
	s_branch .LBB35_43
.LBB35_49:                              ;   in Loop: Header=BB35_44 Depth=1
	s_mov_b32 s20, 0
	s_and_b32 s21, s19, 7
	s_cmp_eq_u32 s21, 0
	s_cbranch_scc1 .LBB35_43
.LBB35_50:                              ;   in Loop: Header=BB35_44 Depth=1
	s_and_b32 s21, s15, 7
	s_mulk_i32 s20, 0x70
.LBB35_51:                              ;   Parent Loop BB35_44 Depth=1
                                        ; =>  This Inner Loop Header: Depth=2
	s_add_i32 s23, s11, s20
	v_add_u32_e32 v4, s20, v1
	v_mov_b32_e32 v5, s23
	ds_read_b32 v4, v4
	ds_read_b32 v5, v5
	s_addk_i32 s20, 0x70
	s_add_i32 s21, s21, -1
	s_cmp_lg_u32 s21, 0
	s_waitcnt lgkmcnt(0)
	v_fma_f32 v2, -v4, v5, v2
	s_cbranch_scc1 .LBB35_51
	s_branch .LBB35_43
.LBB35_52:
	s_mov_b64 s[10:11], 0
.LBB35_53:
	s_and_b64 vcc, exec, s[10:11]
	s_cbranch_vccz .LBB35_79
; %bb.54:
	s_andn2_b64 vcc, exec, s[8:9]
	s_mov_b32 s21, s1
	s_cbranch_vccnz .LBB35_66
; %bb.55:
	s_mul_i32 s10, s26, 0x74
	s_add_i32 s14, s10, 0xffffff80
	s_mul_i32 s10, s26, 0x70
	v_lshlrev_b32_e32 v2, 2, v0
	v_add_u32_e32 v1, s10, v2
	s_lshl_b32 s10, s26, 2
	v_add_u32_e32 v1, 0xbd0, v1
	v_add_u32_e32 v6, 0x930, v2
	s_add_i32 s15, s10, 0xfffffce0
	s_mov_b32 s19, 0
	s_mov_b64 s[10:11], 0
	s_mov_b32 s20, s1
.LBB35_56:                              ; =>This Loop Header: Depth=1
                                        ;     Child Loop BB35_59 Depth 2
                                        ;     Child Loop BB35_63 Depth 2
	s_mul_i32 s24, s20, 28
	s_sub_i32 s21, s24, 56
	v_add_lshl_u32 v9, s21, v0, 2
	v_add_lshl_u32 v7, s24, v0, 2
	s_sub_i32 s23, s24, 28
	v_add_u32_e32 v2, 0xa00, v9
	v_add_lshl_u32 v8, s23, v0, 2
	ds_read_b32 v5, v7 offset:3136
	ds_read_b32 v4, v8 offset:3136
	ds_read2_b32 v[2:3], v2 offset0:116 offset1:144
	s_cmp_le_i32 s1, s20
	s_cbranch_scc1 .LBB35_64
; %bb.57:                               ;   in Loop: Header=BB35_56 Depth=1
	s_lshl_b32 s27, s19, 2
	s_bitcmp0_b32 s27, 2
	s_cbranch_scc1 .LBB35_61
; %bb.58:                               ;   in Loop: Header=BB35_56 Depth=1
	v_cndmask_b32_e64 v10, 0, 1, s[10:11]
	v_readfirstlane_b32 s25, v10
	s_lshl_b32 s28, s25, 2
	v_mov_b32_e32 v10, v1
	s_mov_b32 s29, s14
	s_mov_b32 s25, s1
.LBB35_59:                              ;   Parent Loop BB35_56 Depth=1
                                        ; =>  This Inner Loop Header: Depth=2
	v_mov_b32_e32 v11, s29
	ds_read_b32 v12, v10
	ds_read2_b32 v[14:15], v11 offset0:2 offset1:3
	ds_read2_b32 v[16:17], v11 offset1:1
	s_add_i32 s25, s25, -1
	s_addk_i32 s29, 0xff90
	s_add_i32 s28, s28, -1
	v_add_u32_e32 v10, 0xffffff90, v10
	s_cmp_lg_u32 s28, 0
	s_waitcnt lgkmcnt(1)
	v_pk_fma_f32 v[4:5], v[12:13], v[14:15], v[4:5] op_sel_hi:[0,1,1] neg_lo:[1,0,0] neg_hi:[1,0,0]
	s_waitcnt lgkmcnt(0)
	v_pk_fma_f32 v[2:3], v[12:13], v[16:17], v[2:3] op_sel_hi:[0,1,1] neg_lo:[1,0,0] neg_hi:[1,0,0]
	s_cbranch_scc1 .LBB35_59
; %bb.60:                               ;   in Loop: Header=BB35_56 Depth=1
	s_add_i32 s27, s27, -1
	s_cmp_lt_u32 s27, 7
	s_cbranch_scc0 .LBB35_62
	s_branch .LBB35_64
.LBB35_61:                              ;   in Loop: Header=BB35_56 Depth=1
	s_mov_b32 s25, s1
	s_add_i32 s27, s27, -1
	s_cmp_lt_u32 s27, 7
	s_cbranch_scc1 .LBB35_64
.LBB35_62:                              ;   in Loop: Header=BB35_56 Depth=1
	s_mul_i32 s27, s25, 0x70
	v_add_u32_e32 v10, s27, v6
	s_add_i32 s27, s15, s27
.LBB35_63:                              ;   Parent Loop BB35_56 Depth=1
                                        ; =>  This Inner Loop Header: Depth=2
	ds_read2_b32 v[12:13], v10 offset0:168 offset1:196
	ds_read2_b32 v[14:15], v10 offset0:112 offset1:140
	;; [unrolled: 1-line block ×3, first 2 shown]
	ds_read2_b32 v[18:19], v10 offset1:28
	v_mov_b32_e32 v11, s27
	ds_read2_b32 v[20:21], v11 offset0:198 offset1:199
	ds_read2_b32 v[22:23], v11 offset0:196 offset1:197
	;; [unrolled: 1-line block ×15, first 2 shown]
	ds_read2_b32 v[50:51], v11 offset1:1
	s_waitcnt lgkmcnt(14)
	v_mov_b32_e32 v54, v15
	v_mov_b32_e32 v52, v13
	v_pk_fma_f32 v[4:5], v[52:53], v[20:21], v[4:5] op_sel_hi:[0,1,1] neg_lo:[1,0,0] neg_hi:[1,0,0]
	v_pk_fma_f32 v[2:3], v[52:53], v[22:23], v[2:3] op_sel_hi:[0,1,1] neg_lo:[1,0,0] neg_hi:[1,0,0]
	s_waitcnt lgkmcnt(13)
	v_pk_fma_f32 v[4:5], v[12:13], v[24:25], v[4:5] op_sel_hi:[0,1,1] neg_lo:[1,0,0] neg_hi:[1,0,0]
	s_waitcnt lgkmcnt(12)
	;; [unrolled: 2-line block ×4, first 2 shown]
	v_pk_fma_f32 v[2:3], v[54:55], v[30:31], v[2:3] op_sel_hi:[0,1,1] neg_lo:[1,0,0] neg_hi:[1,0,0]
	v_mov_b32_e32 v56, v17
	s_waitcnt lgkmcnt(9)
	v_pk_fma_f32 v[4:5], v[14:15], v[32:33], v[4:5] op_sel_hi:[0,1,1] neg_lo:[1,0,0] neg_hi:[1,0,0]
	s_waitcnt lgkmcnt(8)
	v_pk_fma_f32 v[2:3], v[14:15], v[34:35], v[2:3] op_sel_hi:[0,1,1] neg_lo:[1,0,0] neg_hi:[1,0,0]
	;; [unrolled: 2-line block ×4, first 2 shown]
	v_mov_b32_e32 v58, v19
	s_waitcnt lgkmcnt(5)
	v_pk_fma_f32 v[4:5], v[16:17], v[40:41], v[4:5] op_sel_hi:[0,1,1] neg_lo:[1,0,0] neg_hi:[1,0,0]
	s_waitcnt lgkmcnt(4)
	v_pk_fma_f32 v[2:3], v[16:17], v[42:43], v[2:3] op_sel_hi:[0,1,1] neg_lo:[1,0,0] neg_hi:[1,0,0]
	s_add_i32 s25, s25, -8
	s_addk_i32 s27, 0xfc80
	s_waitcnt lgkmcnt(3)
	v_pk_fma_f32 v[4:5], v[58:59], v[44:45], v[4:5] op_sel_hi:[0,1,1] neg_lo:[1,0,0] neg_hi:[1,0,0]
	s_waitcnt lgkmcnt(2)
	v_pk_fma_f32 v[2:3], v[58:59], v[46:47], v[2:3] op_sel_hi:[0,1,1] neg_lo:[1,0,0] neg_hi:[1,0,0]
	v_add_u32_e32 v10, 0xfffffc80, v10
	s_cmp_le_i32 s25, s20
	s_waitcnt lgkmcnt(1)
	v_pk_fma_f32 v[4:5], v[18:19], v[48:49], v[4:5] op_sel_hi:[0,1,1] neg_lo:[1,0,0] neg_hi:[1,0,0]
	s_waitcnt lgkmcnt(0)
	v_pk_fma_f32 v[2:3], v[18:19], v[50:51], v[2:3] op_sel_hi:[0,1,1] neg_lo:[1,0,0] neg_hi:[1,0,0]
	s_cbranch_scc0 .LBB35_63
.LBB35_64:                              ;   in Loop: Header=BB35_56 Depth=1
	s_add_i32 s25, s20, s24
	s_add_i32 s27, s20, -3
	s_lshl_b32 s25, s25, 2
	s_mul_i32 s28, s20, 0x74
	s_add_i32 s25, s25, -4
	s_add_i32 s24, s24, s27
	s_add_i32 s23, s23, s27
	v_add_u32_e32 v10, 0xc40, v7
	v_add_u32_e32 v11, 0xc40, v9
	;; [unrolled: 1-line block ×3, first 2 shown]
	v_mov_b32_e32 v9, s25
	s_add_i32 s25, s28, 0xffffff8c
	s_lshl_b32 s24, s24, 2
	s_lshl_b32 s23, s23, 2
	v_mov_b32_e32 v14, s25
	v_mov_b32_e32 v15, s24
	;; [unrolled: 1-line block ×3, first 2 shown]
	ds_read2_b32 v[12:13], v9 offset1:1
	ds_read_b32 v9, v14
	ds_read2_b32 v[14:15], v15 offset1:1
	ds_read2_b32 v[16:17], v16 offset1:1
	s_add_i32 s21, s21, s27
	s_waitcnt lgkmcnt(3)
	v_div_scale_f32 v18, s[24:25], v13, v13, v5
	v_rcp_f32_e32 v19, v18
	s_lshl_b32 s21, s21, 2
	v_add_u32_e32 v8, 0xc40, v8
	s_add_i32 s19, s19, 1
	v_fma_f32 v20, -v18, v19, 1.0
	v_fmac_f32_e32 v19, v20, v19
	v_div_scale_f32 v20, vcc, v5, v13, v5
	v_mul_f32_e32 v21, v20, v19
	v_fma_f32 v22, -v18, v21, v20
	v_fmac_f32_e32 v21, v22, v19
	v_fma_f32 v18, -v18, v21, v20
	v_div_fmas_f32 v18, v18, v19, v21
	v_div_fixup_f32 v13, v18, v13, v5
	v_fma_f32 v4, -v13, v12, v4
	s_waitcnt lgkmcnt(2)
	v_div_scale_f32 v5, s[24:25], v9, v9, v4
	v_rcp_f32_e32 v12, v5
	s_waitcnt lgkmcnt(1)
	v_fma_f32 v3, -v13, v15, v3
	v_fma_f32 v2, -v13, v14, v2
	s_add_i32 s14, s14, -16
	v_fma_f32 v18, -v5, v12, 1.0
	v_fmac_f32_e32 v12, v18, v12
	v_div_scale_f32 v18, vcc, v4, v9, v4
	v_mul_f32_e32 v19, v18, v12
	v_fma_f32 v20, -v5, v19, v18
	v_fmac_f32_e32 v19, v20, v12
	v_fma_f32 v5, -v5, v19, v18
	v_div_fmas_f32 v5, v5, v12, v19
	v_div_fixup_f32 v9, v5, v9, v4
	v_mov_b32_e32 v4, s21
	ds_read2_b32 v[4:5], v4 offset1:1
	s_add_i32 s21, s28, 0xfffffea4
	s_waitcnt lgkmcnt(1)
	v_fma_f32 v3, -v9, v17, v3
	v_mov_b32_e32 v12, s21
	ds_read_b32 v12, v12
	s_waitcnt lgkmcnt(1)
	v_div_scale_f32 v15, s[24:25], v5, v5, v3
	v_rcp_f32_e32 v17, v15
	v_fma_f32 v2, -v9, v16, v2
	s_add_i32 s21, s20, -4
	s_not_b64 s[10:11], s[10:11]
	v_fma_f32 v18, -v15, v17, 1.0
	v_fmac_f32_e32 v17, v18, v17
	v_div_scale_f32 v18, vcc, v3, v5, v3
	v_mul_f32_e32 v19, v18, v17
	v_fma_f32 v20, -v15, v19, v18
	v_fmac_f32_e32 v19, v20, v17
	v_fma_f32 v15, -v15, v19, v18
	v_div_fmas_f32 v15, v15, v17, v19
	v_div_fixup_f32 v3, v15, v5, v3
	v_fma_f32 v2, -v3, v4, v2
	s_waitcnt lgkmcnt(0)
	v_div_scale_f32 v4, s[24:25], v12, v12, v2
	v_rcp_f32_e32 v5, v4
	ds_write_b32 v10, v13
	ds_write_b32 v8, v9
	;; [unrolled: 1-line block ×3, first 2 shown]
	s_add_i32 s15, s15, -16
	s_cmp_lt_i32 s20, 7
	v_fma_f32 v3, -v4, v5, 1.0
	v_fmac_f32_e32 v5, v3, v5
	v_div_scale_f32 v3, vcc, v2, v12, v2
	v_mul_f32_e32 v8, v3, v5
	v_fma_f32 v9, -v4, v8, v3
	v_fmac_f32_e32 v8, v9, v5
	v_fma_f32 v3, -v4, v8, v3
	v_div_fmas_f32 v3, v3, v5, v8
	v_div_fixup_f32 v2, v3, v12, v2
	ds_write_b32 v7, v2
	s_cbranch_scc1 .LBB35_66
; %bb.65:                               ;   in Loop: Header=BB35_56 Depth=1
	s_mov_b32 s20, s21
	s_branch .LBB35_56
.LBB35_66:
	s_cmp_lt_i32 s21, 0
	s_cbranch_scc1 .LBB35_79
; %bb.67:
	s_bitcmp1_b32 s21, 0
	s_cselect_b64 s[10:11], -1, 0
	s_and_b64 vcc, exec, s[10:11]
	s_mov_b32 s10, s21
	s_cbranch_vccnz .LBB35_72
; %bb.68:
	s_mul_i32 s10, s21, 28
	v_add_lshl_u32 v2, s10, v0, 2
	ds_read_b32 v1, v2 offset:3136
	s_cmp_le_i32 s1, s21
	s_cbranch_scc1 .LBB35_71
; %bb.69:
	s_mul_i32 s11, s26, 0x70
	s_lshl_b32 s10, s21, 2
	s_add_i32 s10, s11, s10
	v_lshl_add_u32 v3, v0, 2, s11
	s_addk_i32 s10, 0xff90
	v_add_u32_e32 v3, 0xbd0, v3
	s_mov_b32 s11, s1
.LBB35_70:                              ; =>This Inner Loop Header: Depth=1
	v_mov_b32_e32 v5, s10
	ds_read_b32 v4, v3
	ds_read_b32 v5, v5
	s_add_i32 s11, s11, -1
	s_addk_i32 s10, 0xff90
	v_add_u32_e32 v3, 0xffffff90, v3
	s_cmp_gt_i32 s11, s21
	s_waitcnt lgkmcnt(0)
	v_fma_f32 v1, -v4, v5, v1
	s_cbranch_scc1 .LBB35_70
.LBB35_71:
	s_mul_i32 s10, s21, 0x74
	v_mov_b32_e32 v3, s10
	ds_read_b32 v3, v3
	v_add_u32_e32 v2, 0xc40, v2
	s_waitcnt lgkmcnt(0)
	v_div_scale_f32 v4, s[10:11], v3, v3, v1
	v_rcp_f32_e32 v5, v4
	v_div_scale_f32 v6, vcc, v1, v3, v1
	s_add_i32 s10, s21, -1
	v_fma_f32 v7, -v4, v5, 1.0
	v_fmac_f32_e32 v5, v7, v5
	v_mul_f32_e32 v7, v6, v5
	v_fma_f32 v8, -v4, v7, v6
	v_fmac_f32_e32 v7, v8, v5
	v_fma_f32 v4, -v4, v7, v6
	v_div_fmas_f32 v4, v4, v5, v7
	v_div_fixup_f32 v1, v4, v3, v1
	ds_write_b32 v2, v1
.LBB35_72:
	s_cmp_eq_u32 s21, 0
	s_cbranch_scc1 .LBB35_79
; %bb.73:
	s_mul_i32 s14, s26, 0x70
	s_lshl_b32 s11, s10, 2
	s_add_i32 s15, s14, s11
	v_lshl_add_u32 v1, v0, 2, s14
	s_add_i32 s11, s15, 0xffffff90
	v_add_u32_e32 v1, 0xbd0, v1
	s_add_i32 s14, s15, 0xffffff8c
	s_branch .LBB35_75
.LBB35_74:                              ;   in Loop: Header=BB35_75 Depth=1
	s_addk_i32 s15, 0xff8c
	v_mov_b32_e32 v4, s15
	ds_read_b32 v4, v4
	s_add_i32 s15, s10, -2
	s_add_i32 s11, s11, -8
	;; [unrolled: 1-line block ×3, first 2 shown]
	s_cmp_lt_i32 s10, 2
	s_waitcnt lgkmcnt(0)
	v_div_scale_f32 v5, s[20:21], v4, v4, v3
	v_rcp_f32_e32 v6, v5
	v_div_scale_f32 v7, vcc, v3, v4, v3
	s_mov_b32 s10, s15
	v_fma_f32 v8, -v5, v6, 1.0
	v_fmac_f32_e32 v6, v8, v6
	v_mul_f32_e32 v8, v7, v6
	v_fma_f32 v9, -v5, v8, v7
	v_fmac_f32_e32 v8, v9, v6
	v_fma_f32 v5, -v5, v8, v7
	v_div_fmas_f32 v5, v5, v6, v8
	v_div_fixup_f32 v3, v5, v4, v3
	ds_write_b32 v2, v3
	s_cbranch_scc1 .LBB35_79
.LBB35_75:                              ; =>This Loop Header: Depth=1
                                        ;     Child Loop BB35_76 Depth 2
                                        ;     Child Loop BB35_78 Depth 2
	s_mul_i32 s15, s10, 28
	v_add_lshl_u32 v2, s15, v0, 2
	ds_read_b32 v4, v2 offset:3136
	s_cmp_le_i32 s1, s10
	v_mov_b32_e32 v3, v1
	s_mov_b32 s15, s11
	s_mov_b32 s19, s1
	s_cbranch_scc1 .LBB35_77
.LBB35_76:                              ;   Parent Loop BB35_75 Depth=1
                                        ; =>  This Inner Loop Header: Depth=2
	v_mov_b32_e32 v6, s15
	ds_read_b32 v5, v3
	ds_read_b32 v6, v6
	s_add_i32 s19, s19, -1
	s_addk_i32 s15, 0xff90
	v_add_u32_e32 v3, 0xffffff90, v3
	s_cmp_le_i32 s19, s10
	s_waitcnt lgkmcnt(0)
	v_fma_f32 v4, -v5, v6, v4
	s_cbranch_scc0 .LBB35_76
.LBB35_77:                              ;   in Loop: Header=BB35_75 Depth=1
	s_mul_i32 s15, s10, 0x74
	v_add_u32_e32 v5, 0xc40, v2
	v_mov_b32_e32 v2, s15
	ds_read_b32 v6, v2
	v_add_u32_e32 v2, 0xffffff90, v5
	ds_read_b32 v3, v2
	s_cmp_le_i32 s26, s10
	s_mov_b32 s19, s14
	s_waitcnt lgkmcnt(1)
	v_div_scale_f32 v7, s[20:21], v6, v6, v4
	v_rcp_f32_e32 v8, v7
	v_div_scale_f32 v9, vcc, v4, v6, v4
	s_mov_b32 s20, s26
	v_fma_f32 v10, -v7, v8, 1.0
	v_fmac_f32_e32 v8, v10, v8
	v_mul_f32_e32 v10, v9, v8
	v_fma_f32 v11, -v7, v10, v9
	v_fmac_f32_e32 v10, v11, v8
	v_fma_f32 v7, -v7, v10, v9
	v_div_fmas_f32 v7, v7, v8, v10
	v_div_fixup_f32 v4, v7, v6, v4
	ds_write_b32 v5, v4
	v_mov_b32_e32 v4, v1
	s_cbranch_scc1 .LBB35_74
.LBB35_78:                              ;   Parent Loop BB35_75 Depth=1
                                        ; =>  This Inner Loop Header: Depth=2
	v_mov_b32_e32 v6, s19
	ds_read_b32 v5, v4
	ds_read_b32 v6, v6
	s_add_i32 s20, s20, -1
	s_addk_i32 s19, 0xff90
	v_add_u32_e32 v4, 0xffffff90, v4
	s_cmp_gt_i32 s20, s10
	s_waitcnt lgkmcnt(0)
	v_fma_f32 v3, -v5, v6, v3
	s_cbranch_scc1 .LBB35_78
	s_branch .LBB35_74
.LBB35_79:
	s_mov_b64 s[20:21], 0
.LBB35_80:
	s_andn2_b64 vcc, exec, s[20:21]
	s_cbranch_vccnz .LBB35_100
; %bb.81:
	s_andn2_b64 vcc, exec, s[8:9]
	s_mov_b32 s10, s1
	s_cbranch_vccnz .LBB35_87
; %bb.82:
	s_mul_i32 s9, s26, 0x70
	s_mul_i32 s8, s26, 0x74
	v_lshl_add_u32 v1, v0, 2, s9
	s_addk_i32 s8, 0xfe30
	v_add_u32_e32 v1, 0xa80, v1
	s_mov_b32 s9, s1
.LBB35_83:                              ; =>This Loop Header: Depth=1
                                        ;     Child Loop BB35_84 Depth 2
	s_mul_i32 s10, s9, 28
	s_sub_i32 s11, s10, 28
	v_add_lshl_u32 v6, s10, v0, 2
	v_add_lshl_u32 v8, s11, v0, 2
	s_sub_i32 s11, s10, 56
	s_addk_i32 s10, 0xffac
	v_add_lshl_u32 v9, s11, v0, 2
	v_add_lshl_u32 v10, s10, v0, 2
	ds_read_b32 v5, v6 offset:3136
	ds_read_b32 v4, v8 offset:3136
	ds_read_b32 v3, v9 offset:3136
	ds_read_b32 v2, v10 offset:3136
	s_cmp_le_i32 s1, s9
	v_mov_b32_e32 v7, v1
	s_mov_b32 s14, s8
	s_mov_b32 s15, s1
	s_cbranch_scc1 .LBB35_85
.LBB35_84:                              ;   Parent Loop BB35_83 Depth=1
                                        ; =>  This Inner Loop Header: Depth=2
	ds_read2_b32 v[12:13], v7 offset0:56 offset1:84
	v_mov_b32_e32 v11, s14
	ds_read2_b32 v[14:15], v7 offset1:28
	ds_read2_b32 v[16:17], v11 offset0:86 offset1:87
	ds_read2_b32 v[18:19], v11 offset0:84 offset1:85
	;; [unrolled: 1-line block ×7, first 2 shown]
	ds_read2_b32 v[30:31], v11 offset1:1
	s_add_i32 s15, s15, -4
	s_waitcnt lgkmcnt(7)
	v_fma_f32 v5, -v13, v17, v5
	s_waitcnt lgkmcnt(5)
	v_fma_f32 v4, -v13, v21, v4
	;; [unrolled: 2-line block ×4, first 2 shown]
	v_fma_f32 v5, -v12, v16, v5
	v_fma_f32 v4, -v12, v20, v4
	;; [unrolled: 1-line block ×4, first 2 shown]
	s_add_i32 s14, s14, -16
	v_fma_f32 v5, -v15, v19, v5
	v_fma_f32 v4, -v15, v23, v4
	;; [unrolled: 1-line block ×3, first 2 shown]
	s_waitcnt lgkmcnt(0)
	v_fma_f32 v2, -v15, v31, v2
	v_add_u32_e32 v7, 0xfffffe40, v7
	s_cmp_le_i32 s15, s9
	v_fma_f32 v5, -v14, v18, v5
	v_fma_f32 v4, -v14, v22, v4
	;; [unrolled: 1-line block ×4, first 2 shown]
	s_cbranch_scc0 .LBB35_84
.LBB35_85:                              ;   in Loop: Header=BB35_83 Depth=1
	s_add_i32 s11, s11, s9
	s_mul_i32 s19, s9, 0x74
	s_lshl_b32 s11, s11, 2
	s_add_i32 s14, s19, 0xffffff8c
	v_mov_b32_e32 v12, s11
	s_add_i32 s11, s19, 0xffffff18
	v_add_u32_e32 v7, 0xc40, v6
	v_add_u32_e32 v6, 0xc40, v10
	v_mov_b32_e32 v10, s19
	v_mov_b32_e32 v11, s14
	;; [unrolled: 1-line block ×3, first 2 shown]
	ds_read_b32 v14, v10
	ds_read2_b32 v[10:11], v11 offset1:1
	ds_read_b32 v15, v12
	ds_read2_b32 v[12:13], v13 offset1:1
	s_add_i32 s10, s9, s10
	s_waitcnt lgkmcnt(3)
	v_div_scale_f32 v16, s[14:15], v14, v14, v5
	v_rcp_f32_e32 v17, v16
	s_lshl_b32 s10, s10, 2
	s_add_i32 s10, s10, -4
	v_add_u32_e32 v8, 0xc40, v8
	v_fma_f32 v18, -v16, v17, 1.0
	v_fmac_f32_e32 v17, v18, v17
	v_div_scale_f32 v18, vcc, v5, v14, v5
	v_mul_f32_e32 v19, v18, v17
	v_fma_f32 v20, -v16, v19, v18
	v_fmac_f32_e32 v19, v20, v17
	v_fma_f32 v16, -v16, v19, v18
	v_div_fmas_f32 v16, v16, v17, v19
	v_div_fixup_f32 v14, v16, v14, v5
	s_waitcnt lgkmcnt(2)
	v_fma_f32 v4, -v14, v11, v4
	v_div_scale_f32 v5, s[14:15], v10, v10, v4
	v_rcp_f32_e32 v11, v5
	s_waitcnt lgkmcnt(1)
	v_fma_f32 v3, -v14, v15, v3
	v_add_u32_e32 v9, 0xc40, v9
	s_addk_i32 s8, 0xfe40
	v_fma_f32 v16, -v5, v11, 1.0
	v_fmac_f32_e32 v11, v16, v11
	v_div_scale_f32 v16, vcc, v4, v10, v4
	v_mul_f32_e32 v17, v16, v11
	v_fma_f32 v18, -v5, v17, v16
	v_fmac_f32_e32 v17, v18, v11
	v_fma_f32 v5, -v5, v17, v16
	v_div_fmas_f32 v5, v5, v11, v17
	v_div_fixup_f32 v16, v5, v10, v4
	s_waitcnt lgkmcnt(0)
	v_fma_f32 v3, -v16, v13, v3
	v_div_scale_f32 v4, s[14:15], v12, v12, v3
	v_rcp_f32_e32 v13, v4
	v_fma_f32 v5, -v4, v13, 1.0
	v_fmac_f32_e32 v13, v5, v13
	v_div_scale_f32 v5, vcc, v3, v12, v3
	v_mul_f32_e32 v15, v5, v13
	v_fma_f32 v10, -v4, v15, v5
	v_fmac_f32_e32 v15, v10, v13
	v_fma_f32 v17, -v4, v15, v5
	v_mov_b32_e32 v4, s10
	s_add_i32 s10, s19, 0xfffffea4
	v_mov_b32_e32 v10, s10
	ds_read2_b32 v[4:5], v4 offset1:1
	ds_read2_b32 v[10:11], v10 offset1:1
	v_div_fmas_f32 v13, v17, v13, v15
	v_div_fixup_f32 v3, v13, v12, v3
	ds_write_b32 v7, v14
	ds_write_b32 v8, v16
	;; [unrolled: 1-line block ×3, first 2 shown]
	s_waitcnt lgkmcnt(4)
	v_fma_f32 v2, -v14, v5, v2
	v_fma_f32 v2, -v16, v4, v2
	s_waitcnt lgkmcnt(3)
	v_fma_f32 v2, -v3, v11, v2
	v_div_scale_f32 v4, s[10:11], v10, v10, v2
	v_rcp_f32_e32 v5, v4
	s_add_i32 s10, s9, -4
	s_cmp_lt_i32 s9, 7
	v_fma_f32 v3, -v4, v5, 1.0
	v_fmac_f32_e32 v5, v3, v5
	v_div_scale_f32 v3, vcc, v2, v10, v2
	v_mul_f32_e32 v7, v3, v5
	v_fma_f32 v8, -v4, v7, v3
	v_fmac_f32_e32 v7, v8, v5
	v_fma_f32 v3, -v4, v7, v3
	v_div_fmas_f32 v3, v3, v5, v7
	v_div_fixup_f32 v2, v3, v10, v2
	ds_write_b32 v6, v2
	s_cbranch_scc1 .LBB35_87
; %bb.86:                               ;   in Loop: Header=BB35_83 Depth=1
	s_mov_b32 s9, s10
	s_branch .LBB35_83
.LBB35_87:
	s_cmp_lt_i32 s10, 0
	s_cbranch_scc1 .LBB35_100
; %bb.88:
	s_bitcmp1_b32 s10, 0
	s_cselect_b64 s[8:9], -1, 0
	s_and_b64 vcc, exec, s[8:9]
	s_mov_b32 s8, s10
	s_cbranch_vccnz .LBB35_93
; %bb.89:
	s_mul_i32 s8, s10, 28
	v_add_lshl_u32 v2, s8, v0, 2
	ds_read_b32 v1, v2 offset:3136
	s_cmp_le_i32 s1, s10
	s_cbranch_scc1 .LBB35_92
; %bb.90:
	s_mul_i32 s8, s10, 0x70
	s_lshl_b32 s9, s26, 2
	s_add_i32 s8, s8, s9
	s_mul_i32 s9, s26, 0x70
	v_lshl_add_u32 v3, v0, 2, s9
	s_add_i32 s8, s8, -4
	v_add_u32_e32 v3, 0xbd0, v3
	s_mov_b32 s9, s1
.LBB35_91:                              ; =>This Inner Loop Header: Depth=1
	v_mov_b32_e32 v5, s8
	ds_read_b32 v4, v3
	ds_read_b32 v5, v5
	s_add_i32 s9, s9, -1
	s_add_i32 s8, s8, -4
	v_add_u32_e32 v3, 0xffffff90, v3
	s_cmp_gt_i32 s9, s10
	s_waitcnt lgkmcnt(0)
	v_fma_f32 v1, -v4, v5, v1
	s_cbranch_scc1 .LBB35_91
.LBB35_92:
	s_mul_i32 s8, s10, 0x74
	v_mov_b32_e32 v3, s8
	ds_read_b32 v3, v3
	v_add_u32_e32 v2, 0xc40, v2
	s_waitcnt lgkmcnt(0)
	v_div_scale_f32 v4, s[8:9], v3, v3, v1
	v_rcp_f32_e32 v5, v4
	v_div_scale_f32 v6, vcc, v1, v3, v1
	s_add_i32 s8, s10, -1
	v_fma_f32 v7, -v4, v5, 1.0
	v_fmac_f32_e32 v5, v7, v5
	v_mul_f32_e32 v7, v6, v5
	v_fma_f32 v8, -v4, v7, v6
	v_fmac_f32_e32 v7, v8, v5
	v_fma_f32 v4, -v4, v7, v6
	v_div_fmas_f32 v4, v4, v5, v7
	v_div_fixup_f32 v1, v4, v3, v1
	ds_write_b32 v2, v1
.LBB35_93:
	s_cmp_eq_u32 s10, 0
	s_cbranch_scc1 .LBB35_100
; %bb.94:
	s_mul_i32 s9, s8, 0x70
	s_lshl_b32 s10, s26, 2
	s_mul_i32 s11, s26, 0x70
	s_add_i32 s10, s9, s10
	v_lshl_add_u32 v1, v0, 2, s11
	s_add_i32 s9, s10, -4
	v_add_u32_e32 v1, 0xbd0, v1
	s_addk_i32 s10, 0xff8c
	s_branch .LBB35_96
.LBB35_95:                              ;   in Loop: Header=BB35_96 Depth=1
	s_addk_i32 s11, 0xff8c
	v_add_u32_e32 v3, 0xc40, v4
	v_mov_b32_e32 v4, s11
	ds_read_b32 v4, v4
	s_add_i32 s11, s8, -2
	s_addk_i32 s9, 0xff20
	s_addk_i32 s10, 0xff20
	s_cmp_lt_i32 s8, 2
	s_waitcnt lgkmcnt(0)
	v_div_scale_f32 v5, s[14:15], v4, v4, v2
	v_rcp_f32_e32 v6, v5
	v_div_scale_f32 v7, vcc, v2, v4, v2
	s_mov_b32 s8, s11
	v_fma_f32 v8, -v5, v6, 1.0
	v_fmac_f32_e32 v6, v8, v6
	v_mul_f32_e32 v8, v7, v6
	v_fma_f32 v9, -v5, v8, v7
	v_fmac_f32_e32 v8, v9, v6
	v_fma_f32 v5, -v5, v8, v7
	v_div_fmas_f32 v5, v5, v6, v8
	v_div_fixup_f32 v2, v5, v4, v2
	ds_write_b32 v3, v2
	s_cbranch_scc1 .LBB35_100
.LBB35_96:                              ; =>This Loop Header: Depth=1
                                        ;     Child Loop BB35_97 Depth 2
                                        ;     Child Loop BB35_99 Depth 2
	s_mul_i32 s14, s8, 28
	v_add_lshl_u32 v2, s14, v0, 2
	ds_read_b32 v3, v2 offset:3136
	s_cmp_le_i32 s1, s8
	v_mov_b32_e32 v4, v1
	s_mov_b32 s11, s9
	s_mov_b32 s15, s1
	s_cbranch_scc1 .LBB35_98
.LBB35_97:                              ;   Parent Loop BB35_96 Depth=1
                                        ; =>  This Inner Loop Header: Depth=2
	v_mov_b32_e32 v6, s11
	ds_read_b32 v5, v4
	ds_read_b32 v6, v6
	s_add_i32 s15, s15, -1
	s_add_i32 s11, s11, -4
	v_add_u32_e32 v4, 0xffffff90, v4
	s_cmp_le_i32 s15, s8
	s_waitcnt lgkmcnt(0)
	v_fma_f32 v3, -v5, v6, v3
	s_cbranch_scc0 .LBB35_97
.LBB35_98:                              ;   in Loop: Header=BB35_96 Depth=1
	s_mul_i32 s11, s8, 0x74
	v_add_u32_e32 v5, 0xc40, v2
	v_mov_b32_e32 v2, s11
	ds_read_b32 v6, v2
	s_sub_i32 s14, s14, 28
	v_add_lshl_u32 v4, s14, v0, 2
	ds_read_b32 v2, v4 offset:3136
	s_cmp_le_i32 s26, s8
	s_waitcnt lgkmcnt(1)
	v_div_scale_f32 v7, s[14:15], v6, v6, v3
	v_rcp_f32_e32 v8, v7
	v_div_scale_f32 v9, vcc, v3, v6, v3
	s_mov_b32 s14, s10
	v_fma_f32 v10, -v7, v8, 1.0
	v_fmac_f32_e32 v8, v10, v8
	v_mul_f32_e32 v10, v9, v8
	v_fma_f32 v11, -v7, v10, v9
	v_fmac_f32_e32 v10, v11, v8
	v_fma_f32 v7, -v7, v10, v9
	v_div_fmas_f32 v7, v7, v8, v10
	v_div_fixup_f32 v3, v7, v6, v3
	ds_write_b32 v5, v3
	v_mov_b32_e32 v3, v1
	s_mov_b32 s15, s26
	s_cbranch_scc1 .LBB35_95
.LBB35_99:                              ;   Parent Loop BB35_96 Depth=1
                                        ; =>  This Inner Loop Header: Depth=2
	v_mov_b32_e32 v6, s14
	ds_read_b32 v5, v3
	ds_read_b32 v6, v6
	s_add_i32 s15, s15, -1
	s_add_i32 s14, s14, -4
	v_add_u32_e32 v3, 0xffffff90, v3
	s_cmp_gt_i32 s15, s8
	s_waitcnt lgkmcnt(0)
	v_fma_f32 v2, -v5, v6, v2
	s_cbranch_scc1 .LBB35_99
	s_branch .LBB35_95
.LBB35_100:
	s_mov_b64 s[20:21], 0
.LBB35_101:
	s_andn2_b64 vcc, exec, s[20:21]
	s_cbranch_vccnz .LBB35_120
; %bb.102:
	s_cmp_lt_i32 s18, 4
	s_mov_b32 s9, 0
	s_cbranch_scc1 .LBB35_109
; %bb.103:
	v_mov_b32_e32 v1, 0xc40
	v_lshl_add_u32 v1, v0, 2, v1
	s_mov_b32 s1, 0
	s_mov_b32 s8, 0
.LBB35_104:                             ; =>This Loop Header: Depth=1
                                        ;     Child Loop BB35_106 Depth 2
	s_mul_i32 s9, s8, 28
	v_add_lshl_u32 v6, s9, v0, 2
	s_add_i32 s11, s9, 28
	s_add_i32 s10, s9, 56
	s_addk_i32 s9, 0x54
	v_add_lshl_u32 v8, s11, v0, 2
	v_add_lshl_u32 v9, s10, v0, 2
	v_add_lshl_u32 v10, s9, v0, 2
	ds_read_b32 v5, v6 offset:3136
	ds_read_b32 v4, v8 offset:3136
	;; [unrolled: 1-line block ×4, first 2 shown]
	s_cmp_eq_u32 s8, 0
	s_cbranch_scc1 .LBB35_107
; %bb.105:                              ;   in Loop: Header=BB35_104 Depth=1
	s_mov_b32 s14, 0
	v_mov_b32_e32 v7, v1
	s_mov_b32 s15, s1
.LBB35_106:                             ;   Parent Loop BB35_104 Depth=1
                                        ; =>  This Inner Loop Header: Depth=2
	v_mov_b32_e32 v11, s15
	ds_read2_b32 v[28:29], v7 offset1:28
	ds_read2_b32 v[30:31], v7 offset0:56 offset1:84
	ds_read_b128 v[12:15], v11
	ds_read_b128 v[16:19], v11 offset:112
	ds_read_b128 v[20:23], v11 offset:224
	;; [unrolled: 1-line block ×3, first 2 shown]
	s_add_i32 s14, s14, 4
	s_add_i32 s15, s15, 16
	s_waitcnt lgkmcnt(3)
	v_fma_f32 v5, -v28, v12, v5
	s_waitcnt lgkmcnt(2)
	v_fma_f32 v4, -v28, v16, v4
	;; [unrolled: 2-line block ×4, first 2 shown]
	v_fma_f32 v5, -v29, v13, v5
	v_fma_f32 v4, -v29, v17, v4
	;; [unrolled: 1-line block ×8, first 2 shown]
	v_add_u32_e32 v7, 0x1c0, v7
	s_cmp_ge_u32 s14, s8
	v_fma_f32 v5, -v31, v15, v5
	v_fma_f32 v4, -v31, v19, v4
	;; [unrolled: 1-line block ×4, first 2 shown]
	s_cbranch_scc0 .LBB35_106
.LBB35_107:                             ;   in Loop: Header=BB35_104 Depth=1
	s_mul_i32 s14, s8, 0x74
	v_add_u32_e32 v7, 0xc40, v6
	v_add_u32_e32 v6, 0xc40, v10
	v_mov_b32_e32 v10, s14
	ds_read_b32 v15, v10
	s_add_i32 s11, s11, s8
	s_add_i32 s10, s10, s8
	s_lshl_b32 s11, s11, 2
	s_lshl_b32 s10, s10, 2
	v_mov_b32_e32 v11, s11
	v_mov_b32_e32 v12, s10
	s_waitcnt lgkmcnt(0)
	v_div_scale_f32 v16, s[10:11], v15, v15, v5
	v_rcp_f32_e32 v17, v16
	ds_read_b64 v[10:11], v11
	ds_read_b96 v[12:14], v12
	s_add_i32 s9, s9, s8
	s_lshl_b32 s9, s9, 2
	v_fma_f32 v18, -v16, v17, 1.0
	v_fmac_f32_e32 v17, v18, v17
	v_div_scale_f32 v18, vcc, v5, v15, v5
	v_mul_f32_e32 v19, v18, v17
	v_fma_f32 v20, -v16, v19, v18
	v_fmac_f32_e32 v19, v20, v17
	v_fma_f32 v16, -v16, v19, v18
	v_div_fmas_f32 v16, v16, v17, v19
	v_div_fixup_f32 v5, v16, v15, v5
	s_waitcnt lgkmcnt(1)
	v_fma_f32 v4, -v5, v10, v4
	v_div_scale_f32 v10, s[10:11], v11, v11, v4
	v_rcp_f32_e32 v15, v10
	s_waitcnt lgkmcnt(0)
	v_fma_f32 v3, -v5, v12, v3
	v_add_u32_e32 v8, 0xc40, v8
	v_add_u32_e32 v9, 0xc40, v9
	v_fma_f32 v16, -v10, v15, 1.0
	v_fmac_f32_e32 v15, v16, v15
	v_div_scale_f32 v16, vcc, v4, v11, v4
	v_mul_f32_e32 v17, v16, v15
	v_fma_f32 v18, -v10, v17, v16
	v_fmac_f32_e32 v17, v18, v15
	v_fma_f32 v10, -v10, v17, v16
	v_div_fmas_f32 v10, v10, v15, v17
	v_div_fixup_f32 v4, v10, v11, v4
	v_fma_f32 v3, -v4, v13, v3
	v_div_scale_f32 v15, s[10:11], v14, v14, v3
	v_rcp_f32_e32 v16, v15
	v_div_scale_f32 v17, vcc, v3, v14, v3
	s_addk_i32 s1, 0x1c0
	v_fma_f32 v10, -v15, v16, 1.0
	v_fmac_f32_e32 v16, v10, v16
	v_mul_f32_e32 v18, v17, v16
	v_fma_f32 v10, -v15, v18, v17
	v_fmac_f32_e32 v18, v10, v16
	v_mov_b32_e32 v10, s9
	ds_read_b128 v[10:13], v10
	v_fma_f32 v15, -v15, v18, v17
	v_div_fmas_f32 v15, v15, v16, v18
	v_div_fixup_f32 v3, v15, v14, v3
	ds_write_b32 v7, v5
	ds_write_b32 v8, v4
	;; [unrolled: 1-line block ×3, first 2 shown]
	s_waitcnt lgkmcnt(3)
	v_fma_f32 v2, -v5, v10, v2
	v_fma_f32 v2, -v4, v11, v2
	;; [unrolled: 1-line block ×3, first 2 shown]
	v_div_scale_f32 v10, s[10:11], v13, v13, v2
	v_rcp_f32_e32 v11, v10
	s_add_i32 s9, s8, 4
	s_add_i32 s8, s8, 7
	s_cmp_ge_i32 s8, s26
	v_fma_f32 v3, -v10, v11, 1.0
	v_fmac_f32_e32 v11, v3, v11
	v_div_scale_f32 v3, vcc, v2, v13, v2
	v_mul_f32_e32 v4, v3, v11
	v_fma_f32 v5, -v10, v4, v3
	v_fmac_f32_e32 v4, v5, v11
	v_fma_f32 v3, -v10, v4, v3
	v_div_fmas_f32 v3, v3, v11, v4
	v_div_fixup_f32 v2, v3, v13, v2
	ds_write_b32 v6, v2
	s_cbranch_scc1 .LBB35_109
; %bb.108:                              ;   in Loop: Header=BB35_104 Depth=1
	s_mov_b32 s8, s9
	s_branch .LBB35_104
.LBB35_109:
	s_cmp_ge_i32 s9, s26
	s_cbranch_scc1 .LBB35_120
; %bb.110:
	v_mov_b32_e32 v1, 0xc40
	s_add_i32 s1, s9, -1
	s_mul_i32 s8, s9, 0x70
	v_lshl_add_u32 v1, v0, 2, v1
	s_mov_b32 s10, 0
	s_mov_b32 s11, s9
	s_branch .LBB35_112
.LBB35_111:                             ;   in Loop: Header=BB35_112 Depth=1
	s_mul_i32 s14, s9, 0x74
	v_mov_b32_e32 v4, s14
	ds_read_b32 v4, v4
	v_add_u32_e32 v3, 0xc40, v3
	s_add_i32 s9, s9, 1
	s_add_i32 s10, s10, 1
	s_addk_i32 s8, 0x70
	s_waitcnt lgkmcnt(0)
	v_div_scale_f32 v5, s[14:15], v4, v4, v2
	v_rcp_f32_e32 v6, v5
	v_div_scale_f32 v7, vcc, v2, v4, v2
	s_cmp_ge_i32 s9, s26
	v_fma_f32 v8, -v5, v6, 1.0
	v_fmac_f32_e32 v6, v8, v6
	v_mul_f32_e32 v8, v7, v6
	v_fma_f32 v9, -v5, v8, v7
	v_fmac_f32_e32 v8, v9, v6
	v_fma_f32 v5, -v5, v8, v7
	v_div_fmas_f32 v5, v5, v6, v8
	v_div_fixup_f32 v2, v5, v4, v2
	ds_write_b32 v3, v2
	v_add_u16_e64 v2, s11, 1
	v_readfirstlane_b32 s11, v2
	s_cbranch_scc1 .LBB35_120
.LBB35_112:                             ; =>This Loop Header: Depth=1
                                        ;     Child Loop BB35_115 Depth 2
                                        ;     Child Loop BB35_119 Depth 2
	s_mul_i32 s14, s9, 28
	v_add_lshl_u32 v3, s14, v0, 2
	ds_read_b32 v2, v3 offset:3136
	s_cmp_eq_u32 s9, 0
	s_cbranch_scc1 .LBB35_111
; %bb.113:                              ;   in Loop: Header=BB35_112 Depth=1
	s_add_i32 s14, s1, s10
	s_cmp_lt_u32 s14, 7
	s_cbranch_scc1 .LBB35_117
; %bb.114:                              ;   in Loop: Header=BB35_112 Depth=1
	s_and_b32 s14, s9, -8
	s_mov_b32 s15, 0
	v_mov_b32_e32 v4, v1
	s_mov_b32 s19, s8
.LBB35_115:                             ;   Parent Loop BB35_112 Depth=1
                                        ; =>  This Inner Loop Header: Depth=2
	v_mov_b32_e32 v5, s19
	ds_read2_b32 v[14:15], v4 offset1:28
	ds_read2_b32 v[16:17], v4 offset0:56 offset1:84
	ds_read2_b32 v[18:19], v4 offset0:112 offset1:140
	;; [unrolled: 1-line block ×3, first 2 shown]
	ds_read_b128 v[6:9], v5
	ds_read_b128 v[10:13], v5 offset:16
	s_add_i32 s15, s15, 8
	s_add_i32 s19, s19, 32
	v_add_u32_e32 v4, 0x380, v4
	s_waitcnt lgkmcnt(1)
	v_fma_f32 v2, -v14, v6, v2
	v_fma_f32 v2, -v15, v7, v2
	;; [unrolled: 1-line block ×4, first 2 shown]
	s_waitcnt lgkmcnt(0)
	v_fma_f32 v2, -v18, v10, v2
	v_fma_f32 v2, -v19, v11, v2
	;; [unrolled: 1-line block ×3, first 2 shown]
	s_cmp_eq_u32 s14, s15
	v_fma_f32 v2, -v21, v13, v2
	s_cbranch_scc0 .LBB35_115
; %bb.116:                              ;   in Loop: Header=BB35_112 Depth=1
	s_and_b32 s15, s9, 7
	s_cmp_eq_u32 s15, 0
	s_cbranch_scc0 .LBB35_118
	s_branch .LBB35_111
.LBB35_117:                             ;   in Loop: Header=BB35_112 Depth=1
	s_mov_b32 s14, 0
	s_and_b32 s15, s9, 7
	s_cmp_eq_u32 s15, 0
	s_cbranch_scc1 .LBB35_111
.LBB35_118:                             ;   in Loop: Header=BB35_112 Depth=1
	s_lshl_b32 s19, s14, 2
	s_mulk_i32 s14, 0x70
	s_and_b32 s15, s11, 7
	v_add_u32_e32 v4, s14, v1
.LBB35_119:                             ;   Parent Loop BB35_112 Depth=1
                                        ; =>  This Inner Loop Header: Depth=2
	s_add_i32 s14, s8, s19
	v_mov_b32_e32 v6, s14
	ds_read_b32 v5, v4
	ds_read_b32 v6, v6
	s_add_i32 s19, s19, 4
	s_add_i32 s15, s15, -1
	v_add_u32_e32 v4, 0x70, v4
	s_cmp_lg_u32 s15, 0
	s_waitcnt lgkmcnt(0)
	v_fma_f32 v2, -v5, v6, v2
	s_cbranch_scc1 .LBB35_119
	s_branch .LBB35_111
.LBB35_120:
	s_and_saveexec_b64 s[8:9], s[4:5]
	s_cbranch_execz .LBB35_132
; %bb.121:
	s_cmp_lt_u32 s18, 2
	s_cselect_b64 s[4:5], -1, 0
	s_cmp_lg_u32 s0, 1
	s_cselect_b64 s[8:9], -1, 0
	s_or_b64 s[4:5], s[4:5], s[8:9]
	s_mov_b32 s1, 1
	s_and_b64 vcc, exec, s[4:5]
	s_cbranch_vccnz .LBB35_129
; %bb.122:
	s_add_i32 s4, s18, -2
	s_lshr_b32 s5, s4, 1
	s_add_i32 s5, s5, 1
	s_mov_b32 s8, 0
	s_cmp_lt_u32 s4, 14
	s_mov_b32 s4, s8
	s_cbranch_scc1 .LBB35_125
; %bb.123:
	s_mul_i32 s1, s13, s7
	s_mul_hi_u32 s4, s12, s7
	s_add_i32 s11, s4, s1
	s_mul_i32 s10, s12, s7
	s_and_b32 s9, s5, -8
	s_lshl_b64 s[10:11], s[10:11], 2
	s_add_u32 s1, s10, s6
	s_addc_u32 s4, s11, s22
	s_lshl_b64 s[10:11], s[16:17], 2
	s_add_u32 s1, s1, s10
	s_addc_u32 s4, s4, s11
	s_add_u32 s1, s2, s1
	v_lshlrev_b32_e32 v1, 2, v0
	s_addc_u32 s4, s3, s4
	v_mov_b32_e32 v2, s4
	v_add_co_u32_e32 v1, vcc, s1, v1
	v_addc_co_u32_e32 v3, vcc, 0, v2, vcc
	v_add_co_u32_e32 v2, vcc, 56, v1
	v_addc_co_u32_e32 v3, vcc, 0, v3, vcc
	s_mov_b32 s1, 1
	s_mov_b32 s4, 0
.LBB35_124:                             ; =>This Inner Loop Header: Depth=1
	s_mul_i32 s10, s1, 28
	s_mul_i32 s11, s8, 28
	v_add_lshl_u32 v1, s11, v0, 2
	v_add_lshl_u32 v5, s10, v0, 2
	s_add_i32 s14, s10, 56
	s_add_i32 s15, s11, 56
	;; [unrolled: 1-line block ×12, first 2 shown]
	s_addk_i32 s10, 0x188
	s_addk_i32 s11, 0x188
	v_add_lshl_u32 v6, s15, v0, 2
	v_add_lshl_u32 v7, s14, v0, 2
	;; [unrolled: 1-line block ×14, first 2 shown]
	ds_read_b32 v4, v1 offset:3136
	ds_read_b32 v5, v5 offset:3136
	ds_read_b32 v6, v6 offset:3136
	ds_read_b32 v7, v7 offset:3136
	ds_read_b32 v8, v8 offset:3136
	ds_read_b32 v9, v9 offset:3136
	ds_read_b32 v10, v10 offset:3136
	ds_read_b32 v11, v11 offset:3136
	ds_read_b32 v12, v12 offset:3136
	ds_read_b32 v13, v13 offset:3136
	ds_read_b32 v14, v14 offset:3136
	ds_read_b32 v15, v15 offset:3136
	ds_read_b32 v16, v16 offset:3136
	ds_read_b32 v17, v17 offset:3136
	ds_read_b32 v18, v18 offset:3136
	ds_read_b32 v19, v19 offset:3136
	s_add_i32 s4, s4, 16
	s_add_i32 s1, s1, 16
	;; [unrolled: 1-line block ×3, first 2 shown]
	s_add_i32 s9, s9, -8
	s_waitcnt lgkmcnt(12)
	global_store_dwordx4 v[2:3], v[4:7], off offset:-56
	s_waitcnt lgkmcnt(8)
	global_store_dwordx4 v[2:3], v[8:11], off offset:-40
	;; [unrolled: 2-line block ×4, first 2 shown]
	v_add_co_u32_e32 v2, vcc, 64, v2
	s_cmp_lg_u32 s9, 0
	v_addc_co_u32_e32 v3, vcc, 0, v3, vcc
	s_cbranch_scc1 .LBB35_124
.LBB35_125:
	s_and_b32 s9, s5, 7
	s_cmp_eq_u32 s9, 0
	s_mov_b32 s5, 0
	s_cbranch_scc1 .LBB35_128
; %bb.126:
	s_mul_i32 s10, s13, s7
	s_mul_hi_u32 s11, s12, s7
	s_add_i32 s11, s11, s10
	s_mul_i32 s10, s12, s7
	s_lshl_b64 s[10:11], s[10:11], 2
	s_add_u32 s14, s10, s6
	s_addc_u32 s15, s11, s22
	s_lshl_b64 s[10:11], s[16:17], 2
	s_add_u32 s10, s14, s10
	s_addc_u32 s11, s15, s11
	;; [unrolled: 3-line block ×3, first 2 shown]
	s_add_u32 s4, s4, s10
	v_lshlrev_b32_e32 v1, 2, v0
	s_addc_u32 s5, s5, s11
	v_mov_b32_e32 v3, s5
	v_add_co_u32_e32 v2, vcc, s4, v1
	v_addc_co_u32_e32 v3, vcc, 0, v3, vcc
.LBB35_127:                             ; =>This Inner Loop Header: Depth=1
	s_mul_i32 s4, s1, 28
	s_mul_i32 s5, s8, 28
	v_add_lshl_u32 v1, s5, v0, 2
	v_add_lshl_u32 v5, s4, v0, 2
	ds_read_b32 v4, v1 offset:3136
	ds_read_b32 v5, v5 offset:3136
	s_add_i32 s1, s1, 2
	s_add_i32 s8, s8, 2
	s_add_i32 s9, s9, -1
	s_cmp_lg_u32 s9, 0
	s_waitcnt lgkmcnt(0)
	global_store_dwordx2 v[2:3], v[4:5], off
	v_add_co_u32_e32 v2, vcc, 8, v2
	v_addc_co_u32_e32 v3, vcc, 0, v3, vcc
	s_cbranch_scc1 .LBB35_127
.LBB35_128:
	s_and_b32 s8, s18, 0x7ffffffe
	s_cmp_lg_u32 s8, s18
	s_cselect_b64 s[4:5], -1, 0
	s_and_b64 vcc, exec, s[4:5]
	s_cbranch_vccnz .LBB35_130
	s_branch .LBB35_132
.LBB35_129:
	s_mov_b32 s8, 0
	s_cbranch_execz .LBB35_132
.LBB35_130:
	s_mul_i32 s5, s8, 0x70
	v_lshl_add_u32 v1, v0, 2, s5
	s_mul_i32 s5, s13, s7
	s_mul_hi_u32 s9, s12, s7
	s_sub_i32 s4, s18, s8
	s_add_i32 s11, s9, s5
	s_mul_i32 s10, s12, s7
	s_mul_hi_i32 s9, s0, s8
	s_mul_i32 s8, s0, s8
	s_ashr_i32 s1, s0, 31
	s_lshl_b64 s[10:11], s[10:11], 2
	s_lshl_b64 s[8:9], s[8:9], 2
	s_add_u32 s5, s10, s8
	s_addc_u32 s7, s11, s9
	s_add_u32 s5, s5, s6
	s_addc_u32 s8, s7, s22
	s_lshl_b64 s[6:7], s[16:17], 2
	s_add_u32 s5, s5, s6
	s_addc_u32 s6, s8, s7
	s_add_u32 s2, s2, s5
	v_lshlrev_b32_e32 v0, 2, v0
	s_addc_u32 s3, s3, s6
	v_add_u32_e32 v2, 0xc40, v1
	v_mov_b32_e32 v1, s3
	v_add_co_u32_e32 v0, vcc, s2, v0
	s_lshl_b64 s[0:1], s[0:1], 2
	v_addc_co_u32_e32 v1, vcc, 0, v1, vcc
	v_mov_b32_e32 v3, s1
.LBB35_131:                             ; =>This Inner Loop Header: Depth=1
	ds_read_b32 v4, v2
	s_add_i32 s4, s4, -1
	v_add_u32_e32 v2, 0x70, v2
	s_cmp_lg_u32 s4, 0
	s_waitcnt lgkmcnt(0)
	global_store_dword v[0:1], v4, off
	v_add_co_u32_e32 v0, vcc, s0, v0
	v_addc_co_u32_e32 v1, vcc, v1, v3, vcc
	s_cbranch_scc1 .LBB35_131
.LBB35_132:
	s_endpgm
	.section	.rodata,"a",@progbits
	.p2align	6, 0x0
	.amdhsa_kernel _ZL31rocblas_trsm_small_right_deviceIffPKfPfLi28EEv13rocblas_fill_18rocblas_operation_17rocblas_diagonal_iiT0_T1_lilT2_lili
		.amdhsa_group_segment_fixed_size 6272
		.amdhsa_private_segment_fixed_size 0
		.amdhsa_kernarg_size 352
		.amdhsa_user_sgpr_count 6
		.amdhsa_user_sgpr_private_segment_buffer 1
		.amdhsa_user_sgpr_dispatch_ptr 0
		.amdhsa_user_sgpr_queue_ptr 0
		.amdhsa_user_sgpr_kernarg_segment_ptr 1
		.amdhsa_user_sgpr_dispatch_id 0
		.amdhsa_user_sgpr_flat_scratch_init 0
		.amdhsa_user_sgpr_kernarg_preload_length 0
		.amdhsa_user_sgpr_kernarg_preload_offset 0
		.amdhsa_user_sgpr_private_segment_size 0
		.amdhsa_uses_dynamic_stack 0
		.amdhsa_system_sgpr_private_segment_wavefront_offset 0
		.amdhsa_system_sgpr_workgroup_id_x 1
		.amdhsa_system_sgpr_workgroup_id_y 0
		.amdhsa_system_sgpr_workgroup_id_z 1
		.amdhsa_system_sgpr_workgroup_info 0
		.amdhsa_system_vgpr_workitem_id 0
		.amdhsa_next_free_vgpr 60
		.amdhsa_next_free_sgpr 44
		.amdhsa_accum_offset 60
		.amdhsa_reserve_vcc 1
		.amdhsa_reserve_flat_scratch 0
		.amdhsa_float_round_mode_32 0
		.amdhsa_float_round_mode_16_64 0
		.amdhsa_float_denorm_mode_32 3
		.amdhsa_float_denorm_mode_16_64 3
		.amdhsa_dx10_clamp 1
		.amdhsa_ieee_mode 1
		.amdhsa_fp16_overflow 0
		.amdhsa_tg_split 0
		.amdhsa_exception_fp_ieee_invalid_op 0
		.amdhsa_exception_fp_denorm_src 0
		.amdhsa_exception_fp_ieee_div_zero 0
		.amdhsa_exception_fp_ieee_overflow 0
		.amdhsa_exception_fp_ieee_underflow 0
		.amdhsa_exception_fp_ieee_inexact 0
		.amdhsa_exception_int_div_zero 0
	.end_amdhsa_kernel
	.section	.text._ZL31rocblas_trsm_small_right_deviceIffPKfPfLi28EEv13rocblas_fill_18rocblas_operation_17rocblas_diagonal_iiT0_T1_lilT2_lili,"axG",@progbits,_ZL31rocblas_trsm_small_right_deviceIffPKfPfLi28EEv13rocblas_fill_18rocblas_operation_17rocblas_diagonal_iiT0_T1_lilT2_lili,comdat
.Lfunc_end35:
	.size	_ZL31rocblas_trsm_small_right_deviceIffPKfPfLi28EEv13rocblas_fill_18rocblas_operation_17rocblas_diagonal_iiT0_T1_lilT2_lili, .Lfunc_end35-_ZL31rocblas_trsm_small_right_deviceIffPKfPfLi28EEv13rocblas_fill_18rocblas_operation_17rocblas_diagonal_iiT0_T1_lilT2_lili
                                        ; -- End function
	.section	.AMDGPU.csdata,"",@progbits
; Kernel info:
; codeLenInByte = 10064
; NumSgprs: 48
; NumVgprs: 60
; NumAgprs: 0
; TotalNumVgprs: 60
; ScratchSize: 0
; MemoryBound: 0
; FloatMode: 240
; IeeeMode: 1
; LDSByteSize: 6272 bytes/workgroup (compile time only)
; SGPRBlocks: 5
; VGPRBlocks: 7
; NumSGPRsForWavesPerEU: 48
; NumVGPRsForWavesPerEU: 60
; AccumOffset: 60
; Occupancy: 3
; WaveLimiterHint : 0
; COMPUTE_PGM_RSRC2:SCRATCH_EN: 0
; COMPUTE_PGM_RSRC2:USER_SGPR: 6
; COMPUTE_PGM_RSRC2:TRAP_HANDLER: 0
; COMPUTE_PGM_RSRC2:TGID_X_EN: 1
; COMPUTE_PGM_RSRC2:TGID_Y_EN: 0
; COMPUTE_PGM_RSRC2:TGID_Z_EN: 1
; COMPUTE_PGM_RSRC2:TIDIG_COMP_CNT: 0
; COMPUTE_PGM_RSRC3_GFX90A:ACCUM_OFFSET: 14
; COMPUTE_PGM_RSRC3_GFX90A:TG_SPLIT: 0
	.section	.text._ZL38rocblas_trsm_small_left_device_sharedBILi32ELi32ELb0EffPKfPfEv13rocblas_fill_18rocblas_operation_17rocblas_diagonal_iiT3_T4_lilT5_lili,"axG",@progbits,_ZL38rocblas_trsm_small_left_device_sharedBILi32ELi32ELb0EffPKfPfEv13rocblas_fill_18rocblas_operation_17rocblas_diagonal_iiT3_T4_lilT5_lili,comdat
	.globl	_ZL38rocblas_trsm_small_left_device_sharedBILi32ELi32ELb0EffPKfPfEv13rocblas_fill_18rocblas_operation_17rocblas_diagonal_iiT3_T4_lilT5_lili ; -- Begin function _ZL38rocblas_trsm_small_left_device_sharedBILi32ELi32ELb0EffPKfPfEv13rocblas_fill_18rocblas_operation_17rocblas_diagonal_iiT3_T4_lilT5_lili
	.p2align	8
	.type	_ZL38rocblas_trsm_small_left_device_sharedBILi32ELi32ELb0EffPKfPfEv13rocblas_fill_18rocblas_operation_17rocblas_diagonal_iiT3_T4_lilT5_lili,@function
_ZL38rocblas_trsm_small_left_device_sharedBILi32ELi32ELb0EffPKfPfEv13rocblas_fill_18rocblas_operation_17rocblas_diagonal_iiT3_T4_lilT5_lili: ; @_ZL38rocblas_trsm_small_left_device_sharedBILi32ELi32ELb0EffPKfPfEv13rocblas_fill_18rocblas_operation_17rocblas_diagonal_iiT3_T4_lilT5_lili
; %bb.0:
	s_load_dwordx4 s[8:11], s[4:5], 0x4
	s_load_dword s18, s[4:5], 0x14
	s_load_dwordx4 s[0:3], s[4:5], 0x30
	s_load_dwordx2 s[16:17], s[4:5], 0x40
	s_mov_b32 s27, 0
	s_waitcnt lgkmcnt(0)
	s_min_i32 s26, s10, 32
	v_cmp_gt_i32_e32 vcc, s26, v0
	s_and_saveexec_b64 s[20:21], vcc
	s_cbranch_execz .LBB36_15
; %bb.1:
	s_load_dword s22, s[4:5], 0x28
	s_load_dwordx4 s[12:15], s[4:5], 0x18
	s_cmp_gt_u32 s26, 1
	s_cselect_b64 s[24:25], -1, 0
	s_mov_b32 s19, 1
	s_waitcnt lgkmcnt(0)
	s_cmp_eq_u32 s22, 1
	s_cselect_b64 s[28:29], -1, 0
	s_and_b64 s[28:29], s[24:25], s[28:29]
	s_mov_b64 s[24:25], -1
	s_and_b64 vcc, exec, s[28:29]
	s_cbranch_vccz .LBB36_9
; %bb.2:
	s_add_i32 s24, s26, -2
	s_lshr_b32 s25, s24, 1
	s_add_i32 s25, s25, 1
	s_mov_b32 s23, 0
	s_cmp_lt_u32 s24, 14
	s_mov_b32 s24, s23
	s_cbranch_scc1 .LBB36_5
; %bb.3:
	s_mul_i32 s19, s1, s7
	s_mul_hi_u32 s23, s0, s7
	s_add_i32 s29, s23, s19
	s_mul_i32 s28, s0, s7
	s_and_b32 s27, s25, -8
	s_lshl_b64 s[28:29], s[28:29], 2
	s_lshl_b64 s[30:31], s[14:15], 2
	s_add_u32 s19, s28, s30
	s_addc_u32 s23, s29, s31
	s_add_u32 s19, s12, s19
	v_lshlrev_b32_e32 v1, 2, v0
	s_addc_u32 s23, s13, s23
	v_mov_b32_e32 v2, s23
	v_add_co_u32_e32 v1, vcc, s19, v1
	v_addc_co_u32_e32 v3, vcc, 0, v2, vcc
	v_add_co_u32_e32 v2, vcc, 56, v1
	v_addc_co_u32_e32 v3, vcc, 0, v3, vcc
	s_mov_b32 s19, 1
	s_mov_b32 s24, 0
	;; [unrolled: 1-line block ×3, first 2 shown]
.LBB36_4:                               ; =>This Inner Loop Header: Depth=1
	global_load_dwordx4 v[4:7], v[2:3], off offset:-56
	global_load_dwordx4 v[8:11], v[2:3], off offset:-40
	;; [unrolled: 1-line block ×4, first 2 shown]
	s_lshl_b32 s28, s23, 5
	s_lshl_b32 s29, s19, 5
	s_add_i32 s24, s24, 16
	s_add_i32 s19, s19, 16
	;; [unrolled: 1-line block ×3, first 2 shown]
	s_add_i32 s27, s27, -8
	v_add_co_u32_e32 v2, vcc, 64, v2
	v_or_b32_e32 v1, s29, v0
	v_or_b32_e32 v20, s28, v0
	s_add_i32 s30, s28, 64
	s_add_i32 s31, s29, 64
	;; [unrolled: 1-line block ×12, first 2 shown]
	s_addk_i32 s28, 0x1c0
	s_addk_i32 s29, 0x1c0
	v_addc_co_u32_e32 v3, vcc, 0, v3, vcc
	v_lshlrev_b32_e32 v20, 2, v20
	v_or_b32_e32 v21, s31, v0
	v_or_b32_e32 v22, s30, v0
	;; [unrolled: 1-line block ×14, first 2 shown]
	s_cmp_lg_u32 s27, 0
	v_lshlrev_b32_e32 v1, 2, v1
	v_lshlrev_b32_e32 v22, 2, v22
	;; [unrolled: 1-line block ×15, first 2 shown]
	s_waitcnt vmcnt(3)
	ds_write_b32 v20, v4
	ds_write_b32 v1, v5
	ds_write_b32 v22, v6
	ds_write_b32 v21, v7
	s_waitcnt vmcnt(2)
	ds_write_b32 v24, v8
	ds_write_b32 v23, v9
	ds_write_b32 v26, v10
	ds_write_b32 v25, v11
	s_waitcnt vmcnt(1)
	ds_write_b32 v28, v12
	ds_write_b32 v27, v13
	ds_write_b32 v30, v14
	ds_write_b32 v29, v15
	s_waitcnt vmcnt(0)
	ds_write_b32 v32, v16
	ds_write_b32 v31, v17
	ds_write_b32 v34, v18
	ds_write_b32 v33, v19
	s_cbranch_scc1 .LBB36_4
.LBB36_5:
	s_and_b32 s27, s25, 7
	s_cmp_eq_u32 s27, 0
	s_mov_b32 s25, 0
	s_cbranch_scc1 .LBB36_8
; %bb.6:
	s_mul_i32 s28, s1, s7
	s_mul_hi_u32 s29, s0, s7
	s_add_i32 s29, s29, s28
	s_mul_i32 s28, s0, s7
	s_lshl_b64 s[28:29], s[28:29], 2
	s_lshl_b64 s[30:31], s[14:15], 2
	s_add_u32 s28, s28, s30
	s_addc_u32 s29, s29, s31
	s_lshl_b64 s[24:25], s[24:25], 2
	s_add_u32 s24, s12, s24
	s_addc_u32 s25, s13, s25
	s_add_u32 s24, s24, s28
	v_lshlrev_b32_e32 v1, 2, v0
	s_addc_u32 s25, s25, s29
	v_mov_b32_e32 v3, s25
	v_add_co_u32_e32 v2, vcc, s24, v1
	v_addc_co_u32_e32 v3, vcc, 0, v3, vcc
	s_lshl_b32 s24, s27, 3
.LBB36_7:                               ; =>This Inner Loop Header: Depth=1
	global_load_dwordx2 v[4:5], v[2:3], off
	v_lshl_or_b32 v6, s23, 7, v1
	v_lshl_or_b32 v7, s19, 7, v1
	s_add_i32 s19, s19, 2
	s_add_i32 s23, s23, 2
	v_add_co_u32_e32 v2, vcc, 8, v2
	s_add_i32 s24, s24, -8
	v_addc_co_u32_e32 v3, vcc, 0, v3, vcc
	s_cmp_lg_u32 s24, 0
	s_waitcnt vmcnt(0)
	ds_write_b32 v6, v4
	ds_write_b32 v7, v5
	s_cbranch_scc1 .LBB36_7
.LBB36_8:
	s_and_b32 s27, s26, -2
	s_cmp_lg_u32 s26, s27
	s_cselect_b64 s[24:25], -1, 0
.LBB36_9:
	s_and_b64 vcc, exec, s[24:25]
	s_cbranch_vccz .LBB36_12
; %bb.10:
	s_ashr_i32 s23, s22, 31
	s_mul_i32 s1, s1, s7
	s_mul_hi_u32 s19, s0, s7
	s_add_i32 s1, s19, s1
	s_mul_hi_u32 s19, s22, s27
	s_mul_i32 s24, s23, s27
	s_mul_i32 s0, s0, s7
	s_add_i32 s25, s19, s24
	s_mul_i32 s24, s22, s27
	s_lshl_b64 s[0:1], s[0:1], 2
	s_lshl_b64 s[24:25], s[24:25], 2
	s_add_u32 s19, s0, s24
	s_addc_u32 s24, s1, s25
	s_lshl_b64 s[0:1], s[14:15], 2
	s_add_u32 s0, s19, s0
	s_addc_u32 s1, s24, s1
	s_add_u32 s0, s12, s0
	v_lshlrev_b32_e32 v1, 2, v0
	s_addc_u32 s1, s13, s1
	v_mov_b32_e32 v3, s1
	v_add_co_u32_e32 v2, vcc, s0, v1
	s_lshl_b64 s[0:1], s[22:23], 2
	v_addc_co_u32_e32 v3, vcc, 0, v3, vcc
	v_lshl_or_b32 v1, s27, 7, v1
	s_sub_i32 s12, s26, s27
	v_mov_b32_e32 v4, s1
.LBB36_11:                              ; =>This Inner Loop Header: Depth=1
	global_load_dword v5, v[2:3], off
	v_add_co_u32_e32 v2, vcc, s0, v2
	s_add_i32 s12, s12, -1
	v_addc_co_u32_e32 v3, vcc, v3, v4, vcc
	s_cmp_eq_u32 s12, 0
	s_waitcnt vmcnt(0)
	ds_write_b32 v1, v5
	v_add_u32_e32 v1, 0x80, v1
	s_cbranch_scc0 .LBB36_11
.LBB36_12:
	v_mul_u32_u24_e32 v1, 33, v0
	s_cmpk_lg_i32 s9, 0x84
	v_lshlrev_b32_e32 v1, 2, v1
	v_mov_b32_e32 v2, 1.0
	s_cbranch_scc0 .LBB36_14
; %bb.13:
	ds_read_b32 v2, v1
	s_waitcnt lgkmcnt(0)
	v_div_scale_f32 v3, s[0:1], v2, v2, 1.0
	v_rcp_f32_e32 v4, v3
	v_div_scale_f32 v5, vcc, 1.0, v2, 1.0
	v_fma_f32 v6, -v3, v4, 1.0
	v_fmac_f32_e32 v4, v6, v4
	v_mul_f32_e32 v6, v5, v4
	v_fma_f32 v7, -v3, v6, v5
	v_fmac_f32_e32 v6, v7, v4
	v_fma_f32 v3, -v3, v6, v5
	v_div_fmas_f32 v3, v3, v4, v6
	v_div_fixup_f32 v2, v3, v2, 1.0
.LBB36_14:
	ds_write_b32 v1, v2
.LBB36_15:
	s_or_b64 exec, exec, s[20:21]
	s_load_dword s9, s[4:5], 0x60
	s_load_dword s22, s[4:5], 0x48
	s_load_dwordx2 s[0:1], s[4:5], 0x50
	s_lshl_b32 s4, s6, 5
	s_sub_i32 s5, s11, s4
	s_waitcnt lgkmcnt(0)
	s_add_i32 s9, s9, -1
	s_ashr_i32 s11, s22, 31
	s_cmp_ge_u32 s6, s9
	s_cselect_b32 s6, s5, 32
	s_ashr_i32 s5, s4, 31
	s_cmp_gt_i32 s10, 0
	v_cmp_gt_i32_e32 vcc, s6, v0
	s_cselect_b64 s[12:13], -1, 0
	s_mov_b32 s9, 0
	s_and_b64 s[12:13], vcc, s[12:13]
	s_and_saveexec_b64 s[14:15], s[12:13]
	s_cbranch_execz .LBB36_27
; %bb.16:
	s_cmp_lt_i32 s10, 2
	s_mov_b64 s[20:21], -1
	s_cbranch_scc1 .LBB36_24
; %bb.17:
	s_add_i32 s20, s26, -2
	s_lshr_b32 s21, s20, 1
	s_add_i32 s21, s21, 1
	s_mov_b32 s19, s18
	s_mov_b32 s6, 1
	s_cmp_lt_u32 s20, 14
	s_mov_b32 s20, s9
	s_cbranch_scc1 .LBB36_20
; %bb.18:
	s_mul_i32 s9, s1, s7
	s_mul_hi_u32 s20, s0, s7
	s_add_i32 s25, s20, s9
	s_mul_i32 s24, s0, s7
	s_lshl_b64 s[28:29], s[4:5], 2
	v_lshlrev_b32_e32 v1, 2, v0
	s_and_b32 s23, s21, -8
	s_lshl_b64 s[24:25], s[24:25], 2
	v_mov_b32_e32 v2, s29
	v_add_co_u32_e32 v1, vcc, s28, v1
	s_lshl_b64 s[28:29], s[16:17], 2
	s_add_u32 s9, s2, s28
	s_addc_u32 s20, s3, s29
	s_add_u32 s24, s9, s24
	s_addc_u32 s25, s20, s25
	v_addc_co_u32_e32 v4, vcc, 0, v2, vcc
	v_pk_mov_b32 v[2:3], s[24:25], s[24:25] op_sel:[0,1]
	v_mad_u64_u32 v[2:3], s[24:25], v1, s22, v[2:3]
	v_mul_lo_u32 v1, v1, s11
	v_mul_lo_u32 v4, v4, s22
	v_add3_u32 v1, v4, v3, v1
	v_add_co_u32_e32 v2, vcc, 56, v2
	v_addc_co_u32_e32 v3, vcc, 0, v1, vcc
	s_mov_b32 s20, 0
	s_mov_b32 s9, 0
.LBB36_19:                              ; =>This Inner Loop Header: Depth=1
	global_load_dwordx4 v[4:7], v[2:3], off offset:-56
	global_load_dwordx4 v[8:11], v[2:3], off offset:-40
	;; [unrolled: 1-line block ×4, first 2 shown]
	s_lshl_b32 s24, s9, 5
	s_lshl_b32 s25, s6, 5
	s_add_i32 s20, s20, 16
	s_add_i32 s6, s6, 16
	;; [unrolled: 1-line block ×3, first 2 shown]
	s_add_i32 s23, s23, -8
	v_add_co_u32_e32 v2, vcc, 64, v2
	v_or_b32_e32 v1, s25, v0
	v_or_b32_e32 v20, s24, v0
	s_add_i32 s27, s24, 64
	s_add_i32 s28, s25, 64
	;; [unrolled: 1-line block ×12, first 2 shown]
	s_addk_i32 s24, 0x1c0
	s_addk_i32 s25, 0x1c0
	v_addc_co_u32_e32 v3, vcc, 0, v3, vcc
	v_lshlrev_b32_e32 v20, 2, v20
	v_or_b32_e32 v21, s28, v0
	v_or_b32_e32 v22, s27, v0
	;; [unrolled: 1-line block ×14, first 2 shown]
	s_cmp_lg_u32 s23, 0
	v_lshlrev_b32_e32 v1, 2, v1
	v_lshlrev_b32_e32 v22, 2, v22
	;; [unrolled: 1-line block ×15, first 2 shown]
	s_waitcnt vmcnt(3)
	v_pk_mul_f32 v[4:5], v[4:5], s[18:19]
	v_pk_mul_f32 v[6:7], v[6:7], s[18:19]
	s_waitcnt vmcnt(2)
	v_pk_mul_f32 v[8:9], v[8:9], s[18:19]
	v_pk_mul_f32 v[10:11], v[10:11], s[18:19]
	;; [unrolled: 3-line block ×4, first 2 shown]
	ds_write_b32 v20, v4 offset:4096
	ds_write_b32 v1, v5 offset:4096
	ds_write_b32 v22, v6 offset:4096
	ds_write_b32 v21, v7 offset:4096
	ds_write_b32 v24, v8 offset:4096
	ds_write_b32 v23, v9 offset:4096
	ds_write_b32 v26, v10 offset:4096
	ds_write_b32 v25, v11 offset:4096
	ds_write_b32 v28, v12 offset:4096
	ds_write_b32 v27, v13 offset:4096
	ds_write_b32 v30, v14 offset:4096
	ds_write_b32 v29, v15 offset:4096
	ds_write_b32 v32, v16 offset:4096
	ds_write_b32 v31, v17 offset:4096
	ds_write_b32 v34, v18 offset:4096
	ds_write_b32 v33, v19 offset:4096
	s_cbranch_scc1 .LBB36_19
.LBB36_20:
	s_and_b32 s23, s21, 7
	s_cmp_eq_u32 s23, 0
	s_mov_b32 s21, 0
	s_cbranch_scc1 .LBB36_23
; %bb.21:
	s_mul_i32 s24, s1, s7
	s_mul_hi_u32 s25, s0, s7
	s_add_i32 s25, s25, s24
	s_mul_i32 s24, s0, s7
	s_lshl_b64 s[28:29], s[4:5], 2
	v_lshlrev_b32_e32 v1, 2, v0
	s_lshl_b64 s[24:25], s[24:25], 2
	v_mov_b32_e32 v2, s29
	v_add_co_u32_e32 v4, vcc, s28, v1
	s_lshl_b64 s[28:29], s[16:17], 2
	s_lshl_b64 s[20:21], s[20:21], 2
	s_add_u32 s20, s2, s20
	s_addc_u32 s21, s3, s21
	s_add_u32 s20, s20, s28
	s_addc_u32 s21, s21, s29
	;; [unrolled: 2-line block ×3, first 2 shown]
	v_addc_co_u32_e32 v5, vcc, 0, v2, vcc
	v_pk_mov_b32 v[2:3], s[20:21], s[20:21] op_sel:[0,1]
	v_mad_u64_u32 v[2:3], s[20:21], v4, s22, v[2:3]
	v_mul_lo_u32 v4, v4, s11
	v_mul_lo_u32 v5, v5, s22
	v_add3_u32 v3, v5, v3, v4
	s_lshl_b32 s20, s23, 3
.LBB36_22:                              ; =>This Inner Loop Header: Depth=1
	global_load_dwordx2 v[4:5], v[2:3], off
	v_lshl_or_b32 v6, s9, 7, v1
	v_lshl_or_b32 v7, s6, 7, v1
	s_add_i32 s6, s6, 2
	s_add_i32 s9, s9, 2
	v_add_co_u32_e32 v2, vcc, 8, v2
	s_add_i32 s20, s20, -8
	v_addc_co_u32_e32 v3, vcc, 0, v3, vcc
	s_cmp_lg_u32 s20, 0
	s_waitcnt vmcnt(0)
	v_pk_mul_f32 v[4:5], v[4:5], s[18:19]
	ds_write_b32 v6, v4 offset:4096
	ds_write_b32 v7, v5 offset:4096
	s_cbranch_scc1 .LBB36_22
.LBB36_23:
	s_and_b32 s9, s26, 62
	s_cmp_lg_u32 s26, s9
	s_cselect_b64 s[20:21], -1, 0
.LBB36_24:
	s_and_b64 vcc, exec, s[20:21]
	s_cbranch_vccz .LBB36_27
; %bb.25:
	s_mul_i32 s19, s1, s7
	s_mul_hi_u32 s20, s0, s7
	v_lshlrev_b32_e32 v2, 2, v0
	s_add_i32 s21, s20, s19
	s_mul_i32 s20, s0, s7
	s_lshl_b64 s[24:25], s[4:5], 2
	v_lshl_or_b32 v1, s9, 7, v2
	s_sub_i32 s6, s26, s9
	s_lshl_b64 s[20:21], s[20:21], 2
	v_mov_b32_e32 v3, s25
	v_add_co_u32_e32 v4, vcc, s24, v2
	s_lshl_b64 s[24:25], s[16:17], 2
	s_lshl_b32 s9, s9, 2
	s_add_u32 s9, s2, s9
	s_addc_u32 s19, s3, 0
	s_add_u32 s9, s9, s24
	s_addc_u32 s19, s19, s25
	;; [unrolled: 2-line block ×3, first 2 shown]
	v_addc_co_u32_e32 v5, vcc, 0, v3, vcc
	v_pk_mov_b32 v[2:3], s[20:21], s[20:21] op_sel:[0,1]
	v_mad_u64_u32 v[2:3], s[20:21], v4, s22, v[2:3]
	v_mul_lo_u32 v4, v4, s11
	v_mul_lo_u32 v5, v5, s22
	v_add_u32_e32 v1, 0x1000, v1
	v_add3_u32 v3, v5, v3, v4
.LBB36_26:                              ; =>This Inner Loop Header: Depth=1
	global_load_dword v4, v[2:3], off
	s_add_i32 s6, s6, -1
	v_add_co_u32_e32 v2, vcc, 4, v2
	v_addc_co_u32_e32 v3, vcc, 0, v3, vcc
	s_cmp_lg_u32 s6, 0
	s_waitcnt vmcnt(0)
	v_mul_f32_e32 v4, s18, v4
	ds_write_b32 v1, v4
	v_add_u32_e32 v1, 0x80, v1
	s_cbranch_scc1 .LBB36_26
.LBB36_27:
	s_or_b64 exec, exec, s[14:15]
	s_cmpk_eq_i32 s8, 0x6f
	s_mov_b64 s[8:9], -1
	s_waitcnt lgkmcnt(0)
	; wave barrier
	s_waitcnt lgkmcnt(0)
	s_cbranch_scc1 .LBB36_48
; %bb.28:
	s_cmp_gt_i32 s10, 31
	s_cselect_b64 s[8:9], -1, 0
	s_mov_b32 s6, 0
	s_and_b64 vcc, exec, s[8:9]
	s_cbranch_vccz .LBB36_30
; %bb.29:
	v_lshlrev_b32_e32 v1, 2, v0
	v_add_u32_e32 v50, 0x1000, v1
	ds_read2_b32 v[22:23], v50 offset1:32
	ds_read2_b32 v[32:33], v50 offset0:64 offset1:96
	ds_read2_b32 v[40:41], v50 offset0:128 offset1:160
	;; [unrolled: 1-line block ×3, first 2 shown]
	v_add_u32_e32 v51, 0x1400, v1
	v_add_u32_e32 v35, 0x1800, v1
	;; [unrolled: 1-line block ×3, first 2 shown]
	v_mov_b32_e32 v20, 0
	ds_read2_b32 v[44:45], v51 offset1:32
	ds_read2_b32 v[46:47], v51 offset0:64 offset1:96
	ds_read2_b32 v[48:49], v51 offset0:128 offset1:160
	ds_read2_b32 v[18:19], v51 offset0:192 offset1:224
	ds_read2_b32 v[16:17], v35 offset1:32
	ds_read2_b32 v[14:15], v35 offset0:64 offset1:96
	ds_read2_b32 v[12:13], v35 offset0:128 offset1:160
	;; [unrolled: 1-line block ×3, first 2 shown]
	ds_read2_b32 v[8:9], v1 offset1:32
	ds_read2_b32 v[6:7], v1 offset0:64 offset1:96
	ds_read_b32 v21, v20
	ds_read_b64 v[24:25], v20 offset:128
	ds_read2_b32 v[4:5], v1 offset0:128 offset1:160
	ds_read2_b32 v[2:3], v1 offset0:192 offset1:224
	ds_read_b96 v[28:30], v20 offset:256
	s_waitcnt lgkmcnt(4)
	v_mul_f32_e32 v21, v21, v22
	s_waitcnt lgkmcnt(3)
	v_fma_f32 v22, -v21, v24, v23
	v_mul_f32_e32 v22, v25, v22
	ds_read_b128 v[24:27], v20 offset:384
	s_waitcnt lgkmcnt(1)
	v_fma_f32 v23, -v21, v28, v32
	v_fma_f32 v23, -v22, v29, v23
	v_mul_f32_e32 v23, v30, v23
	ds_read_b128 v[28:31], v20 offset:512
	s_waitcnt lgkmcnt(1)
	v_fma_f32 v24, -v21, v24, v33
	v_fma_f32 v24, -v22, v25, v24
	;; [unrolled: 1-line block ×3, first 2 shown]
	v_mul_f32_e32 v24, v27, v24
	ds_write2_b32 v50, v21, v22 offset1:32
	ds_write2_b32 v50, v23, v24 offset0:64 offset1:96
	ds_read_b32 v26, v20 offset:528
	ds_read_b128 v[36:39], v20 offset:640
	s_waitcnt lgkmcnt(4)
	v_fma_f32 v25, -v21, v28, v40
	v_fma_f32 v25, -v22, v29, v25
	;; [unrolled: 1-line block ×4, first 2 shown]
	s_waitcnt lgkmcnt(0)
	v_fma_f32 v28, -v21, v36, v41
	v_mul_f32_e32 v25, v26, v25
	ds_read_b64 v[26:27], v20 offset:656
	v_fma_f32 v28, -v22, v37, v28
	v_fma_f32 v32, -v23, v38, v28
	ds_read_b128 v[28:31], v20 offset:768
	v_fma_f32 v32, -v24, v39, v32
	s_waitcnt lgkmcnt(1)
	v_fma_f32 v26, -v25, v26, v32
	ds_read_b96 v[32:34], v20 offset:784
	ds_read_b128 v[36:39], v20 offset:896
	v_mul_f32_e32 v26, v27, v26
	s_waitcnt lgkmcnt(2)
	v_fma_f32 v27, -v21, v28, v42
	v_fma_f32 v27, -v22, v29, v27
	;; [unrolled: 1-line block ×4, first 2 shown]
	ds_read_b128 v[28:31], v20 offset:912
	s_waitcnt lgkmcnt(2)
	v_fma_f32 v27, -v25, v32, v27
	s_waitcnt lgkmcnt(1)
	v_fma_f32 v32, -v21, v36, v43
	v_fma_f32 v32, -v22, v37, v32
	;; [unrolled: 1-line block ×4, first 2 shown]
	ds_read_b128 v[36:39], v20 offset:1024
	v_fma_f32 v27, -v26, v33, v27
	s_waitcnt lgkmcnt(1)
	v_fma_f32 v28, -v25, v28, v32
	v_mul_f32_e32 v27, v34, v27
	v_fma_f32 v28, -v26, v29, v28
	v_fma_f32 v28, -v27, v30, v28
	v_mul_f32_e32 v28, v31, v28
	ds_write2_b32 v50, v25, v26 offset0:128 offset1:160
	ds_write2_b32 v50, v27, v28 offset0:192 offset1:224
	ds_read_b128 v[30:33], v20 offset:1040
	ds_read_b32 v29, v20 offset:1056
	s_waitcnt lgkmcnt(4)
	v_fma_f32 v34, -v21, v36, v44
	v_fma_f32 v34, -v22, v37, v34
	;; [unrolled: 1-line block ×4, first 2 shown]
	s_waitcnt lgkmcnt(1)
	v_fma_f32 v30, -v25, v30, v34
	ds_read_b128 v[36:39], v20 offset:1152
	v_fma_f32 v30, -v26, v31, v30
	v_fma_f32 v30, -v27, v32, v30
	;; [unrolled: 1-line block ×3, first 2 shown]
	s_waitcnt lgkmcnt(1)
	v_mul_f32_e32 v29, v29, v30
	ds_read_b128 v[30:33], v20 offset:1168
	s_waitcnt lgkmcnt(1)
	v_fma_f32 v34, -v21, v36, v45
	v_fma_f32 v34, -v22, v37, v34
	;; [unrolled: 1-line block ×4, first 2 shown]
	ds_read_b64 v[40:41], v20 offset:1184
	ds_read_b128 v[36:39], v20 offset:1280
	s_waitcnt lgkmcnt(2)
	v_fma_f32 v30, -v25, v30, v34
	v_fma_f32 v30, -v26, v31, v30
	;; [unrolled: 1-line block ×4, first 2 shown]
	s_waitcnt lgkmcnt(1)
	v_fma_f32 v30, -v29, v40, v30
	v_mul_f32_e32 v30, v41, v30
	ds_read_b128 v[40:43], v20 offset:1296
	ds_read_b96 v[32:34], v20 offset:1312
	s_waitcnt lgkmcnt(2)
	v_fma_f32 v31, -v21, v36, v46
	v_fma_f32 v31, -v22, v37, v31
	;; [unrolled: 1-line block ×4, first 2 shown]
	ds_read_b128 v[36:39], v20 offset:1408
	s_waitcnt lgkmcnt(2)
	v_fma_f32 v31, -v25, v40, v31
	v_fma_f32 v31, -v26, v41, v31
	;; [unrolled: 1-line block ×4, first 2 shown]
	ds_read_b128 v[40:43], v20 offset:1424
	s_waitcnt lgkmcnt(2)
	v_fma_f32 v31, -v29, v32, v31
	s_waitcnt lgkmcnt(1)
	v_fma_f32 v32, -v21, v36, v47
	v_fma_f32 v32, -v22, v37, v32
	;; [unrolled: 1-line block ×4, first 2 shown]
	ds_read_b128 v[36:39], v20 offset:1440
	s_waitcnt lgkmcnt(1)
	v_fma_f32 v32, -v25, v40, v32
	v_fma_f32 v32, -v26, v41, v32
	;; [unrolled: 1-line block ×4, first 2 shown]
	ds_read_b128 v[40:43], v20 offset:1536
	v_fma_f32 v31, -v30, v33, v31
	s_waitcnt lgkmcnt(1)
	v_fma_f32 v32, -v29, v36, v32
	v_mul_f32_e32 v31, v34, v31
	v_fma_f32 v32, -v30, v37, v32
	v_fma_f32 v32, -v31, v38, v32
	v_mul_f32_e32 v32, v39, v32
	ds_write2_b32 v51, v29, v30 offset1:32
	ds_write2_b32 v51, v31, v32 offset0:64 offset1:96
	ds_read_b128 v[36:39], v20 offset:1552
	ds_read_b128 v[44:47], v20 offset:1568
	s_waitcnt lgkmcnt(4)
	v_fma_f32 v33, -v21, v40, v48
	v_fma_f32 v33, -v22, v41, v33
	;; [unrolled: 1-line block ×4, first 2 shown]
	s_waitcnt lgkmcnt(1)
	v_fma_f32 v33, -v25, v36, v33
	v_fma_f32 v33, -v26, v37, v33
	v_fma_f32 v33, -v27, v38, v33
	v_fma_f32 v33, -v28, v39, v33
	ds_read_b32 v34, v20 offset:1584
	ds_read_b128 v[36:39], v20 offset:1664
	s_waitcnt lgkmcnt(2)
	v_fma_f32 v33, -v29, v44, v33
	v_fma_f32 v33, -v30, v45, v33
	;; [unrolled: 1-line block ×4, first 2 shown]
	ds_read_b128 v[40:43], v20 offset:1680
	s_waitcnt lgkmcnt(2)
	v_mul_f32_e32 v33, v34, v33
	s_waitcnt lgkmcnt(1)
	v_fma_f32 v34, -v21, v36, v49
	v_fma_f32 v34, -v22, v37, v34
	;; [unrolled: 1-line block ×4, first 2 shown]
	ds_read_b128 v[36:39], v20 offset:1696
	s_waitcnt lgkmcnt(1)
	v_fma_f32 v34, -v25, v40, v34
	v_fma_f32 v34, -v26, v41, v34
	;; [unrolled: 1-line block ×4, first 2 shown]
	ds_read_b64 v[44:45], v20 offset:1712
	ds_read_b128 v[40:43], v20 offset:1792
	s_waitcnt lgkmcnt(2)
	v_fma_f32 v34, -v29, v36, v34
	v_fma_f32 v34, -v30, v37, v34
	v_fma_f32 v34, -v31, v38, v34
	v_fma_f32 v34, -v32, v39, v34
	ds_read_b128 v[36:39], v20 offset:1808
	s_waitcnt lgkmcnt(1)
	v_fma_f32 v18, -v21, v40, v18
	v_fma_f32 v18, -v22, v41, v18
	v_fma_f32 v18, -v23, v42, v18
	v_fma_f32 v18, -v24, v43, v18
	;; [unrolled: 6-line block ×3, first 2 shown]
	v_mul_f32_e32 v34, v45, v34
	v_fma_f32 v18, -v28, v39, v18
	ds_read_b96 v[44:46], v20 offset:1840
	ds_read_b128 v[36:39], v20 offset:1920
	s_waitcnt lgkmcnt(2)
	v_fma_f32 v18, -v29, v40, v18
	v_fma_f32 v18, -v30, v41, v18
	v_fma_f32 v18, -v31, v42, v18
	v_fma_f32 v18, -v32, v43, v18
	ds_read_b128 v[40:43], v20 offset:1936
	s_waitcnt lgkmcnt(1)
	v_fma_f32 v19, -v21, v36, v19
	v_fma_f32 v19, -v22, v37, v19
	v_fma_f32 v19, -v23, v38, v19
	v_fma_f32 v19, -v24, v39, v19
	;; [unrolled: 6-line block ×4, first 2 shown]
	v_fma_f32 v19, -v32, v39, v19
	ds_read_b128 v[36:39], v20 offset:2048
	v_fma_f32 v18, -v34, v45, v18
	s_waitcnt lgkmcnt(1)
	v_fma_f32 v19, -v33, v40, v19
	v_mul_f32_e32 v18, v46, v18
	v_fma_f32 v19, -v34, v41, v19
	v_fma_f32 v19, -v18, v42, v19
	v_mul_f32_e32 v19, v43, v19
	ds_write2_b32 v51, v33, v34 offset0:128 offset1:160
	ds_write2_b32 v51, v18, v19 offset0:192 offset1:224
	ds_read_b128 v[40:43], v20 offset:2064
	ds_read_b128 v[44:47], v20 offset:2080
	s_waitcnt lgkmcnt(4)
	v_fma_f32 v16, -v21, v36, v16
	v_fma_f32 v16, -v22, v37, v16
	;; [unrolled: 1-line block ×4, first 2 shown]
	s_waitcnt lgkmcnt(1)
	v_fma_f32 v16, -v25, v40, v16
	v_fma_f32 v16, -v26, v41, v16
	;; [unrolled: 1-line block ×4, first 2 shown]
	ds_read_b128 v[36:39], v20 offset:2096
	s_waitcnt lgkmcnt(1)
	v_fma_f32 v16, -v29, v44, v16
	ds_read_b32 v44, v20 offset:2112
	v_fma_f32 v16, -v30, v45, v16
	v_fma_f32 v16, -v31, v46, v16
	v_fma_f32 v16, -v32, v47, v16
	ds_read_b128 v[40:43], v20 offset:2176
	s_waitcnt lgkmcnt(2)
	v_fma_f32 v16, -v33, v36, v16
	v_fma_f32 v16, -v34, v37, v16
	v_fma_f32 v16, -v18, v38, v16
	v_fma_f32 v16, -v19, v39, v16
	ds_read_b128 v[36:39], v20 offset:2192
	s_waitcnt lgkmcnt(1)
	v_fma_f32 v17, -v21, v40, v17
	;; [unrolled: 6-line block ×4, first 2 shown]
	v_fma_f32 v17, -v30, v41, v17
	v_fma_f32 v17, -v31, v42, v17
	v_mul_f32_e32 v16, v44, v16
	v_fma_f32 v17, -v32, v43, v17
	ds_read_b64 v[44:45], v20 offset:2240
	ds_read_b128 v[40:43], v20 offset:2304
	s_waitcnt lgkmcnt(2)
	v_fma_f32 v17, -v33, v36, v17
	v_fma_f32 v17, -v34, v37, v17
	v_fma_f32 v17, -v18, v38, v17
	v_fma_f32 v17, -v19, v39, v17
	ds_read_b128 v[36:39], v20 offset:2320
	s_waitcnt lgkmcnt(1)
	v_fma_f32 v14, -v21, v40, v14
	v_fma_f32 v14, -v22, v41, v14
	v_fma_f32 v14, -v23, v42, v14
	v_fma_f32 v14, -v24, v43, v14
	;; [unrolled: 6-line block ×3, first 2 shown]
	ds_read_b128 v[36:39], v20 offset:2352
	s_waitcnt lgkmcnt(1)
	v_fma_f32 v14, -v29, v40, v14
	v_fma_f32 v14, -v30, v41, v14
	;; [unrolled: 1-line block ×3, first 2 shown]
	ds_read_b96 v[40:42], v20 offset:2368
	v_fma_f32 v14, -v32, v43, v14
	s_waitcnt lgkmcnt(1)
	v_fma_f32 v14, -v33, v36, v14
	v_fma_f32 v14, -v34, v37, v14
	;; [unrolled: 1-line block ×4, first 2 shown]
	ds_read_b128 v[36:39], v20 offset:2432
	v_fma_f32 v17, -v16, v44, v17
	v_mul_f32_e32 v17, v45, v17
	s_waitcnt lgkmcnt(1)
	v_fma_f32 v14, -v16, v40, v14
	ds_write2_b32 v35, v16, v17 offset1:32
	v_fma_f32 v14, -v17, v41, v14
	s_waitcnt lgkmcnt(1)
	v_fma_f32 v15, -v21, v36, v15
	v_mul_f32_e32 v14, v42, v14
	ds_read_b128 v[40:43], v20 offset:2448
	ds_read_b128 v[44:47], v20 offset:2464
	;; [unrolled: 1-line block ×3, first 2 shown]
	v_fma_f32 v15, -v22, v37, v15
	v_fma_f32 v15, -v23, v38, v15
	;; [unrolled: 1-line block ×3, first 2 shown]
	s_waitcnt lgkmcnt(2)
	v_fma_f32 v15, -v25, v40, v15
	v_fma_f32 v15, -v26, v41, v15
	;; [unrolled: 1-line block ×4, first 2 shown]
	s_waitcnt lgkmcnt(1)
	v_fma_f32 v15, -v29, v44, v15
	v_fma_f32 v15, -v30, v45, v15
	;; [unrolled: 1-line block ×4, first 2 shown]
	ds_read_b128 v[36:39], v20 offset:2496
	ds_read_b128 v[40:43], v20 offset:2560
	s_waitcnt lgkmcnt(2)
	v_fma_f32 v15, -v33, v48, v15
	v_fma_f32 v15, -v34, v49, v15
	;; [unrolled: 1-line block ×4, first 2 shown]
	s_waitcnt lgkmcnt(1)
	v_fma_f32 v15, -v16, v36, v15
	v_fma_f32 v15, -v17, v37, v15
	;; [unrolled: 1-line block ×3, first 2 shown]
	v_mul_f32_e32 v15, v39, v15
	ds_read_b128 v[36:39], v20 offset:2576
	s_waitcnt lgkmcnt(1)
	v_fma_f32 v12, -v21, v40, v12
	v_fma_f32 v12, -v22, v41, v12
	v_fma_f32 v12, -v23, v42, v12
	v_fma_f32 v12, -v24, v43, v12
	ds_read_b128 v[40:43], v20 offset:2592
	s_waitcnt lgkmcnt(1)
	v_fma_f32 v12, -v25, v36, v12
	v_fma_f32 v12, -v26, v37, v12
	v_fma_f32 v12, -v27, v38, v12
	v_fma_f32 v12, -v28, v39, v12
	;; [unrolled: 6-line block ×3, first 2 shown]
	ds_read_b128 v[40:43], v20 offset:2624
	s_waitcnt lgkmcnt(1)
	v_fma_f32 v12, -v33, v36, v12
	v_fma_f32 v12, -v34, v37, v12
	;; [unrolled: 1-line block ×3, first 2 shown]
	ds_write2_b32 v35, v14, v15 offset0:64 offset1:96
	v_fma_f32 v12, -v19, v39, v12
	s_waitcnt lgkmcnt(1)
	v_fma_f32 v12, -v16, v40, v12
	ds_read_b32 v40, v20 offset:2640
	ds_read_b128 v[36:39], v20 offset:2688
	v_fma_f32 v12, -v17, v41, v12
	v_fma_f32 v12, -v14, v42, v12
	;; [unrolled: 1-line block ×3, first 2 shown]
	s_waitcnt lgkmcnt(1)
	v_mul_f32_e32 v12, v40, v12
	ds_read_b128 v[40:43], v20 offset:2704
	s_waitcnt lgkmcnt(1)
	v_fma_f32 v13, -v21, v36, v13
	v_fma_f32 v13, -v22, v37, v13
	v_fma_f32 v13, -v23, v38, v13
	v_fma_f32 v13, -v24, v39, v13
	ds_read_b128 v[36:39], v20 offset:2720
	s_waitcnt lgkmcnt(1)
	v_fma_f32 v13, -v25, v40, v13
	v_fma_f32 v13, -v26, v41, v13
	v_fma_f32 v13, -v27, v42, v13
	v_fma_f32 v13, -v28, v43, v13
	;; [unrolled: 6-line block ×4, first 2 shown]
	s_waitcnt lgkmcnt(0)
	v_fma_f32 v13, -v16, v36, v13
	ds_read_b64 v[40:41], v20 offset:2768
	v_fma_f32 v13, -v17, v37, v13
	v_fma_f32 v13, -v14, v38, v13
	;; [unrolled: 1-line block ×3, first 2 shown]
	ds_read_b128 v[36:39], v20 offset:2816
	s_waitcnt lgkmcnt(1)
	v_fma_f32 v13, -v12, v40, v13
	v_mul_f32_e32 v13, v41, v13
	ds_write2_b32 v35, v12, v13 offset0:128 offset1:160
	ds_read_b128 v[40:43], v20 offset:2832
	ds_read_b128 v[44:47], v20 offset:2848
	s_waitcnt lgkmcnt(3)
	v_fma_f32 v10, -v21, v36, v10
	v_fma_f32 v10, -v22, v37, v10
	;; [unrolled: 1-line block ×4, first 2 shown]
	s_waitcnt lgkmcnt(1)
	v_fma_f32 v10, -v25, v40, v10
	v_fma_f32 v10, -v26, v41, v10
	;; [unrolled: 1-line block ×4, first 2 shown]
	ds_read_b128 v[36:39], v20 offset:2864
	ds_read_b128 v[40:43], v20 offset:2880
	s_waitcnt lgkmcnt(2)
	v_fma_f32 v10, -v29, v44, v10
	v_fma_f32 v10, -v30, v45, v10
	;; [unrolled: 1-line block ×4, first 2 shown]
	s_waitcnt lgkmcnt(1)
	v_fma_f32 v10, -v33, v36, v10
	v_fma_f32 v10, -v34, v37, v10
	;; [unrolled: 1-line block ×4, first 2 shown]
	ds_read_b96 v[44:46], v20 offset:2896
	ds_read_b128 v[36:39], v20 offset:2944
	s_waitcnt lgkmcnt(2)
	v_fma_f32 v10, -v16, v40, v10
	v_fma_f32 v10, -v17, v41, v10
	;; [unrolled: 1-line block ×4, first 2 shown]
	s_waitcnt lgkmcnt(1)
	v_fma_f32 v10, -v12, v44, v10
	v_fma_f32 v10, -v13, v45, v10
	ds_read_b128 v[40:43], v20 offset:2960
	v_mul_f32_e32 v52, v46, v10
	s_waitcnt lgkmcnt(1)
	v_fma_f32 v10, -v21, v36, v11
	v_fma_f32 v10, -v22, v37, v10
	v_fma_f32 v10, -v23, v38, v10
	v_fma_f32 v10, -v24, v39, v10
	ds_read_b128 v[36:39], v20 offset:2976
	s_waitcnt lgkmcnt(1)
	v_fma_f32 v10, -v25, v40, v10
	v_fma_f32 v10, -v26, v41, v10
	v_fma_f32 v10, -v27, v42, v10
	v_fma_f32 v10, -v28, v43, v10
	ds_read_b128 v[40:43], v20 offset:2992
	;; [unrolled: 6-line block ×5, first 2 shown]
	s_waitcnt lgkmcnt(1)
	v_fma_f32 v10, -v12, v40, v10
	v_fma_f32 v10, -v13, v41, v10
	;; [unrolled: 1-line block ×3, first 2 shown]
	v_mul_f32_e32 v53, v43, v10
	ds_read_b128 v[40:43], v20 offset:3088
	s_waitcnt lgkmcnt(1)
	v_fma_f32 v8, -v21, v36, v8
	v_fma_f32 v8, -v22, v37, v8
	v_fma_f32 v8, -v23, v38, v8
	v_fma_f32 v8, -v24, v39, v8
	ds_read_b128 v[36:39], v20 offset:3104
	s_waitcnt lgkmcnt(1)
	v_fma_f32 v8, -v25, v40, v8
	v_fma_f32 v8, -v26, v41, v8
	v_fma_f32 v8, -v27, v42, v8
	v_fma_f32 v8, -v28, v43, v8
	;; [unrolled: 6-line block ×4, first 2 shown]
	ds_read_b128 v[40:43], v20 offset:3152
	ds_read_b32 v10, v20 offset:3168
	s_waitcnt lgkmcnt(2)
	v_fma_f32 v8, -v16, v36, v8
	v_fma_f32 v8, -v17, v37, v8
	;; [unrolled: 1-line block ×4, first 2 shown]
	ds_read_b128 v[36:39], v20 offset:3200
	s_waitcnt lgkmcnt(2)
	v_fma_f32 v8, -v12, v40, v8
	v_fma_f32 v8, -v13, v41, v8
	;; [unrolled: 1-line block ×4, first 2 shown]
	ds_write2_b32 v35, v52, v53 offset0:192 offset1:224
	s_waitcnt lgkmcnt(2)
	v_mul_f32_e32 v35, v10, v8
	s_waitcnt lgkmcnt(1)
	v_fma_f32 v8, -v21, v36, v9
	ds_read_b128 v[40:43], v20 offset:3216
	ds_read_b128 v[44:47], v20 offset:3232
	ds_read_b128 v[48:51], v20 offset:3248
	v_fma_f32 v8, -v22, v37, v8
	v_fma_f32 v8, -v23, v38, v8
	v_fma_f32 v8, -v24, v39, v8
	s_waitcnt lgkmcnt(2)
	v_fma_f32 v8, -v25, v40, v8
	v_fma_f32 v8, -v26, v41, v8
	v_fma_f32 v8, -v27, v42, v8
	v_fma_f32 v8, -v28, v43, v8
	s_waitcnt lgkmcnt(1)
	v_fma_f32 v8, -v29, v44, v8
	;; [unrolled: 5-line block ×3, first 2 shown]
	ds_read_b128 v[8:11], v20 offset:3264
	v_fma_f32 v36, -v34, v49, v36
	v_fma_f32 v36, -v18, v50, v36
	;; [unrolled: 1-line block ×3, first 2 shown]
	ds_read_b128 v[36:39], v20 offset:3280
	s_waitcnt lgkmcnt(1)
	v_fma_f32 v8, -v16, v8, v40
	v_fma_f32 v8, -v17, v9, v8
	;; [unrolled: 1-line block ×4, first 2 shown]
	s_waitcnt lgkmcnt(0)
	v_fma_f32 v8, -v12, v36, v8
	ds_read_b64 v[40:41], v20 offset:3296
	v_fma_f32 v8, -v13, v37, v8
	v_fma_f32 v8, -v52, v38, v8
	;; [unrolled: 1-line block ×3, first 2 shown]
	ds_read_b128 v[8:11], v20 offset:3328
	s_waitcnt lgkmcnt(1)
	v_fma_f32 v36, -v35, v40, v36
	v_mul_f32_e32 v48, v41, v36
	ds_write2_b32 v1, v35, v48 offset1:32
	ds_read_b128 v[36:39], v20 offset:3344
	ds_read_b128 v[40:43], v20 offset:3360
	s_waitcnt lgkmcnt(3)
	v_fma_f32 v6, -v21, v8, v6
	v_fma_f32 v6, -v22, v9, v6
	;; [unrolled: 1-line block ×4, first 2 shown]
	s_waitcnt lgkmcnt(1)
	v_fma_f32 v6, -v25, v36, v6
	v_fma_f32 v6, -v26, v37, v6
	;; [unrolled: 1-line block ×4, first 2 shown]
	ds_read_b128 v[8:11], v20 offset:3376
	ds_read_b128 v[36:39], v20 offset:3392
	s_waitcnt lgkmcnt(2)
	v_fma_f32 v6, -v29, v40, v6
	v_fma_f32 v6, -v30, v41, v6
	;; [unrolled: 1-line block ×4, first 2 shown]
	s_waitcnt lgkmcnt(1)
	v_fma_f32 v6, -v33, v8, v6
	v_fma_f32 v6, -v34, v9, v6
	;; [unrolled: 1-line block ×4, first 2 shown]
	ds_read_b128 v[8:11], v20 offset:3408
	s_waitcnt lgkmcnt(1)
	v_fma_f32 v6, -v16, v36, v6
	v_fma_f32 v6, -v17, v37, v6
	;; [unrolled: 1-line block ×3, first 2 shown]
	ds_read_b96 v[36:38], v20 offset:3424
	v_fma_f32 v6, -v15, v39, v6
	s_waitcnt lgkmcnt(1)
	v_fma_f32 v6, -v12, v8, v6
	v_fma_f32 v6, -v13, v9, v6
	v_fma_f32 v6, -v52, v10, v6
	v_fma_f32 v6, -v53, v11, v6
	ds_read_b128 v[8:11], v20 offset:3456
	s_waitcnt lgkmcnt(1)
	v_fma_f32 v6, -v35, v36, v6
	v_fma_f32 v6, -v48, v37, v6
	v_mul_f32_e32 v49, v38, v6
	ds_read_b128 v[36:39], v20 offset:3472
	ds_read_b128 v[40:43], v20 offset:3488
	ds_read_b128 v[44:47], v20 offset:3504
	s_waitcnt lgkmcnt(3)
	v_fma_f32 v6, -v21, v8, v7
	v_fma_f32 v6, -v22, v9, v6
	v_fma_f32 v6, -v23, v10, v6
	v_fma_f32 v6, -v24, v11, v6
	s_waitcnt lgkmcnt(2)
	v_fma_f32 v6, -v25, v36, v6
	v_fma_f32 v6, -v26, v37, v6
	v_fma_f32 v6, -v27, v38, v6
	v_fma_f32 v6, -v28, v39, v6
	s_waitcnt lgkmcnt(1)
	v_fma_f32 v6, -v29, v40, v6
	v_fma_f32 v6, -v30, v41, v6
	v_fma_f32 v6, -v31, v42, v6
	v_fma_f32 v6, -v32, v43, v6
	s_waitcnt lgkmcnt(0)
	v_fma_f32 v10, -v33, v44, v6
	ds_read_b128 v[6:9], v20 offset:3520
	ds_read_b128 v[36:39], v20 offset:3536
	v_fma_f32 v10, -v34, v45, v10
	v_fma_f32 v10, -v18, v46, v10
	v_fma_f32 v10, -v19, v47, v10
	s_waitcnt lgkmcnt(1)
	v_fma_f32 v6, -v16, v6, v10
	v_fma_f32 v6, -v17, v7, v6
	;; [unrolled: 1-line block ×4, first 2 shown]
	s_waitcnt lgkmcnt(0)
	v_fma_f32 v10, -v12, v36, v6
	ds_read_b128 v[6:9], v20 offset:3552
	v_fma_f32 v10, -v13, v37, v10
	v_fma_f32 v10, -v52, v38, v10
	;; [unrolled: 1-line block ×3, first 2 shown]
	ds_read_b128 v[36:39], v20 offset:3584
	s_waitcnt lgkmcnt(1)
	v_fma_f32 v6, -v35, v6, v10
	v_fma_f32 v6, -v48, v7, v6
	;; [unrolled: 1-line block ×3, first 2 shown]
	v_mul_f32_e32 v44, v9, v6
	ds_write2_b32 v1, v49, v44 offset0:64 offset1:96
	ds_read_b128 v[6:9], v20 offset:3600
	ds_read_b128 v[40:43], v20 offset:3616
	s_waitcnt lgkmcnt(3)
	v_fma_f32 v4, -v21, v36, v4
	v_fma_f32 v4, -v22, v37, v4
	;; [unrolled: 1-line block ×4, first 2 shown]
	s_waitcnt lgkmcnt(1)
	v_fma_f32 v4, -v25, v6, v4
	v_fma_f32 v4, -v26, v7, v4
	;; [unrolled: 1-line block ×4, first 2 shown]
	ds_read_b128 v[6:9], v20 offset:3632
	ds_read_b128 v[36:39], v20 offset:3648
	s_waitcnt lgkmcnt(2)
	v_fma_f32 v4, -v29, v40, v4
	v_fma_f32 v4, -v30, v41, v4
	v_fma_f32 v4, -v31, v42, v4
	v_fma_f32 v4, -v32, v43, v4
	s_waitcnt lgkmcnt(1)
	v_fma_f32 v4, -v33, v6, v4
	v_fma_f32 v4, -v34, v7, v4
	;; [unrolled: 1-line block ×4, first 2 shown]
	ds_read_b128 v[6:9], v20 offset:3664
	s_waitcnt lgkmcnt(1)
	v_fma_f32 v4, -v16, v36, v4
	v_fma_f32 v4, -v17, v37, v4
	;; [unrolled: 1-line block ×4, first 2 shown]
	ds_read_b128 v[36:39], v20 offset:3680
	s_waitcnt lgkmcnt(1)
	v_fma_f32 v4, -v12, v6, v4
	v_fma_f32 v4, -v13, v7, v4
	;; [unrolled: 1-line block ×4, first 2 shown]
	ds_read_b32 v10, v20 offset:3696
	ds_read_b128 v[6:9], v20 offset:3712
	s_waitcnt lgkmcnt(2)
	v_fma_f32 v4, -v35, v36, v4
	v_fma_f32 v4, -v48, v37, v4
	;; [unrolled: 1-line block ×4, first 2 shown]
	s_waitcnt lgkmcnt(1)
	v_mul_f32_e32 v45, v10, v4
	ds_read_b128 v[36:39], v20 offset:3728
	ds_read_b128 v[40:43], v20 offset:3744
	s_waitcnt lgkmcnt(2)
	v_fma_f32 v4, -v21, v6, v5
	v_fma_f32 v4, -v22, v7, v4
	;; [unrolled: 1-line block ×4, first 2 shown]
	s_waitcnt lgkmcnt(1)
	v_fma_f32 v4, -v25, v36, v4
	v_fma_f32 v4, -v26, v37, v4
	;; [unrolled: 1-line block ×4, first 2 shown]
	s_waitcnt lgkmcnt(0)
	v_fma_f32 v8, -v29, v40, v4
	ds_read_b128 v[4:7], v20 offset:3760
	v_fma_f32 v8, -v30, v41, v8
	v_fma_f32 v8, -v31, v42, v8
	;; [unrolled: 1-line block ×3, first 2 shown]
	ds_read_b128 v[8:11], v20 offset:3776
	s_waitcnt lgkmcnt(1)
	v_fma_f32 v4, -v33, v4, v36
	v_fma_f32 v4, -v34, v5, v4
	;; [unrolled: 1-line block ×4, first 2 shown]
	s_waitcnt lgkmcnt(0)
	v_fma_f32 v8, -v16, v8, v4
	ds_read_b128 v[4:7], v20 offset:3792
	v_fma_f32 v8, -v17, v9, v8
	v_fma_f32 v8, -v14, v10, v8
	;; [unrolled: 1-line block ×3, first 2 shown]
	ds_read_b128 v[8:11], v20 offset:3808
	s_waitcnt lgkmcnt(1)
	v_fma_f32 v4, -v12, v4, v36
	v_fma_f32 v4, -v13, v5, v4
	;; [unrolled: 1-line block ×4, first 2 shown]
	s_waitcnt lgkmcnt(0)
	v_fma_f32 v4, -v35, v8, v4
	ds_read_b64 v[36:37], v20 offset:3824
	v_fma_f32 v4, -v48, v9, v4
	v_fma_f32 v4, -v49, v10, v4
	;; [unrolled: 1-line block ×3, first 2 shown]
	ds_read_b128 v[4:7], v20 offset:3840
	s_waitcnt lgkmcnt(1)
	v_fma_f32 v8, -v45, v36, v8
	v_mul_f32_e32 v40, v37, v8
	ds_write2_b32 v1, v45, v40 offset0:128 offset1:160
	ds_read_b128 v[8:11], v20 offset:3856
	ds_read_b128 v[36:39], v20 offset:3872
	s_waitcnt lgkmcnt(3)
	v_fma_f32 v2, -v21, v4, v2
	v_fma_f32 v2, -v22, v5, v2
	;; [unrolled: 1-line block ×4, first 2 shown]
	s_waitcnt lgkmcnt(1)
	v_fma_f32 v2, -v25, v8, v2
	v_fma_f32 v2, -v26, v9, v2
	;; [unrolled: 1-line block ×4, first 2 shown]
	ds_read_b128 v[4:7], v20 offset:3888
	ds_read_b128 v[8:11], v20 offset:3904
	s_waitcnt lgkmcnt(2)
	v_fma_f32 v2, -v29, v36, v2
	v_fma_f32 v2, -v30, v37, v2
	;; [unrolled: 1-line block ×4, first 2 shown]
	s_waitcnt lgkmcnt(1)
	v_fma_f32 v2, -v33, v4, v2
	v_fma_f32 v2, -v34, v5, v2
	;; [unrolled: 1-line block ×4, first 2 shown]
	ds_read_b128 v[4:7], v20 offset:3920
	s_waitcnt lgkmcnt(1)
	v_fma_f32 v2, -v16, v8, v2
	v_fma_f32 v2, -v17, v9, v2
	;; [unrolled: 1-line block ×4, first 2 shown]
	ds_read_b128 v[8:11], v20 offset:3936
	s_waitcnt lgkmcnt(1)
	v_fma_f32 v2, -v12, v4, v2
	v_fma_f32 v2, -v13, v5, v2
	;; [unrolled: 1-line block ×4, first 2 shown]
	ds_read_b96 v[36:38], v20 offset:3952
	ds_read_b128 v[4:7], v20 offset:3968
	s_waitcnt lgkmcnt(2)
	v_fma_f32 v2, -v35, v8, v2
	v_fma_f32 v2, -v48, v9, v2
	;; [unrolled: 1-line block ×4, first 2 shown]
	s_waitcnt lgkmcnt(1)
	v_fma_f32 v2, -v45, v36, v2
	v_fma_f32 v2, -v40, v37, v2
	v_mul_f32_e32 v41, v38, v2
	ds_read_b128 v[8:11], v20 offset:3984
	ds_read_b128 v[36:39], v20 offset:4000
	s_waitcnt lgkmcnt(2)
	v_fma_f32 v2, -v21, v4, v3
	v_fma_f32 v2, -v22, v5, v2
	;; [unrolled: 1-line block ×4, first 2 shown]
	s_waitcnt lgkmcnt(1)
	v_fma_f32 v2, -v25, v8, v2
	v_fma_f32 v2, -v26, v9, v2
	;; [unrolled: 1-line block ×4, first 2 shown]
	s_waitcnt lgkmcnt(0)
	v_fma_f32 v6, -v29, v36, v2
	ds_read_b128 v[2:5], v20 offset:4016
	v_fma_f32 v6, -v30, v37, v6
	v_fma_f32 v6, -v31, v38, v6
	;; [unrolled: 1-line block ×3, first 2 shown]
	ds_read_b128 v[6:9], v20 offset:4032
	s_waitcnt lgkmcnt(1)
	v_fma_f32 v2, -v33, v2, v10
	v_fma_f32 v2, -v34, v3, v2
	;; [unrolled: 1-line block ×4, first 2 shown]
	s_waitcnt lgkmcnt(0)
	v_fma_f32 v6, -v16, v6, v2
	ds_read_b128 v[2:5], v20 offset:4048
	v_fma_f32 v6, -v17, v7, v6
	v_fma_f32 v6, -v14, v8, v6
	;; [unrolled: 1-line block ×3, first 2 shown]
	ds_read_b128 v[6:9], v20 offset:4064
	s_waitcnt lgkmcnt(1)
	v_fma_f32 v2, -v12, v2, v10
	v_fma_f32 v2, -v13, v3, v2
	;; [unrolled: 1-line block ×4, first 2 shown]
	ds_read_b128 v[2:5], v20 offset:4080
	s_waitcnt lgkmcnt(1)
	v_fma_f32 v6, -v35, v6, v10
	v_fma_f32 v6, -v48, v7, v6
	;; [unrolled: 1-line block ×4, first 2 shown]
	s_waitcnt lgkmcnt(0)
	v_fma_f32 v2, -v45, v2, v6
	v_fma_f32 v2, -v40, v3, v2
	;; [unrolled: 1-line block ×3, first 2 shown]
	v_mul_f32_e32 v2, v5, v2
	s_mov_b32 s6, 32
	ds_write2_b32 v1, v41, v2 offset0:192 offset1:224
.LBB36_30:
	s_cmp_lt_i32 s6, s26
	s_cbranch_scc0 .LBB36_47
; %bb.31:
	s_or_b32 s14, s6, 27
	s_cmp_ge_u32 s14, s26
	s_cbranch_scc1 .LBB36_36
; %bb.32:
	v_lshlrev_b32_e32 v1, 2, v0
	v_lshl_or_b32 v1, s6, 7, v1
	v_add_u32_e32 v30, 0x1000, v1
	v_add_u32_e32 v2, 0x1400, v1
	ds_read2_b32 v[26:27], v30 offset1:32
	ds_read2_b32 v[24:25], v30 offset0:64 offset1:96
	ds_read2_b32 v[22:23], v30 offset0:128 offset1:160
	;; [unrolled: 1-line block ×3, first 2 shown]
	ds_read2_b32 v[18:19], v2 offset1:32
	ds_read2_b32 v[16:17], v2 offset0:64 offset1:96
	ds_read2_b32 v[14:15], v2 offset0:128 offset1:160
	ds_read2_b32 v[12:13], v2 offset0:192 offset1:224
	v_add_u32_e32 v2, 0x1800, v1
	ds_read2_b32 v[10:11], v2 offset1:32
	ds_read2_b32 v[8:9], v2 offset0:64 offset1:96
	ds_read2_b32 v[6:7], v2 offset0:128 offset1:160
	;; [unrolled: 1-line block ×3, first 2 shown]
	s_lshl_b32 s14, s14, 5
	v_add_u32_e32 v2, 0x1c00, v1
	v_or_b32_e32 v28, s14, v0
	ds_read2_b32 v[2:3], v2 offset1:32
	v_lshlrev_b32_e32 v29, 2, v28
	ds_read_b32 v28, v1 offset:7424
	ds_read_b32 v1, v29 offset:4096
	s_andn2_b64 vcc, exec, s[8:9]
	s_cbranch_vccnz .LBB36_35
; %bb.33:
	v_mov_b32_e32 v31, 0x1000
	s_lshl_b32 s8, s6, 7
	v_lshl_or_b32 v31, v0, 2, v31
	s_mov_b32 s9, 0
.LBB36_34:                              ; =>This Inner Loop Header: Depth=1
	v_mov_b32_e32 v40, s8
	v_add_u32_e32 v46, 0x400, v40
	v_add_u32_e32 v54, 0x800, v40
	;; [unrolled: 1-line block ×3, first 2 shown]
	ds_read_b32 v60, v31
	ds_read2_b32 v[32:33], v40 offset1:32
	ds_read2_b32 v[34:35], v40 offset0:64 offset1:96
	ds_read2_b32 v[36:37], v40 offset0:128 offset1:160
	ds_read2_b32 v[38:39], v40 offset0:192 offset1:224
	ds_read2_b32 v[40:41], v46 offset1:32
	ds_read2_b32 v[42:43], v46 offset0:64 offset1:96
	ds_read2_b32 v[44:45], v46 offset0:128 offset1:160
	ds_read2_b32 v[46:47], v46 offset0:192 offset1:224
	;; [unrolled: 4-line block ×3, first 2 shown]
	ds_read2_b32 v[56:57], v58 offset1:32
	ds_read2_b32 v[58:59], v58 offset0:64 offset1:96
	s_add_i32 s9, s9, 1
	s_add_i32 s8, s8, 4
	v_add_u32_e32 v31, 0x80, v31
	s_cmp_lt_u32 s9, s6
	s_waitcnt lgkmcnt(13)
	v_fma_f32 v26, -v60, v32, v26
	v_fma_f32 v27, -v60, v33, v27
	s_waitcnt lgkmcnt(12)
	v_fma_f32 v24, -v60, v34, v24
	v_fma_f32 v25, -v60, v35, v25
	;; [unrolled: 3-line block ×14, first 2 shown]
	s_cbranch_scc1 .LBB36_34
.LBB36_35:
	s_mul_i32 s8, s6, 0x84
	v_mov_b32_e32 v44, s8
	ds_read2_b32 v[38:39], v44 offset1:132
	s_lshl_b32 s9, s6, 5
	s_or_b32 s15, s9, 32
	s_add_i32 s18, s15, s6
	s_lshl_b32 s18, s18, 2
	s_waitcnt lgkmcnt(0)
	v_mul_f32_e32 v26, v38, v26
	ds_write_b32 v30, v26
	v_mov_b32_e32 v30, s18
	s_or_b32 s18, s9, 64
	s_or_b32 s19, s18, s6
	s_lshl_b32 s19, s19, 2
	ds_read_b64 v[34:35], v30
	v_mov_b32_e32 v30, s19
	ds_read_b96 v[30:32], v30
	v_or_b32_e32 v33, s15, v0
	s_or_b32 s15, s9, 0x60
	s_waitcnt lgkmcnt(1)
	v_fma_f32 v27, -v26, v34, v27
	v_mul_f32_e32 v27, v35, v27
	s_waitcnt lgkmcnt(0)
	v_fma_f32 v24, -v26, v30, v24
	v_fma_f32 v24, -v27, v31, v24
	v_or_b32_e32 v30, s18, v0
	s_add_i32 s18, s15, s6
	v_mul_f32_e32 v24, v32, v24
	v_lshlrev_b32_e32 v30, 2, v30
	s_lshl_b32 s18, s18, 2
	v_lshlrev_b32_e32 v33, 2, v33
	ds_write_b32 v30, v24 offset:4096
	v_mov_b32_e32 v30, s18
	s_or_b32 s18, s9, 0x80
	ds_write_b32 v33, v27 offset:4096
	ds_read_b128 v[30:33], v30
	s_or_b32 s19, s18, s6
	s_lshl_b32 s19, s19, 2
	v_mov_b32_e32 v34, s19
	ds_read_b128 v[34:37], v34
	s_waitcnt lgkmcnt(1)
	v_fma_f32 v25, -v26, v30, v25
	v_or_b32_e32 v30, s15, v0
	s_or_b32 s15, s9, 0xa0
	v_fma_f32 v25, -v27, v31, v25
	s_add_i32 s19, s15, s6
	v_fma_f32 v25, -v24, v32, v25
	s_lshl_b32 s19, s19, 2
	v_mul_f32_e32 v25, v33, v25
	v_lshlrev_b32_e32 v30, 2, v30
	s_waitcnt lgkmcnt(0)
	v_fma_f32 v22, -v26, v34, v22
	v_mov_b32_e32 v34, s19
	ds_write_b32 v30, v25 offset:4096
	v_fma_f32 v22, -v27, v35, v22
	ds_read_b128 v[30:33], v34
	v_fma_f32 v22, -v24, v36, v22
	v_fma_f32 v22, -v25, v37, v22
	v_or_b32_e32 v35, s18, v0
	v_mul_f32_e32 v22, v39, v22
	v_lshlrev_b32_e32 v35, 2, v35
	ds_write_b32 v35, v22 offset:4096
	ds_read_b64 v[34:35], v34 offset:16
	s_waitcnt lgkmcnt(2)
	v_fma_f32 v23, -v26, v30, v23
	v_fma_f32 v23, -v27, v31, v23
	s_or_b32 s18, s9, 0xc0
	v_fma_f32 v23, -v24, v32, v23
	s_or_b32 s19, s18, s6
	v_fma_f32 v23, -v25, v33, v23
	s_lshl_b32 s19, s19, 2
	s_waitcnt lgkmcnt(0)
	v_fma_f32 v23, -v22, v34, v23
	v_mov_b32_e32 v34, s19
	ds_read_b128 v[30:33], v34
	v_mul_f32_e32 v23, v35, v23
	v_or_b32_e32 v35, s15, v0
	v_lshlrev_b32_e32 v35, 2, v35
	ds_write_b32 v35, v23 offset:4096
	ds_read_b64 v[34:35], v34 offset:16
	s_waitcnt lgkmcnt(2)
	v_fma_f32 v20, -v26, v30, v20
	v_fma_f32 v20, -v27, v31, v20
	s_or_b32 s15, s9, 0xe0
	v_fma_f32 v20, -v24, v32, v20
	s_add_i32 s19, s15, s6
	ds_read2_b32 v[36:37], v44 offset0:198 offset1:231
	v_fma_f32 v20, -v25, v33, v20
	s_lshl_b32 s19, s19, 2
	s_waitcnt lgkmcnt(1)
	v_fma_f32 v20, -v22, v34, v20
	v_mov_b32_e32 v34, s19
	ds_read_b128 v[30:33], v34
	v_fma_f32 v20, -v23, v35, v20
	v_or_b32_e32 v35, s18, v0
	s_waitcnt lgkmcnt(1)
	v_mul_f32_e32 v20, v36, v20
	v_lshlrev_b32_e32 v35, 2, v35
	ds_write_b32 v35, v20 offset:4096
	ds_read_b96 v[34:36], v34 offset:16
	s_waitcnt lgkmcnt(2)
	v_fma_f32 v21, -v26, v30, v21
	v_fma_f32 v21, -v27, v31, v21
	s_or_b32 s18, s9, 0x100
	v_fma_f32 v21, -v24, v32, v21
	s_or_b32 s19, s18, s6
	v_fma_f32 v21, -v25, v33, v21
	s_lshl_b32 s19, s19, 2
	s_waitcnt lgkmcnt(0)
	v_fma_f32 v21, -v22, v34, v21
	v_mov_b32_e32 v34, s19
	ds_read_b128 v[30:33], v34
	v_fma_f32 v21, -v23, v35, v21
	v_fma_f32 v21, -v20, v36, v21
	v_or_b32_e32 v35, s15, v0
	v_mul_f32_e32 v21, v37, v21
	v_lshlrev_b32_e32 v35, 2, v35
	ds_write_b32 v35, v21 offset:4096
	ds_read_b128 v[34:37], v34 offset:16
	s_waitcnt lgkmcnt(2)
	v_fma_f32 v18, -v26, v30, v18
	v_fma_f32 v18, -v27, v31, v18
	;; [unrolled: 1-line block ×3, first 2 shown]
	v_add_u32_e32 v42, 0x400, v44
	v_fma_f32 v18, -v25, v33, v18
	ds_read2_b32 v[38:39], v42 offset0:8 offset1:41
	s_waitcnt lgkmcnt(1)
	v_fma_f32 v18, -v22, v34, v18
	v_fma_f32 v18, -v23, v35, v18
	s_or_b32 s15, s9, 0x120
	v_fma_f32 v18, -v20, v36, v18
	s_add_i32 s19, s15, s6
	v_fma_f32 v18, -v21, v37, v18
	s_lshl_b32 s19, s19, 2
	s_waitcnt lgkmcnt(0)
	v_mul_f32_e32 v18, v38, v18
	v_mov_b32_e32 v38, s19
	ds_read_b128 v[30:33], v38
	v_or_b32_e32 v34, s18, v0
	v_lshlrev_b32_e32 v34, 2, v34
	ds_write_b32 v34, v18 offset:4096
	ds_read_b128 v[34:37], v38 offset:16
	s_waitcnt lgkmcnt(2)
	v_fma_f32 v19, -v26, v30, v19
	v_fma_f32 v19, -v27, v31, v19
	;; [unrolled: 1-line block ×4, first 2 shown]
	s_or_b32 s18, s9, 0x140
	s_waitcnt lgkmcnt(0)
	v_fma_f32 v19, -v22, v34, v19
	ds_read_b32 v34, v38 offset:32
	s_or_b32 s19, s18, s6
	s_lshl_b32 s19, s19, 2
	v_fma_f32 v19, -v23, v35, v19
	v_mov_b32_e32 v38, s19
	v_fma_f32 v19, -v20, v36, v19
	ds_read_b128 v[30:33], v38
	v_fma_f32 v19, -v21, v37, v19
	s_waitcnt lgkmcnt(1)
	v_fma_f32 v19, -v18, v34, v19
	v_or_b32_e32 v34, s15, v0
	v_mul_f32_e32 v19, v39, v19
	v_lshlrev_b32_e32 v34, 2, v34
	ds_write_b32 v34, v19 offset:4096
	ds_read_b128 v[34:37], v38 offset:16
	ds_read_b64 v[38:39], v38 offset:32
	s_waitcnt lgkmcnt(3)
	v_fma_f32 v16, -v26, v30, v16
	v_fma_f32 v16, -v27, v31, v16
	;; [unrolled: 1-line block ×4, first 2 shown]
	s_waitcnt lgkmcnt(1)
	v_fma_f32 v16, -v22, v34, v16
	v_fma_f32 v16, -v23, v35, v16
	s_or_b32 s15, s9, 0x160
	v_fma_f32 v16, -v20, v36, v16
	s_add_i32 s19, s15, s6
	ds_read2_b32 v[40:41], v42 offset0:74 offset1:107
	v_fma_f32 v16, -v21, v37, v16
	s_lshl_b32 s19, s19, 2
	s_waitcnt lgkmcnt(1)
	v_fma_f32 v16, -v18, v38, v16
	v_mov_b32_e32 v38, s19
	ds_read_b128 v[30:33], v38
	v_fma_f32 v16, -v19, v39, v16
	v_or_b32_e32 v34, s18, v0
	s_waitcnt lgkmcnt(1)
	v_mul_f32_e32 v16, v40, v16
	v_lshlrev_b32_e32 v34, 2, v34
	ds_write_b32 v34, v16 offset:4096
	ds_read_b128 v[34:37], v38 offset:16
	s_waitcnt lgkmcnt(2)
	v_fma_f32 v17, -v26, v30, v17
	v_fma_f32 v17, -v27, v31, v17
	;; [unrolled: 1-line block ×4, first 2 shown]
	s_waitcnt lgkmcnt(0)
	v_fma_f32 v17, -v22, v34, v17
	v_fma_f32 v17, -v23, v35, v17
	;; [unrolled: 1-line block ×3, first 2 shown]
	ds_read_b96 v[34:36], v38 offset:32
	s_or_b32 s18, s9, 0x180
	s_or_b32 s19, s18, s6
	s_lshl_b32 s19, s19, 2
	v_fma_f32 v17, -v21, v37, v17
	v_mov_b32_e32 v38, s19
	ds_read_b128 v[30:33], v38
	s_waitcnt lgkmcnt(1)
	v_fma_f32 v17, -v18, v34, v17
	v_fma_f32 v17, -v19, v35, v17
	;; [unrolled: 1-line block ×3, first 2 shown]
	v_or_b32_e32 v34, s15, v0
	v_mul_f32_e32 v17, v41, v17
	v_lshlrev_b32_e32 v34, 2, v34
	ds_write_b32 v34, v17 offset:4096
	ds_read_b128 v[34:37], v38 offset:16
	ds_read_b128 v[38:41], v38 offset:32
	s_waitcnt lgkmcnt(3)
	v_fma_f32 v14, -v26, v30, v14
	v_fma_f32 v14, -v27, v31, v14
	v_fma_f32 v14, -v24, v32, v14
	v_fma_f32 v14, -v25, v33, v14
	s_waitcnt lgkmcnt(1)
	v_fma_f32 v14, -v22, v34, v14
	v_fma_f32 v14, -v23, v35, v14
	;; [unrolled: 1-line block ×4, first 2 shown]
	ds_read2_b32 v[42:43], v42 offset0:140 offset1:173
	s_waitcnt lgkmcnt(1)
	v_fma_f32 v14, -v18, v38, v14
	v_fma_f32 v14, -v19, v39, v14
	s_or_b32 s15, s9, 0x1a0
	v_fma_f32 v14, -v16, v40, v14
	v_or_b32_e32 v30, s18, v0
	s_add_i32 s18, s15, s6
	v_fma_f32 v14, -v17, v41, v14
	s_lshl_b32 s18, s18, 2
	s_waitcnt lgkmcnt(0)
	v_mul_f32_e32 v14, v42, v14
	v_mov_b32_e32 v42, s18
	v_lshlrev_b32_e32 v34, 2, v30
	ds_read_b128 v[30:33], v42
	ds_write_b32 v34, v14 offset:4096
	ds_read_b128 v[34:37], v42 offset:16
	ds_read_b128 v[38:41], v42 offset:32
	ds_read_b32 v42, v42 offset:48
	s_add_i32 s14, s14, s6
	s_or_b32 s8, s6, 28
	s_waitcnt lgkmcnt(4)
	v_fma_f32 v15, -v26, v30, v15
	v_fma_f32 v15, -v27, v31, v15
	;; [unrolled: 1-line block ×4, first 2 shown]
	s_waitcnt lgkmcnt(2)
	v_fma_f32 v15, -v22, v34, v15
	v_fma_f32 v15, -v23, v35, v15
	v_fma_f32 v15, -v20, v36, v15
	v_fma_f32 v15, -v21, v37, v15
	s_waitcnt lgkmcnt(1)
	v_fma_f32 v15, -v18, v38, v15
	v_fma_f32 v15, -v19, v39, v15
	v_or_b32_e32 v30, s15, v0
	s_or_b32 s15, s9, 0x1c0
	v_fma_f32 v15, -v16, v40, v15
	s_or_b32 s18, s15, s6
	v_fma_f32 v15, -v17, v41, v15
	s_lshl_b32 s18, s18, 2
	s_waitcnt lgkmcnt(0)
	v_fma_f32 v15, -v14, v42, v15
	v_mov_b32_e32 v42, s18
	v_lshlrev_b32_e32 v34, 2, v30
	ds_read_b128 v[30:33], v42
	v_mul_f32_e32 v15, v43, v15
	ds_write_b32 v34, v15 offset:4096
	ds_read_b128 v[34:37], v42 offset:16
	ds_read_b128 v[38:41], v42 offset:32
	ds_read_b64 v[42:43], v42 offset:48
	v_add_u32_e32 v29, 0x1000, v29
	s_waitcnt lgkmcnt(4)
	v_fma_f32 v12, -v26, v30, v12
	v_fma_f32 v12, -v27, v31, v12
	v_fma_f32 v12, -v24, v32, v12
	v_fma_f32 v12, -v25, v33, v12
	s_waitcnt lgkmcnt(2)
	v_fma_f32 v12, -v22, v34, v12
	v_fma_f32 v12, -v23, v35, v12
	;; [unrolled: 1-line block ×4, first 2 shown]
	s_waitcnt lgkmcnt(1)
	v_fma_f32 v12, -v18, v38, v12
	v_fma_f32 v12, -v19, v39, v12
	ds_read_b32 v30, v44 offset:1848
	v_fma_f32 v12, -v16, v40, v12
	v_fma_f32 v12, -v17, v41, v12
	s_waitcnt lgkmcnt(1)
	v_fma_f32 v12, -v14, v42, v12
	v_fma_f32 v12, -v15, v43, v12
	s_waitcnt lgkmcnt(0)
	v_mul_f32_e32 v12, v30, v12
	v_or_b32_e32 v30, s15, v0
	s_or_b32 s15, s9, 0x1e0
	s_add_i32 s18, s15, s6
	s_lshl_b32 s18, s18, 2
	v_mov_b32_e32 v42, s18
	v_lshlrev_b32_e32 v34, 2, v30
	ds_read_b128 v[30:33], v42
	ds_write_b32 v34, v12 offset:4096
	ds_read_b128 v[34:37], v42 offset:16
	ds_read_b128 v[38:41], v42 offset:32
	;; [unrolled: 1-line block ×3, first 2 shown]
	s_waitcnt lgkmcnt(4)
	v_fma_f32 v13, -v26, v30, v13
	v_fma_f32 v13, -v27, v31, v13
	;; [unrolled: 1-line block ×4, first 2 shown]
	s_waitcnt lgkmcnt(2)
	v_fma_f32 v13, -v22, v34, v13
	v_fma_f32 v13, -v23, v35, v13
	;; [unrolled: 1-line block ×4, first 2 shown]
	s_waitcnt lgkmcnt(1)
	v_fma_f32 v13, -v18, v38, v13
	v_or_b32_e32 v30, s15, v0
	s_or_b32 s15, s6, 16
	v_fma_f32 v13, -v19, v39, v13
	s_lshl_b32 s18, s15, 5
	v_fma_f32 v13, -v16, v40, v13
	s_or_b32 s19, s18, s6
	v_fma_f32 v13, -v17, v41, v13
	s_lshl_b32 s19, s19, 2
	s_waitcnt lgkmcnt(0)
	v_fma_f32 v13, -v14, v42, v13
	v_mov_b32_e32 v42, s19
	v_lshlrev_b32_e32 v34, 2, v30
	ds_read_b128 v[30:33], v42
	v_fma_f32 v13, -v15, v43, v13
	v_fma_f32 v13, -v12, v44, v13
	v_mul_f32_e32 v13, v45, v13
	ds_write_b32 v34, v13 offset:4096
	s_waitcnt lgkmcnt(1)
	v_fma_f32 v10, -v26, v30, v10
	ds_read_b128 v[34:37], v42 offset:16
	ds_read_b128 v[38:41], v42 offset:32
	;; [unrolled: 1-line block ×3, first 2 shown]
	v_fma_f32 v10, -v27, v31, v10
	v_fma_f32 v10, -v24, v32, v10
	;; [unrolled: 1-line block ×3, first 2 shown]
	s_waitcnt lgkmcnt(2)
	v_fma_f32 v10, -v22, v34, v10
	v_fma_f32 v10, -v23, v35, v10
	;; [unrolled: 1-line block ×4, first 2 shown]
	s_waitcnt lgkmcnt(1)
	v_fma_f32 v10, -v18, v38, v10
	v_fma_f32 v10, -v19, v39, v10
	s_mulk_i32 s15, 0x84
	v_fma_f32 v10, -v16, v40, v10
	v_mov_b32_e32 v30, s15
	s_or_b32 s15, s9, 0x220
	v_fma_f32 v10, -v17, v41, v10
	ds_read_b32 v34, v30
	s_add_i32 s19, s15, s6
	s_waitcnt lgkmcnt(1)
	v_fma_f32 v10, -v14, v42, v10
	s_lshl_b32 s19, s19, 2
	v_fma_f32 v10, -v15, v43, v10
	v_mov_b32_e32 v42, s19
	v_fma_f32 v10, -v12, v44, v10
	ds_read_b128 v[30:33], v42
	v_fma_f32 v10, -v13, v45, v10
	s_waitcnt lgkmcnt(1)
	v_mul_f32_e32 v46, v34, v10
	v_or_b32_e32 v10, s18, v0
	v_lshlrev_b32_e32 v10, 2, v10
	ds_write_b32 v10, v46 offset:4096
	ds_read_b128 v[34:37], v42 offset:16
	ds_read_b128 v[38:41], v42 offset:32
	s_waitcnt lgkmcnt(3)
	v_fma_f32 v10, -v26, v30, v11
	v_fma_f32 v10, -v27, v31, v10
	;; [unrolled: 1-line block ×4, first 2 shown]
	s_waitcnt lgkmcnt(1)
	v_fma_f32 v10, -v22, v34, v10
	v_fma_f32 v10, -v23, v35, v10
	;; [unrolled: 1-line block ×4, first 2 shown]
	ds_read_b128 v[30:33], v42 offset:48
	s_waitcnt lgkmcnt(1)
	v_fma_f32 v10, -v18, v38, v10
	v_fma_f32 v10, -v19, v39, v10
	;; [unrolled: 1-line block ×4, first 2 shown]
	ds_read_b64 v[10:11], v42 offset:64
	s_waitcnt lgkmcnt(1)
	v_fma_f32 v30, -v14, v30, v34
	v_fma_f32 v30, -v15, v31, v30
	;; [unrolled: 1-line block ×4, first 2 shown]
	s_waitcnt lgkmcnt(0)
	v_fma_f32 v10, -v46, v10, v30
	v_mul_f32_e32 v47, v11, v10
	v_or_b32_e32 v10, s15, v0
	s_or_b32 s15, s9, 0x240
	s_or_b32 s18, s15, s6
	s_lshl_b32 s18, s18, 2
	v_mov_b32_e32 v11, s18
	ds_read_b128 v[30:33], v11
	v_lshlrev_b32_e32 v10, 2, v10
	ds_write_b32 v10, v47 offset:4096
	ds_read_b128 v[34:37], v11 offset:16
	ds_read_b128 v[38:41], v11 offset:32
	;; [unrolled: 1-line block ×3, first 2 shown]
	s_or_b32 s18, s9, 0x260
	s_waitcnt lgkmcnt(4)
	v_fma_f32 v8, -v26, v30, v8
	v_fma_f32 v8, -v27, v31, v8
	v_fma_f32 v8, -v24, v32, v8
	v_fma_f32 v8, -v25, v33, v8
	s_waitcnt lgkmcnt(2)
	v_fma_f32 v8, -v22, v34, v8
	v_fma_f32 v8, -v23, v35, v8
	v_fma_f32 v8, -v20, v36, v8
	v_fma_f32 v8, -v21, v37, v8
	;; [unrolled: 5-line block ×3, first 2 shown]
	ds_read_b96 v[34:36], v11 offset:64
	s_waitcnt lgkmcnt(1)
	v_fma_f32 v8, -v14, v42, v8
	v_fma_f32 v8, -v15, v43, v8
	s_add_i32 s19, s18, s6
	v_fma_f32 v8, -v12, v44, v8
	s_lshl_b32 s19, s19, 2
	v_fma_f32 v8, -v13, v45, v8
	v_mov_b32_e32 v42, s19
	ds_read_b128 v[30:33], v42
	s_waitcnt lgkmcnt(1)
	v_fma_f32 v8, -v46, v34, v8
	v_fma_f32 v8, -v47, v35, v8
	v_mul_f32_e32 v43, v36, v8
	v_or_b32_e32 v8, s15, v0
	v_lshlrev_b32_e32 v8, 2, v8
	ds_write_b32 v8, v43 offset:4096
	ds_read_b128 v[34:37], v42 offset:16
	ds_read_b128 v[38:41], v42 offset:32
	s_waitcnt lgkmcnt(3)
	v_fma_f32 v8, -v26, v30, v9
	v_fma_f32 v8, -v27, v31, v8
	;; [unrolled: 1-line block ×4, first 2 shown]
	s_waitcnt lgkmcnt(1)
	v_fma_f32 v8, -v22, v34, v8
	v_fma_f32 v8, -v23, v35, v8
	;; [unrolled: 1-line block ×4, first 2 shown]
	s_waitcnt lgkmcnt(0)
	v_fma_f32 v30, -v18, v38, v8
	ds_read_b128 v[8:11], v42 offset:48
	v_fma_f32 v30, -v19, v39, v30
	v_fma_f32 v30, -v16, v40, v30
	;; [unrolled: 1-line block ×3, first 2 shown]
	ds_read_b128 v[30:33], v42 offset:64
	s_waitcnt lgkmcnt(1)
	v_fma_f32 v8, -v14, v8, v34
	v_fma_f32 v8, -v15, v9, v8
	v_fma_f32 v8, -v12, v10, v8
	v_fma_f32 v8, -v13, v11, v8
	s_waitcnt lgkmcnt(0)
	v_fma_f32 v8, -v46, v30, v8
	v_fma_f32 v8, -v47, v31, v8
	;; [unrolled: 1-line block ×3, first 2 shown]
	s_or_b32 s15, s6, 20
	v_mul_f32_e32 v42, v33, v8
	v_or_b32_e32 v8, s18, v0
	s_lshl_b32 s18, s15, 5
	s_or_b32 s19, s18, s6
	s_lshl_b32 s19, s19, 2
	v_mov_b32_e32 v44, s19
	v_lshlrev_b32_e32 v30, 2, v8
	ds_read_b128 v[8:11], v44
	ds_write_b32 v30, v42 offset:4096
	ds_read_b128 v[30:33], v44 offset:16
	ds_read_b128 v[34:37], v44 offset:32
	;; [unrolled: 1-line block ×3, first 2 shown]
	s_mulk_i32 s15, 0x84
	s_waitcnt lgkmcnt(4)
	v_fma_f32 v6, -v26, v8, v6
	v_fma_f32 v6, -v27, v9, v6
	v_fma_f32 v6, -v24, v10, v6
	v_fma_f32 v6, -v25, v11, v6
	s_waitcnt lgkmcnt(2)
	v_fma_f32 v6, -v22, v30, v6
	v_fma_f32 v6, -v23, v31, v6
	v_fma_f32 v6, -v20, v32, v6
	v_fma_f32 v6, -v21, v33, v6
	;; [unrolled: 5-line block ×3, first 2 shown]
	ds_read_b128 v[8:11], v44 offset:64
	s_waitcnt lgkmcnt(1)
	v_fma_f32 v6, -v14, v38, v6
	v_fma_f32 v6, -v15, v39, v6
	;; [unrolled: 1-line block ×3, first 2 shown]
	v_mov_b32_e32 v30, s15
	ds_read_b32 v30, v30
	v_fma_f32 v6, -v13, v41, v6
	s_waitcnt lgkmcnt(1)
	v_fma_f32 v6, -v46, v8, v6
	v_fma_f32 v6, -v47, v9, v6
	;; [unrolled: 1-line block ×4, first 2 shown]
	s_or_b32 s15, s9, 0x2a0
	s_waitcnt lgkmcnt(0)
	v_mul_f32_e32 v44, v30, v6
	v_or_b32_e32 v6, s18, v0
	s_add_i32 s18, s15, s6
	s_lshl_b32 s18, s18, 2
	v_mov_b32_e32 v45, s18
	ds_read_b128 v[8:11], v45
	v_lshlrev_b32_e32 v6, 2, v6
	ds_write_b32 v6, v44 offset:4096
	ds_read_b128 v[30:33], v45 offset:16
	ds_read_b128 v[34:37], v45 offset:32
	;; [unrolled: 1-line block ×3, first 2 shown]
	s_waitcnt lgkmcnt(4)
	v_fma_f32 v6, -v26, v8, v7
	v_fma_f32 v6, -v27, v9, v6
	v_fma_f32 v6, -v24, v10, v6
	v_fma_f32 v6, -v25, v11, v6
	s_waitcnt lgkmcnt(2)
	v_fma_f32 v6, -v22, v30, v6
	v_fma_f32 v6, -v23, v31, v6
	v_fma_f32 v6, -v20, v32, v6
	v_fma_f32 v6, -v21, v33, v6
	;; [unrolled: 5-line block ×3, first 2 shown]
	s_waitcnt lgkmcnt(0)
	v_fma_f32 v10, -v14, v38, v6
	ds_read_b128 v[6:9], v45 offset:64
	v_fma_f32 v10, -v15, v39, v10
	v_fma_f32 v10, -v12, v40, v10
	v_fma_f32 v30, -v13, v41, v10
	ds_read_b64 v[10:11], v45 offset:80
	s_waitcnt lgkmcnt(1)
	v_fma_f32 v6, -v46, v6, v30
	v_fma_f32 v6, -v47, v7, v6
	;; [unrolled: 1-line block ×4, first 2 shown]
	s_waitcnt lgkmcnt(0)
	v_fma_f32 v6, -v44, v10, v6
	v_mul_f32_e32 v45, v11, v6
	v_or_b32_e32 v6, s15, v0
	s_or_b32 s15, s9, 0x2c0
	s_or_b32 s18, s15, s6
	s_lshl_b32 s18, s18, 2
	v_mov_b32_e32 v11, s18
	v_lshlrev_b32_e32 v10, 2, v6
	ds_read_b128 v[6:9], v11
	ds_write_b32 v10, v45 offset:4096
	ds_read_b128 v[30:33], v11 offset:16
	ds_read_b128 v[34:37], v11 offset:32
	;; [unrolled: 1-line block ×3, first 2 shown]
	s_waitcnt lgkmcnt(4)
	v_fma_f32 v4, -v26, v6, v4
	v_fma_f32 v4, -v27, v7, v4
	v_fma_f32 v4, -v24, v8, v4
	v_fma_f32 v4, -v25, v9, v4
	s_waitcnt lgkmcnt(2)
	v_fma_f32 v4, -v22, v30, v4
	v_fma_f32 v4, -v23, v31, v4
	v_fma_f32 v4, -v20, v32, v4
	v_fma_f32 v4, -v21, v33, v4
	;; [unrolled: 5-line block ×3, first 2 shown]
	ds_read_b128 v[6:9], v11 offset:64
	ds_read_b96 v[30:32], v11 offset:80
	s_waitcnt lgkmcnt(2)
	v_fma_f32 v4, -v14, v38, v4
	v_fma_f32 v4, -v15, v39, v4
	;; [unrolled: 1-line block ×4, first 2 shown]
	s_waitcnt lgkmcnt(1)
	v_fma_f32 v4, -v46, v6, v4
	v_fma_f32 v4, -v47, v7, v4
	;; [unrolled: 1-line block ×4, first 2 shown]
	s_waitcnt lgkmcnt(0)
	v_fma_f32 v4, -v44, v30, v4
	v_fma_f32 v4, -v45, v31, v4
	v_mul_f32_e32 v48, v32, v4
	v_or_b32_e32 v4, s15, v0
	s_or_b32 s15, s9, 0x2e0
	s_add_i32 s18, s15, s6
	s_lshl_b32 s18, s18, 2
	v_mov_b32_e32 v10, s18
	ds_read_b128 v[6:9], v10
	v_lshlrev_b32_e32 v4, 2, v4
	ds_write_b32 v4, v48 offset:4096
	ds_read_b128 v[30:33], v10 offset:16
	ds_read_b128 v[34:37], v10 offset:32
	;; [unrolled: 1-line block ×3, first 2 shown]
	s_waitcnt lgkmcnt(4)
	v_fma_f32 v4, -v26, v6, v5
	v_fma_f32 v4, -v27, v7, v4
	v_fma_f32 v4, -v24, v8, v4
	v_fma_f32 v4, -v25, v9, v4
	s_waitcnt lgkmcnt(2)
	v_fma_f32 v4, -v22, v30, v4
	v_fma_f32 v4, -v23, v31, v4
	v_fma_f32 v4, -v20, v32, v4
	v_fma_f32 v4, -v21, v33, v4
	s_waitcnt lgkmcnt(1)
	v_fma_f32 v4, -v18, v34, v4
	v_fma_f32 v4, -v19, v35, v4
	v_fma_f32 v4, -v16, v36, v4
	v_fma_f32 v4, -v17, v37, v4
	s_waitcnt lgkmcnt(0)
	v_fma_f32 v8, -v14, v38, v4
	ds_read_b128 v[4:7], v10 offset:64
	v_fma_f32 v8, -v15, v39, v8
	v_fma_f32 v8, -v12, v40, v8
	v_fma_f32 v30, -v13, v41, v8
	ds_read_b128 v[8:11], v10 offset:80
	s_waitcnt lgkmcnt(1)
	v_fma_f32 v4, -v46, v4, v30
	v_fma_f32 v4, -v47, v5, v4
	;; [unrolled: 1-line block ×4, first 2 shown]
	s_waitcnt lgkmcnt(0)
	v_fma_f32 v4, -v44, v8, v4
	v_fma_f32 v4, -v45, v9, v4
	;; [unrolled: 1-line block ×3, first 2 shown]
	v_mul_f32_e32 v38, v11, v4
	v_or_b32_e32 v4, s15, v0
	s_or_b32 s15, s6, 24
	s_lshl_b32 s18, s15, 5
	s_or_b32 s19, s18, s6
	s_lshl_b32 s19, s19, 2
	v_mov_b32_e32 v39, s19
	v_lshlrev_b32_e32 v8, 2, v4
	ds_read_b128 v[4:7], v39
	ds_write_b32 v8, v38 offset:4096
	ds_read_b128 v[8:11], v39 offset:16
	ds_read_b128 v[30:33], v39 offset:32
	;; [unrolled: 1-line block ×3, first 2 shown]
	s_mulk_i32 s15, 0x84
	s_waitcnt lgkmcnt(4)
	v_fma_f32 v2, -v26, v4, v2
	v_fma_f32 v2, -v27, v5, v2
	v_fma_f32 v2, -v24, v6, v2
	v_fma_f32 v2, -v25, v7, v2
	s_waitcnt lgkmcnt(2)
	v_fma_f32 v2, -v22, v8, v2
	v_fma_f32 v2, -v23, v9, v2
	v_fma_f32 v2, -v20, v10, v2
	v_fma_f32 v2, -v21, v11, v2
	;; [unrolled: 5-line block ×3, first 2 shown]
	ds_read_b128 v[4:7], v39 offset:64
	ds_read_b128 v[8:11], v39 offset:80
	s_waitcnt lgkmcnt(2)
	v_fma_f32 v2, -v14, v34, v2
	v_fma_f32 v2, -v15, v35, v2
	;; [unrolled: 1-line block ×4, first 2 shown]
	s_waitcnt lgkmcnt(1)
	v_fma_f32 v2, -v46, v4, v2
	v_fma_f32 v2, -v47, v5, v2
	;; [unrolled: 1-line block ×4, first 2 shown]
	v_mov_b32_e32 v4, s15
	s_or_b32 s15, s9, 0x320
	s_waitcnt lgkmcnt(0)
	v_fma_f32 v2, -v44, v8, v2
	ds_read_b32 v8, v4
	s_add_i32 s19, s15, s6
	s_lshl_b32 s19, s19, 2
	v_fma_f32 v2, -v45, v9, v2
	v_mov_b32_e32 v34, s19
	v_fma_f32 v2, -v48, v10, v2
	ds_read_b128 v[4:7], v34
	v_fma_f32 v2, -v38, v11, v2
	s_waitcnt lgkmcnt(1)
	v_mul_f32_e32 v39, v8, v2
	v_or_b32_e32 v2, s18, v0
	v_lshlrev_b32_e32 v2, 2, v2
	ds_write_b32 v2, v39 offset:4096
	ds_read_b128 v[8:11], v34 offset:16
	ds_read_b128 v[30:33], v34 offset:32
	s_waitcnt lgkmcnt(3)
	v_fma_f32 v2, -v26, v4, v3
	v_fma_f32 v2, -v27, v5, v2
	;; [unrolled: 1-line block ×4, first 2 shown]
	s_waitcnt lgkmcnt(1)
	v_fma_f32 v2, -v22, v8, v2
	v_fma_f32 v2, -v23, v9, v2
	v_fma_f32 v2, -v20, v10, v2
	v_fma_f32 v2, -v21, v11, v2
	s_waitcnt lgkmcnt(0)
	v_fma_f32 v6, -v18, v30, v2
	ds_read_b128 v[2:5], v34 offset:48
	v_fma_f32 v6, -v19, v31, v6
	v_fma_f32 v6, -v16, v32, v6
	;; [unrolled: 1-line block ×3, first 2 shown]
	ds_read_b128 v[6:9], v34 offset:64
	s_waitcnt lgkmcnt(1)
	v_fma_f32 v2, -v14, v2, v10
	v_fma_f32 v2, -v15, v3, v2
	;; [unrolled: 1-line block ×4, first 2 shown]
	s_waitcnt lgkmcnt(0)
	v_fma_f32 v6, -v46, v6, v2
	ds_read_b128 v[2:5], v34 offset:80
	v_fma_f32 v6, -v47, v7, v6
	v_fma_f32 v6, -v43, v8, v6
	;; [unrolled: 1-line block ×3, first 2 shown]
	ds_read_b64 v[6:7], v34 offset:96
	s_waitcnt lgkmcnt(1)
	v_fma_f32 v2, -v44, v2, v8
	v_fma_f32 v2, -v45, v3, v2
	;; [unrolled: 1-line block ×4, first 2 shown]
	s_waitcnt lgkmcnt(0)
	v_fma_f32 v2, -v39, v6, v2
	s_or_b32 s9, s9, 0x340
	v_mul_f32_e32 v10, v7, v2
	v_or_b32_e32 v2, s15, v0
	s_or_b32 s15, s9, s6
	s_lshl_b32 s15, s15, 2
	v_mov_b32_e32 v11, s15
	v_lshlrev_b32_e32 v6, 2, v2
	ds_read_b128 v[2:5], v11
	ds_write_b32 v6, v10 offset:4096
	ds_read_b128 v[6:9], v11 offset:16
	ds_read_b128 v[30:33], v11 offset:32
	;; [unrolled: 1-line block ×3, first 2 shown]
	s_lshl_b32 s6, s14, 2
	s_waitcnt lgkmcnt(4)
	v_fma_f32 v2, -v26, v2, v28
	v_fma_f32 v2, -v27, v3, v2
	v_fma_f32 v2, -v24, v4, v2
	v_fma_f32 v2, -v25, v5, v2
	s_waitcnt lgkmcnt(2)
	v_fma_f32 v2, -v22, v6, v2
	v_fma_f32 v2, -v23, v7, v2
	v_fma_f32 v2, -v20, v8, v2
	v_fma_f32 v2, -v21, v9, v2
	;; [unrolled: 5-line block ×3, first 2 shown]
	s_waitcnt lgkmcnt(0)
	v_fma_f32 v6, -v14, v34, v2
	ds_read_b128 v[2:5], v11 offset:64
	v_fma_f32 v6, -v15, v35, v6
	v_fma_f32 v6, -v12, v36, v6
	;; [unrolled: 1-line block ×3, first 2 shown]
	ds_read_b128 v[6:9], v11 offset:80
	s_waitcnt lgkmcnt(1)
	v_fma_f32 v2, -v46, v2, v28
	v_fma_f32 v2, -v47, v3, v2
	;; [unrolled: 1-line block ×4, first 2 shown]
	s_waitcnt lgkmcnt(0)
	v_fma_f32 v2, -v44, v6, v2
	v_fma_f32 v2, -v45, v7, v2
	;; [unrolled: 1-line block ×3, first 2 shown]
	ds_read_b96 v[6:8], v11 offset:96
	v_fma_f32 v9, -v38, v9, v2
	v_mov_b32_e32 v11, s6
	ds_read_b128 v[2:5], v11
	s_mov_b32 s6, s8
	s_waitcnt lgkmcnt(1)
	v_fma_f32 v6, -v39, v6, v9
	v_fma_f32 v6, -v10, v7, v6
	v_mul_f32_e32 v28, v8, v6
	v_or_b32_e32 v6, s9, v0
	v_lshlrev_b32_e32 v6, 2, v6
	ds_write_b32 v6, v28 offset:4096
	ds_read_b128 v[6:9], v11 offset:16
	ds_read_b128 v[30:33], v11 offset:32
	s_waitcnt lgkmcnt(3)
	v_fma_f32 v1, -v26, v2, v1
	v_fma_f32 v1, -v27, v3, v1
	v_fma_f32 v1, -v24, v4, v1
	v_fma_f32 v1, -v25, v5, v1
	s_waitcnt lgkmcnt(1)
	v_fma_f32 v1, -v22, v6, v1
	v_fma_f32 v1, -v23, v7, v1
	;; [unrolled: 1-line block ×4, first 2 shown]
	ds_read_b128 v[2:5], v11 offset:48
	ds_read_b128 v[6:9], v11 offset:64
	s_waitcnt lgkmcnt(2)
	v_fma_f32 v1, -v18, v30, v1
	v_fma_f32 v1, -v19, v31, v1
	;; [unrolled: 1-line block ×4, first 2 shown]
	s_waitcnt lgkmcnt(1)
	v_fma_f32 v1, -v14, v2, v1
	v_fma_f32 v1, -v15, v3, v1
	;; [unrolled: 1-line block ×4, first 2 shown]
	ds_read_b128 v[2:5], v11 offset:80
	s_waitcnt lgkmcnt(1)
	v_fma_f32 v1, -v46, v6, v1
	v_fma_f32 v1, -v47, v7, v1
	;; [unrolled: 1-line block ×4, first 2 shown]
	ds_read_b128 v[6:9], v11 offset:96
	s_waitcnt lgkmcnt(1)
	v_fma_f32 v1, -v44, v2, v1
	v_fma_f32 v1, -v45, v3, v1
	;; [unrolled: 1-line block ×4, first 2 shown]
	s_waitcnt lgkmcnt(0)
	v_fma_f32 v1, -v39, v6, v1
	v_fma_f32 v1, -v10, v7, v1
	;; [unrolled: 1-line block ×3, first 2 shown]
	v_mul_f32_e32 v1, v9, v1
	ds_write_b32 v29, v1
.LBB36_36:
	s_cmp_ge_i32 s6, s26
	s_cbranch_scc1 .LBB36_47
; %bb.37:
	v_mov_b32_e32 v1, 0x1000
	s_add_i32 s8, s6, -1
	v_lshl_or_b32 v1, v0, 2, v1
	s_lshl_b32 s9, s6, 7
	s_mov_b32 s14, 0
	v_lshlrev_b32_e32 v2, 2, v0
	s_mov_b32 s15, s6
	s_branch .LBB36_39
.LBB36_38:                              ;   in Loop: Header=BB36_39 Depth=1
	s_mul_i32 s18, s6, 0x84
	v_mov_b32_e32 v5, s18
	ds_read_b32 v5, v5
	s_add_i32 s6, s6, 1
	s_add_i32 s14, s14, 1
	s_addk_i32 s9, 0x80
	v_add_u16_e64 v6, s15, 1
	v_add_u32_e32 v4, 0x1000, v4
	s_waitcnt lgkmcnt(0)
	v_mul_f32_e32 v3, v5, v3
	s_cmp_ge_i32 s6, s26
	v_readfirstlane_b32 s15, v6
	ds_write_b32 v4, v3
	s_cbranch_scc1 .LBB36_47
.LBB36_39:                              ; =>This Loop Header: Depth=1
                                        ;     Child Loop BB36_42 Depth 2
                                        ;     Child Loop BB36_46 Depth 2
	v_lshl_or_b32 v4, s6, 7, v2
	ds_read_b32 v3, v4 offset:4096
	s_cmp_eq_u32 s6, 0
	s_cbranch_scc1 .LBB36_38
; %bb.40:                               ;   in Loop: Header=BB36_39 Depth=1
	s_add_i32 s18, s8, s14
	s_cmp_lt_u32 s18, 7
	s_cbranch_scc1 .LBB36_44
; %bb.41:                               ;   in Loop: Header=BB36_39 Depth=1
	s_and_b32 s18, s6, -8
	s_mov_b32 s19, 0
	s_mov_b32 s20, s9
	v_mov_b32_e32 v5, v1
.LBB36_42:                              ;   Parent Loop BB36_39 Depth=1
                                        ; =>  This Inner Loop Header: Depth=2
	v_mov_b32_e32 v10, s20
	ds_read2_b32 v[14:15], v5 offset1:32
	ds_read2_b32 v[16:17], v5 offset0:64 offset1:96
	ds_read2_b32 v[18:19], v5 offset0:128 offset1:160
	;; [unrolled: 1-line block ×3, first 2 shown]
	ds_read_b128 v[6:9], v10
	ds_read_b128 v[10:13], v10 offset:16
	s_add_i32 s19, s19, 8
	s_add_i32 s20, s20, 32
	v_add_u32_e32 v5, 0x400, v5
	s_waitcnt lgkmcnt(1)
	v_fma_f32 v3, -v14, v6, v3
	v_fma_f32 v3, -v15, v7, v3
	;; [unrolled: 1-line block ×4, first 2 shown]
	s_waitcnt lgkmcnt(0)
	v_fma_f32 v3, -v18, v10, v3
	v_fma_f32 v3, -v19, v11, v3
	v_fma_f32 v3, -v20, v12, v3
	s_cmp_lg_u32 s18, s19
	v_fma_f32 v3, -v21, v13, v3
	s_cbranch_scc1 .LBB36_42
; %bb.43:                               ;   in Loop: Header=BB36_39 Depth=1
	s_and_b32 s19, s6, 7
	s_cmp_eq_u32 s19, 0
	s_cbranch_scc0 .LBB36_45
	s_branch .LBB36_38
.LBB36_44:                              ;   in Loop: Header=BB36_39 Depth=1
	s_mov_b32 s18, 0
	s_and_b32 s19, s6, 7
	s_cmp_eq_u32 s19, 0
	s_cbranch_scc1 .LBB36_38
.LBB36_45:                              ;   in Loop: Header=BB36_39 Depth=1
	s_and_b32 s19, s15, 7
	s_lshl_b32 s20, s18, 2
	v_lshl_add_u32 v5, s18, 7, v1
.LBB36_46:                              ;   Parent Loop BB36_39 Depth=1
                                        ; =>  This Inner Loop Header: Depth=2
	s_add_i32 s18, s9, s20
	v_mov_b32_e32 v7, s18
	ds_read_b32 v6, v5
	ds_read_b32 v7, v7
	s_add_i32 s20, s20, 4
	s_add_i32 s19, s19, -1
	v_add_u32_e32 v5, 0x80, v5
	s_cmp_lg_u32 s19, 0
	s_waitcnt lgkmcnt(0)
	v_fma_f32 v3, -v6, v7, v3
	s_cbranch_scc1 .LBB36_46
	s_branch .LBB36_38
.LBB36_47:
	s_mov_b64 s[8:9], 0
.LBB36_48:
	s_and_b64 vcc, exec, s[8:9]
	s_cbranch_vccz .LBB36_70
; %bb.49:
	s_add_i32 s6, s26, -1
	s_cmp_gt_i32 s10, 31
	s_mov_b32 s8, s6
	s_cbranch_scc0 .LBB36_51
; %bb.50:
	s_lshl_b32 s31, s6, 5
	s_lshl_b32 s33, s26, 5
	v_or_b32_e32 v1, s31, v0
	s_sub_i32 s8, s33, 64
	s_add_i32 s30, s33, 0xffffffa0
	v_lshlrev_b32_e32 v14, 2, v1
	v_or_b32_e32 v1, s8, v0
	v_or_b32_e32 v2, s30, v0
	s_add_i32 s8, s33, 0xffffff80
	s_add_i32 s29, s33, 0xffffff60
	v_lshlrev_b32_e32 v16, 2, v2
	v_or_b32_e32 v2, s8, v0
	v_or_b32_e32 v3, s29, v0
	s_add_i32 s8, s33, 0xffffff40
	s_add_i32 s27, s33, 0xffffff20
	v_lshlrev_b32_e32 v19, 2, v3
	v_or_b32_e32 v3, s8, v0
	v_or_b32_e32 v4, s27, v0
	s_add_i32 s8, s33, 0xffffff00
	v_lshlrev_b32_e32 v1, 2, v1
	v_lshlrev_b32_e32 v22, 2, v4
	v_or_b32_e32 v4, s8, v0
	s_add_i32 s28, s33, 0xfffffee0
	v_lshlrev_b32_e32 v2, 2, v2
	v_lshlrev_b32_e32 v3, 2, v3
	v_lshlrev_b32_e32 v4, 2, v4
	ds_read_b32 v7, v14 offset:4096
	ds_read_b32 v20, v1 offset:4096
	ds_read_b32 v21, v16 offset:4096
	ds_read_b32 v43, v2 offset:4096
	ds_read_b32 v48, v19 offset:4096
	ds_read_b32 v50, v3 offset:4096
	ds_read_b32 v51, v22 offset:4096
	ds_read_b32 v54, v4 offset:4096
	v_or_b32_e32 v1, s28, v0
	s_add_i32 s8, s33, 0xfffffec0
	s_add_i32 s25, s33, 0xfffffea0
	v_lshlrev_b32_e32 v58, 2, v1
	v_or_b32_e32 v1, s8, v0
	v_or_b32_e32 v2, s25, v0
	s_add_i32 s8, s33, 0xfffffe80
	s_add_i32 s24, s33, 0xfffffe60
	v_lshlrev_b32_e32 v66, 2, v2
	v_or_b32_e32 v2, s8, v0
	v_or_b32_e32 v3, s24, v0
	s_add_i32 s8, s33, 0xfffffe40
	s_add_i32 s21, s33, 0xfffffe20
	v_lshlrev_b32_e32 v23, 2, v3
	v_or_b32_e32 v3, s8, v0
	v_or_b32_e32 v4, s21, v0
	s_add_i32 s8, s33, 0xfffffe00
	v_lshlrev_b32_e32 v1, 2, v1
	v_lshlrev_b32_e32 v25, 2, v4
	v_or_b32_e32 v4, s8, v0
	s_add_i32 s23, s33, 0xfffffde0
	v_lshlrev_b32_e32 v2, 2, v2
	v_lshlrev_b32_e32 v3, 2, v3
	v_lshlrev_b32_e32 v4, 2, v4
	ds_read_b32 v55, v58 offset:4096
	ds_read_b32 v59, v1 offset:4096
	ds_read_b32 v60, v66 offset:4096
	ds_read_b32 v67, v2 offset:4096
	ds_read_b32 v68, v23 offset:4096
	ds_read_b32 v42, v3 offset:4096
	ds_read_b32 v24, v25 offset:4096
	ds_read_b32 v28, v4 offset:4096
	v_or_b32_e32 v1, s23, v0
	s_add_i32 s8, s33, 0xfffffdc0
	;; [unrolled: 32-line block ×3, first 2 shown]
	v_lshlrev_b32_e32 v26, 2, v1
	v_or_b32_e32 v1, s8, v0
	s_add_i32 s14, s33, 0xfffffca0
	v_lshlrev_b32_e32 v2, 2, v1
	v_or_b32_e32 v1, s14, v0
	s_add_i32 s8, s33, 0xfffffc80
	;; [unrolled: 3-line block ×5, first 2 shown]
	s_addk_i32 s33, 0xfc00
	v_or_b32_e32 v5, s33, v0
	s_add_i32 s33, s26, -2
	s_add_i32 s34, s33, s31
	v_lshlrev_b32_e32 v6, 2, v1
	v_or_b32_e32 v1, s8, v0
	v_lshlrev_b32_e32 v8, 2, v5
	s_mul_i32 s36, s6, 0x84
	s_lshl_b32 s34, s34, 2
	v_lshlrev_b32_e32 v1, 2, v1
	ds_read_b32 v33, v26 offset:4096
	ds_read_b32 v27, v2 offset:4096
	;; [unrolled: 1-line block ×8, first 2 shown]
	v_mov_b32_e32 v8, s34
	s_add_i32 s34, s36, 0xffffff7c
	v_mov_b32_e32 v10, s34
	s_add_i32 s34, s26, -4
	s_add_i32 s35, s34, s31
	s_lshl_b32 s33, s33, 5
	s_lshl_b32 s35, s35, 2
	ds_read2_b32 v[8:9], v8 offset1:1
	v_mov_b32_e32 v11, s35
	s_add_i32 s35, s34, s33
	s_lshl_b32 s35, s35, 2
	v_mov_b32_e32 v12, s35
	ds_read_b32 v44, v10
	ds_read2_b32 v[10:11], v11 offset1:1
	ds_read2_b32 v[12:13], v12 offset1:1
	s_waitcnt lgkmcnt(3)
	v_mul_f32_e32 v7, v9, v7
	v_fma_f32 v8, -v7, v8, v20
	v_or_b32_e32 v9, s33, v0
	s_add_i32 s35, s34, s30
	s_waitcnt lgkmcnt(2)
	v_mul_f32_e32 v8, v44, v8
	v_lshlrev_b32_e32 v9, 2, v9
	s_lshl_b32 s35, s35, 2
	ds_write_b32 v9, v8 offset:4096
	s_waitcnt lgkmcnt(2)
	v_fma_f32 v9, -v7, v11, v21
	v_mov_b32_e32 v11, s35
	s_add_i32 s35, s36, 0xfffffe74
	s_waitcnt lgkmcnt(1)
	v_fma_f32 v9, -v8, v13, v9
	v_mov_b32_e32 v13, s35
	s_add_i32 s35, s26, -6
	s_add_i32 s37, s35, s31
	s_lshl_b32 s37, s37, 2
	ds_read2_b32 v[20:21], v11 offset1:1
	ds_write_b32 v14, v7 offset:4096
	v_mov_b32_e32 v14, s37
	s_add_i32 s37, s35, s33
	s_lshl_b32 s37, s37, 2
	v_mov_b32_e32 v11, s37
	s_add_i32 s37, s35, s30
	ds_read_b32 v13, v13
	ds_read2_b32 v[44:45], v14 offset1:1
	ds_read2_b32 v[46:47], v11 offset1:1
	v_fma_f32 v10, -v7, v10, v43
	s_lshl_b32 s34, s34, 5
	s_lshl_b32 s37, s37, 2
	s_waitcnt lgkmcnt(4)
	v_mul_f32_e32 v9, v21, v9
	v_fma_f32 v10, -v8, v12, v10
	v_mov_b32_e32 v12, s37
	s_add_i32 s37, s35, s34
	v_fma_f32 v10, -v9, v20, v10
	v_or_b32_e32 v11, s34, v0
	s_lshl_b32 s37, s37, 2
	s_waitcnt lgkmcnt(2)
	v_mul_f32_e32 v10, v13, v10
	v_lshlrev_b32_e32 v11, 2, v11
	v_mov_b32_e32 v14, s37
	s_add_i32 s37, s35, s29
	ds_write_b32 v16, v9 offset:4096
	ds_write_b32 v11, v10 offset:4096
	s_lshl_b32 s37, s37, 2
	s_waitcnt lgkmcnt(3)
	v_fma_f32 v11, -v7, v45, v48
	v_mov_b32_e32 v16, s37
	ds_read2_b32 v[12:13], v12 offset1:1
	ds_read2_b32 v[20:21], v14 offset1:1
	;; [unrolled: 1-line block ×3, first 2 shown]
	s_add_i32 s37, s36, 0xfffffd6c
	s_waitcnt lgkmcnt(5)
	v_fma_f32 v11, -v8, v47, v11
	v_mov_b32_e32 v14, s37
	ds_read_b32 v14, v14
	s_waitcnt lgkmcnt(3)
	v_fma_f32 v11, -v9, v13, v11
	v_fma_f32 v13, -v7, v44, v50
	;; [unrolled: 1-line block ×3, first 2 shown]
	s_waitcnt lgkmcnt(2)
	v_fma_f32 v11, -v10, v21, v11
	v_fma_f32 v12, -v9, v12, v13
	s_waitcnt lgkmcnt(1)
	v_mul_f32_e32 v11, v49, v11
	v_fma_f32 v12, -v10, v20, v12
	s_lshl_b32 s35, s35, 5
	s_add_i32 s37, s26, -8
	v_fma_f32 v12, -v11, v48, v12
	v_or_b32_e32 v13, s35, v0
	s_add_i32 s38, s37, s31
	s_waitcnt lgkmcnt(0)
	v_mul_f32_e32 v12, v14, v12
	v_lshlrev_b32_e32 v13, 2, v13
	s_lshl_b32 s38, s38, 2
	ds_write_b32 v13, v12 offset:4096
	v_mov_b32_e32 v13, s38
	s_add_i32 s38, s37, s33
	s_lshl_b32 s38, s38, 2
	v_mov_b32_e32 v14, s38
	s_add_i32 s38, s37, s30
	s_lshl_b32 s38, s38, 2
	v_mov_b32_e32 v16, s38
	s_add_i32 s38, s37, s34
	ds_write_b32 v19, v11 offset:4096
	s_lshl_b32 s38, s38, 2
	ds_read2_b32 v[20:21], v13 offset1:1
	ds_read2_b32 v[44:45], v14 offset1:1
	v_mov_b32_e32 v13, s38
	s_add_i32 s38, s37, s29
	s_lshl_b32 s38, s38, 2
	v_mov_b32_e32 v14, s38
	s_add_i32 s38, s37, s35
	ds_read2_b32 v[46:47], v16 offset1:1
	ds_read2_b32 v[48:49], v13 offset1:1
	s_lshl_b32 s38, s38, 2
	v_mov_b32_e32 v16, s38
	s_add_i32 s38, s36, 0xfffffce8
	s_waitcnt lgkmcnt(3)
	v_fma_f32 v13, -v7, v21, v51
	ds_read2_b32 v[50:51], v14 offset1:1
	ds_read2_b32 v[52:53], v16 offset1:1
	v_mov_b32_e32 v14, s38
	s_waitcnt lgkmcnt(4)
	v_fma_f32 v13, -v8, v45, v13
	ds_read_b32 v14, v14
	s_waitcnt lgkmcnt(4)
	v_fma_f32 v13, -v9, v47, v13
	s_waitcnt lgkmcnt(3)
	v_fma_f32 v13, -v10, v49, v13
	;; [unrolled: 2-line block ×3, first 2 shown]
	s_add_i32 s38, s37, s27
	s_waitcnt lgkmcnt(1)
	v_fma_f32 v13, -v12, v53, v13
	s_lshl_b32 s38, s38, 2
	s_waitcnt lgkmcnt(0)
	v_mul_f32_e32 v13, v14, v13
	v_fma_f32 v14, -v7, v20, v54
	v_mov_b32_e32 v16, s38
	s_add_i32 s38, s36, 0xfffffc64
	v_fma_f32 v14, -v8, v44, v14
	ds_read_b32 v16, v16
	v_mov_b32_e32 v19, s38
	v_fma_f32 v14, -v9, v46, v14
	ds_read_b32 v19, v19
	v_fma_f32 v14, -v10, v48, v14
	v_fma_f32 v14, -v11, v50, v14
	s_add_i32 s38, s26, -10
	v_fma_f32 v14, -v12, v52, v14
	s_add_i32 s39, s38, s31
	s_waitcnt lgkmcnt(1)
	v_fma_f32 v14, -v13, v16, v14
	s_lshl_b32 s39, s39, 2
	s_waitcnt lgkmcnt(0)
	v_mul_f32_e32 v14, v19, v14
	v_mov_b32_e32 v19, s39
	s_add_i32 s39, s38, s33
	s_lshl_b32 s39, s39, 2
	ds_write_b32 v22, v13 offset:4096
	v_mov_b32_e32 v22, s39
	s_add_i32 s39, s38, s30
	s_lshl_b32 s39, s39, 2
	v_mov_b32_e32 v43, s39
	s_add_i32 s39, s38, s34
	s_lshl_b32 s39, s39, 2
	;; [unrolled: 3-line block ×3, first 2 shown]
	s_lshl_b32 s39, s39, 2
	v_or_b32_e32 v16, s37, v0
	ds_read2_b32 v[20:21], v19 offset1:1
	ds_read2_b32 v[44:45], v22 offset1:1
	ds_read2_b32 v[46:47], v43 offset1:1
	ds_read2_b32 v[48:49], v48 offset1:1
	v_mov_b32_e32 v19, s39
	s_add_i32 s39, s38, s35
	v_lshlrev_b32_e32 v16, 2, v16
	s_lshl_b32 s39, s39, 2
	ds_write_b32 v16, v14 offset:4096
	s_waitcnt lgkmcnt(4)
	v_fma_f32 v16, -v7, v21, v55
	v_mov_b32_e32 v21, s39
	s_add_i32 s39, s38, s27
	s_lshl_b32 s39, s39, 2
	v_mov_b32_e32 v22, s39
	s_add_i32 s39, s38, s37
	s_lshl_b32 s39, s39, 2
	s_waitcnt lgkmcnt(3)
	v_fma_f32 v16, -v8, v45, v16
	v_mov_b32_e32 v43, s39
	s_add_i32 s39, s36, 0xfffffbe0
	s_waitcnt lgkmcnt(2)
	v_fma_f32 v16, -v9, v47, v16
	ds_read2_b32 v[50:51], v19 offset1:1
	ds_read2_b32 v[52:53], v21 offset1:1
	;; [unrolled: 1-line block ×4, first 2 shown]
	v_mov_b32_e32 v19, s39
	s_waitcnt lgkmcnt(5)
	v_fma_f32 v16, -v10, v49, v16
	ds_read_b32 v19, v19
	s_waitcnt lgkmcnt(4)
	v_fma_f32 v16, -v11, v51, v16
	s_waitcnt lgkmcnt(3)
	v_fma_f32 v16, -v12, v53, v16
	;; [unrolled: 2-line block ×4, first 2 shown]
	s_waitcnt lgkmcnt(0)
	v_mul_f32_e32 v16, v19, v16
	v_fma_f32 v19, -v7, v20, v59
	s_add_i32 s39, s38, s28
	v_fma_f32 v19, -v8, v44, v19
	s_lshl_b32 s39, s39, 2
	v_fma_f32 v19, -v9, v46, v19
	v_mov_b32_e32 v20, s39
	s_addk_i32 s36, 0xfb5c
	v_fma_f32 v19, -v10, v48, v19
	ds_read_b32 v20, v20
	v_mov_b32_e32 v21, s36
	v_fma_f32 v19, -v11, v50, v19
	ds_read_b32 v21, v21
	v_fma_f32 v19, -v12, v52, v19
	v_fma_f32 v19, -v13, v54, v19
	;; [unrolled: 1-line block ×3, first 2 shown]
	s_lshl_b32 s38, s38, 5
	s_add_i32 s39, s26, -12
	s_waitcnt lgkmcnt(1)
	v_fma_f32 v19, -v16, v20, v19
	v_or_b32_e32 v20, s38, v0
	s_add_i32 s36, s39, s31
	s_waitcnt lgkmcnt(0)
	v_mul_f32_e32 v19, v21, v19
	v_lshlrev_b32_e32 v20, 2, v20
	s_lshl_b32 s36, s36, 2
	ds_write_b32 v20, v19 offset:4096
	v_mov_b32_e32 v20, s36
	s_add_i32 s36, s39, s33
	s_lshl_b32 s36, s36, 2
	v_mov_b32_e32 v21, s36
	s_add_i32 s36, s39, s30
	s_lshl_b32 s36, s36, 2
	v_mov_b32_e32 v22, s36
	s_add_i32 s36, s39, s34
	ds_write_b32 v58, v16 offset:4096
	s_lshl_b32 s36, s36, 2
	ds_read2_b32 v[44:45], v20 offset1:1
	ds_read2_b32 v[46:47], v21 offset1:1
	;; [unrolled: 1-line block ×3, first 2 shown]
	v_mov_b32_e32 v20, s36
	s_add_i32 s36, s39, s29
	s_lshl_b32 s36, s36, 2
	v_mov_b32_e32 v21, s36
	s_add_i32 s36, s39, s35
	s_lshl_b32 s36, s36, 2
	;; [unrolled: 3-line block ×4, first 2 shown]
	ds_read2_b32 v[50:51], v20 offset1:1
	s_waitcnt lgkmcnt(3)
	v_fma_f32 v20, -v7, v45, v60
	v_mov_b32_e32 v45, s36
	s_add_i32 s36, s39, s28
	s_lshl_b32 s36, s36, 2
	ds_read2_b32 v[52:53], v21 offset1:1
	ds_read2_b32 v[54:55], v22 offset1:1
	;; [unrolled: 1-line block ×4, first 2 shown]
	v_mov_b32_e32 v21, s36
	s_add_i32 s36, s39, s38
	s_lshl_b32 s36, s36, 2
	v_mov_b32_e32 v22, s36
	s_add_i32 s36, s39, s25
	s_lshl_b32 s36, s36, 2
	v_mov_b32_e32 v43, s36
	s_mul_i32 s36, s26, 0x84
	s_add_i32 s40, s36, 0xfffff9d0
	s_waitcnt lgkmcnt(6)
	v_fma_f32 v20, -v8, v47, v20
	ds_read2_b32 v[60:61], v21 offset1:1
	ds_read2_b32 v[62:63], v22 offset1:1
	;; [unrolled: 1-line block ×3, first 2 shown]
	v_mov_b32_e32 v21, s40
	v_fma_f32 v22, -v7, v44, v67
	s_add_i32 s40, s26, -14
	s_waitcnt lgkmcnt(8)
	v_fma_f32 v20, -v9, v49, v20
	v_fma_f32 v22, -v8, v46, v22
	s_add_i32 s41, s40, s31
	s_waitcnt lgkmcnt(7)
	v_fma_f32 v20, -v10, v51, v20
	v_fma_f32 v22, -v9, v48, v22
	s_lshl_b32 s41, s41, 2
	s_waitcnt lgkmcnt(6)
	v_fma_f32 v20, -v11, v53, v20
	v_fma_f32 v22, -v10, v50, v22
	v_mov_b32_e32 v43, s41
	s_add_i32 s41, s40, s33
	s_waitcnt lgkmcnt(5)
	v_fma_f32 v20, -v12, v55, v20
	v_fma_f32 v22, -v11, v52, v22
	s_lshl_b32 s41, s41, 2
	s_waitcnt lgkmcnt(4)
	v_fma_f32 v20, -v13, v57, v20
	v_fma_f32 v22, -v12, v54, v22
	v_mov_b32_e32 v46, s41
	s_add_i32 s41, s40, s30
	s_waitcnt lgkmcnt(3)
	v_fma_f32 v20, -v14, v59, v20
	ds_read_b32 v21, v21
	v_fma_f32 v22, -v13, v56, v22
	s_lshl_b32 s41, s41, 2
	s_waitcnt lgkmcnt(3)
	v_fma_f32 v20, -v16, v61, v20
	v_fma_f32 v22, -v14, v58, v22
	v_mov_b32_e32 v48, s41
	s_add_i32 s41, s40, s34
	s_waitcnt lgkmcnt(2)
	v_fma_f32 v20, -v19, v63, v20
	v_fma_f32 v22, -v16, v60, v22
	s_lshl_b32 s41, s41, 2
	s_waitcnt lgkmcnt(1)
	v_mul_f32_e32 v20, v65, v20
	v_fma_f32 v22, -v19, v62, v22
	v_mov_b32_e32 v50, s41
	s_add_i32 s41, s40, s29
	ds_write_b32 v66, v20 offset:4096
	v_fma_f32 v22, -v20, v64, v22
	s_lshl_b32 s39, s39, 5
	s_lshl_b32 s41, s41, 2
	s_waitcnt lgkmcnt(1)
	v_mul_f32_e32 v21, v21, v22
	v_or_b32_e32 v22, s39, v0
	ds_read2_b32 v[44:45], v43 offset1:1
	ds_read2_b32 v[46:47], v46 offset1:1
	;; [unrolled: 1-line block ×4, first 2 shown]
	v_mov_b32_e32 v43, s41
	s_add_i32 s41, s40, s35
	v_lshlrev_b32_e32 v22, 2, v22
	s_lshl_b32 s41, s41, 2
	ds_write_b32 v22, v21 offset:4096
	s_waitcnt lgkmcnt(4)
	v_fma_f32 v22, -v7, v45, v68
	v_mov_b32_e32 v45, s41
	s_add_i32 s41, s40, s27
	s_lshl_b32 s41, s41, 2
	s_waitcnt lgkmcnt(3)
	v_fma_f32 v22, -v8, v47, v22
	v_mov_b32_e32 v47, s41
	s_add_i32 s41, s40, s37
	s_lshl_b32 s41, s41, 2
	ds_read2_b32 v[52:53], v43 offset1:1
	ds_read2_b32 v[54:55], v45 offset1:1
	;; [unrolled: 1-line block ×3, first 2 shown]
	v_mov_b32_e32 v43, s41
	s_add_i32 s41, s40, s28
	s_lshl_b32 s41, s41, 2
	ds_read2_b32 v[58:59], v43 offset1:1
	v_mov_b32_e32 v43, s41
	s_add_i32 s41, s40, s38
	s_lshl_b32 s41, s41, 2
	v_mov_b32_e32 v45, s41
	s_add_i32 s41, s40, s25
	s_lshl_b32 s41, s41, 2
	s_waitcnt lgkmcnt(6)
	v_fma_f32 v22, -v9, v49, v22
	v_mov_b32_e32 v47, s41
	s_add_i32 s41, s40, s39
	s_waitcnt lgkmcnt(5)
	v_fma_f32 v22, -v10, v51, v22
	s_lshl_b32 s41, s41, 2
	s_waitcnt lgkmcnt(3)
	v_fma_f32 v22, -v11, v53, v22
	v_mov_b32_e32 v49, s41
	s_add_i32 s41, s40, s24
	s_waitcnt lgkmcnt(2)
	v_fma_f32 v22, -v12, v55, v22
	s_lshl_b32 s41, s41, 2
	s_waitcnt lgkmcnt(1)
	v_fma_f32 v22, -v13, v57, v22
	ds_read2_b32 v[60:61], v43 offset1:1
	ds_read2_b32 v[62:63], v45 offset1:1
	;; [unrolled: 1-line block ×4, first 2 shown]
	v_mov_b32_e32 v43, s41
	s_waitcnt lgkmcnt(4)
	v_fma_f32 v22, -v14, v59, v22
	s_add_i32 s41, s36, 0xfffff8c8
	ds_read2_b32 v[68:69], v43 offset1:1
	s_waitcnt lgkmcnt(4)
	v_fma_f32 v22, -v16, v61, v22
	v_mov_b32_e32 v45, s41
	s_add_i32 s41, s26, -16
	s_waitcnt lgkmcnt(3)
	v_fma_f32 v22, -v19, v63, v22
	s_add_i32 s42, s41, s31
	s_waitcnt lgkmcnt(2)
	v_fma_f32 v22, -v20, v65, v22
	s_lshl_b32 s42, s42, 2
	s_waitcnt lgkmcnt(1)
	v_fma_f32 v22, -v21, v67, v22
	v_mov_b32_e32 v47, s42
	s_add_i32 s42, s41, s33
	s_lshl_b32 s42, s42, 2
	s_waitcnt lgkmcnt(0)
	v_mul_f32_e32 v22, v69, v22
	v_mov_b32_e32 v43, s42
	ds_read_b32 v45, v45
	ds_read2_b32 v[70:71], v47 offset1:1
	ds_read2_b32 v[72:73], v43 offset1:1
	ds_write_b32 v23, v22 offset:4096
	v_fma_f32 v23, -v7, v44, v42
	v_fma_f32 v23, -v8, v46, v23
	;; [unrolled: 1-line block ×12, first 2 shown]
	s_lshl_b32 s40, s40, 5
	v_fma_f32 v23, -v22, v68, v23
	v_or_b32_e32 v42, s40, v0
	s_add_i32 s42, s41, s30
	s_waitcnt lgkmcnt(3)
	v_mul_f32_e32 v23, v45, v23
	v_lshlrev_b32_e32 v42, 2, v42
	s_lshl_b32 s42, s42, 2
	ds_write_b32 v42, v23 offset:4096
	v_mov_b32_e32 v42, s42
	s_add_i32 s42, s41, s34
	s_lshl_b32 s42, s42, 2
	v_mov_b32_e32 v44, s42
	s_add_i32 s42, s41, s29
	s_lshl_b32 s42, s42, 2
	;; [unrolled: 3-line block ×3, first 2 shown]
	v_mov_b32_e32 v48, s42
	s_waitcnt lgkmcnt(3)
	v_fma_f32 v24, -v7, v71, v24
	ds_read2_b32 v[42:43], v42 offset1:1
	ds_read2_b32 v[44:45], v44 offset1:1
	;; [unrolled: 1-line block ×4, first 2 shown]
	s_add_i32 s42, s41, s27
	s_waitcnt lgkmcnt(6)
	v_fma_f32 v24, -v8, v73, v24
	s_lshl_b32 s42, s42, 2
	s_waitcnt lgkmcnt(3)
	v_fma_f32 v24, -v9, v43, v24
	v_mov_b32_e32 v43, s42
	s_add_i32 s42, s41, s37
	s_lshl_b32 s42, s42, 2
	s_waitcnt lgkmcnt(2)
	v_fma_f32 v24, -v10, v45, v24
	v_mov_b32_e32 v45, s42
	s_add_i32 s42, s41, s28
	;; [unrolled: 5-line block ×3, first 2 shown]
	s_lshl_b32 s42, s42, 2
	ds_read2_b32 v[50:51], v43 offset1:1
	ds_read2_b32 v[52:53], v45 offset1:1
	ds_read2_b32 v[54:55], v47 offset1:1
	v_mov_b32_e32 v43, s42
	s_add_i32 s42, s41, s25
	s_lshl_b32 s42, s42, 2
	ds_read2_b32 v[56:57], v43 offset1:1
	v_mov_b32_e32 v43, s42
	s_add_i32 s42, s41, s39
	s_lshl_b32 s42, s42, 2
	v_mov_b32_e32 v45, s42
	s_add_i32 s42, s41, s24
	s_lshl_b32 s42, s42, 2
	v_mov_b32_e32 v47, s42
	s_add_i32 s42, s41, s40
	s_waitcnt lgkmcnt(4)
	v_fma_f32 v24, -v12, v49, v24
	s_lshl_b32 s42, s42, 2
	s_waitcnt lgkmcnt(3)
	v_fma_f32 v24, -v13, v51, v24
	v_mov_b32_e32 v49, s42
	s_add_i32 s42, s41, s21
	s_waitcnt lgkmcnt(2)
	v_fma_f32 v24, -v14, v53, v24
	s_lshl_b32 s42, s42, 2
	s_waitcnt lgkmcnt(1)
	v_fma_f32 v24, -v16, v55, v24
	ds_read2_b32 v[58:59], v43 offset1:1
	ds_read2_b32 v[60:61], v45 offset1:1
	;; [unrolled: 1-line block ×4, first 2 shown]
	v_mov_b32_e32 v43, s42
	s_waitcnt lgkmcnt(4)
	v_fma_f32 v24, -v19, v57, v24
	s_add_i32 s42, s36, 0xfffff7c0
	ds_read2_b32 v[66:67], v43 offset1:1
	s_waitcnt lgkmcnt(4)
	v_fma_f32 v24, -v20, v59, v24
	v_mov_b32_e32 v45, s42
	s_sub_i32 s42, s26, 18
	s_waitcnt lgkmcnt(3)
	v_fma_f32 v24, -v21, v61, v24
	s_add_i32 s43, s42, s31
	s_waitcnt lgkmcnt(2)
	v_fma_f32 v24, -v22, v63, v24
	s_lshl_b32 s43, s43, 2
	s_waitcnt lgkmcnt(1)
	v_fma_f32 v24, -v23, v65, v24
	v_mov_b32_e32 v47, s43
	s_add_i32 s43, s42, s33
	s_lshl_b32 s43, s43, 2
	s_waitcnt lgkmcnt(0)
	v_mul_f32_e32 v24, v67, v24
	v_mov_b32_e32 v43, s43
	ds_read_b32 v45, v45
	ds_read2_b32 v[68:69], v47 offset1:1
	ds_read2_b32 v[74:75], v43 offset1:1
	ds_write_b32 v25, v24 offset:4096
	v_fma_f32 v25, -v7, v70, v28
	v_fma_f32 v25, -v8, v72, v25
	;; [unrolled: 1-line block ×14, first 2 shown]
	s_lshl_b32 s41, s41, 5
	v_fma_f32 v25, -v24, v66, v25
	v_or_b32_e32 v28, s41, v0
	s_add_i32 s43, s42, s30
	s_waitcnt lgkmcnt(3)
	v_mul_f32_e32 v25, v45, v25
	v_lshlrev_b32_e32 v28, 2, v28
	s_lshl_b32 s43, s43, 2
	ds_write_b32 v28, v25 offset:4096
	s_waitcnt lgkmcnt(3)
	v_fma_f32 v28, -v7, v69, v41
	v_mov_b32_e32 v41, s43
	s_add_i32 s43, s42, s34
	s_lshl_b32 s43, s43, 2
	v_mov_b32_e32 v44, s43
	s_add_i32 s43, s42, s29
	s_lshl_b32 s43, s43, 2
	;; [unrolled: 3-line block ×4, first 2 shown]
	ds_read2_b32 v[42:43], v41 offset1:1
	ds_read2_b32 v[44:45], v44 offset1:1
	ds_read2_b32 v[46:47], v46 offset1:1
	ds_read2_b32 v[48:49], v48 offset1:1
	v_mov_b32_e32 v41, s43
	s_add_i32 s43, s42, s37
	s_waitcnt lgkmcnt(6)
	v_fma_f32 v28, -v8, v75, v28
	s_lshl_b32 s43, s43, 2
	s_waitcnt lgkmcnt(3)
	v_fma_f32 v28, -v9, v43, v28
	v_mov_b32_e32 v43, s43
	s_add_i32 s43, s42, s28
	s_lshl_b32 s43, s43, 2
	s_waitcnt lgkmcnt(2)
	v_fma_f32 v28, -v10, v45, v28
	v_mov_b32_e32 v45, s43
	s_add_i32 s43, s42, s38
	s_lshl_b32 s43, s43, 2
	ds_read2_b32 v[50:51], v41 offset1:1
	ds_read2_b32 v[52:53], v43 offset1:1
	;; [unrolled: 1-line block ×3, first 2 shown]
	v_mov_b32_e32 v41, s43
	s_add_i32 s43, s42, s25
	s_lshl_b32 s43, s43, 2
	ds_read2_b32 v[56:57], v41 offset1:1
	v_mov_b32_e32 v41, s43
	s_add_i32 s43, s42, s39
	s_lshl_b32 s43, s43, 2
	v_mov_b32_e32 v43, s43
	s_add_i32 s43, s42, s24
	s_lshl_b32 s43, s43, 2
	v_mov_b32_e32 v45, s43
	s_add_i32 s43, s42, s40
	s_waitcnt lgkmcnt(5)
	v_fma_f32 v28, -v11, v47, v28
	s_lshl_b32 s43, s43, 2
	s_waitcnt lgkmcnt(4)
	v_fma_f32 v28, -v12, v49, v28
	v_mov_b32_e32 v47, s43
	s_add_i32 s43, s42, s21
	s_waitcnt lgkmcnt(3)
	v_fma_f32 v28, -v13, v51, v28
	s_lshl_b32 s43, s43, 2
	s_waitcnt lgkmcnt(2)
	v_fma_f32 v28, -v14, v53, v28
	ds_read2_b32 v[58:59], v41 offset1:1
	ds_read2_b32 v[60:61], v43 offset1:1
	;; [unrolled: 1-line block ×4, first 2 shown]
	v_mov_b32_e32 v41, s43
	s_add_i32 s43, s42, s41
	s_waitcnt lgkmcnt(5)
	v_fma_f32 v28, -v16, v55, v28
	s_lshl_b32 s43, s43, 2
	s_waitcnt lgkmcnt(4)
	v_fma_f32 v28, -v19, v57, v28
	v_mov_b32_e32 v43, s43
	s_add_i32 s43, s42, s23
	s_waitcnt lgkmcnt(3)
	v_fma_f32 v28, -v20, v59, v28
	s_lshl_b32 s43, s43, 2
	s_waitcnt lgkmcnt(2)
	v_fma_f32 v28, -v21, v61, v28
	v_mov_b32_e32 v45, s43
	ds_read2_b32 v[66:67], v41 offset1:1
	ds_read2_b32 v[70:71], v43 offset1:1
	;; [unrolled: 1-line block ×3, first 2 shown]
	s_waitcnt lgkmcnt(4)
	v_fma_f32 v28, -v22, v63, v28
	s_waitcnt lgkmcnt(3)
	v_fma_f32 v28, -v23, v65, v28
	;; [unrolled: 2-line block ×4, first 2 shown]
	s_waitcnt lgkmcnt(0)
	v_mul_f32_e32 v28, v73, v28
	ds_write_b32 v29, v28 offset:4096
	v_fma_f32 v29, -v7, v68, v40
	v_fma_f32 v29, -v8, v74, v29
	;; [unrolled: 1-line block ×10, first 2 shown]
	s_add_i32 s43, s36, 0xfffff6b8
	v_fma_f32 v29, -v20, v58, v29
	v_mov_b32_e32 v41, s43
	v_fma_f32 v29, -v21, v60, v29
	ds_read_b32 v41, v41
	v_fma_f32 v29, -v22, v62, v29
	v_fma_f32 v29, -v23, v64, v29
	;; [unrolled: 1-line block ×4, first 2 shown]
	s_lshl_b32 s42, s42, 5
	s_sub_i32 s43, s26, 20
	v_fma_f32 v29, -v28, v72, v29
	v_or_b32_e32 v40, s42, v0
	s_add_i32 s44, s43, s31
	s_waitcnt lgkmcnt(0)
	v_mul_f32_e32 v29, v41, v29
	v_lshlrev_b32_e32 v40, 2, v40
	s_lshl_b32 s44, s44, 2
	ds_write_b32 v40, v29 offset:4096
	v_mov_b32_e32 v40, s44
	s_add_i32 s44, s43, s33
	s_lshl_b32 s44, s44, 2
	v_mov_b32_e32 v42, s44
	s_add_i32 s44, s43, s30
	s_lshl_b32 s44, s44, 2
	;; [unrolled: 3-line block ×3, first 2 shown]
	ds_read2_b32 v[40:41], v40 offset1:1
	ds_read2_b32 v[42:43], v42 offset1:1
	;; [unrolled: 1-line block ×3, first 2 shown]
	v_mov_b32_e32 v46, s44
	s_add_i32 s44, s43, s29
	s_lshl_b32 s44, s44, 2
	s_waitcnt lgkmcnt(2)
	v_fma_f32 v31, -v7, v41, v31
	v_mov_b32_e32 v41, s44
	s_add_i32 s44, s43, s35
	s_lshl_b32 s44, s44, 2
	s_waitcnt lgkmcnt(1)
	v_fma_f32 v31, -v8, v43, v31
	;; [unrolled: 5-line block ×3, first 2 shown]
	v_mov_b32_e32 v45, s44
	s_add_i32 s44, s43, s37
	s_lshl_b32 s44, s44, 2
	v_mov_b32_e32 v54, s44
	s_add_i32 s44, s43, s28
	s_lshl_b32 s44, s44, 2
	ds_read2_b32 v[46:47], v46 offset1:1
	ds_read2_b32 v[48:49], v41 offset1:1
	;; [unrolled: 1-line block ×5, first 2 shown]
	v_mov_b32_e32 v41, s44
	s_add_i32 s44, s43, s38
	s_lshl_b32 s44, s44, 2
	v_mov_b32_e32 v43, s44
	s_add_i32 s44, s43, s25
	s_lshl_b32 s44, s44, 2
	;; [unrolled: 3-line block ×3, first 2 shown]
	ds_read2_b32 v[56:57], v41 offset1:1
	ds_read2_b32 v[58:59], v43 offset1:1
	ds_read2_b32 v[60:61], v45 offset1:1
	v_mov_b32_e32 v41, s44
	s_add_i32 s44, s43, s24
	s_lshl_b32 s44, s44, 2
	ds_read2_b32 v[62:63], v41 offset1:1
	v_mov_b32_e32 v41, s44
	s_add_i32 s44, s43, s40
	s_lshl_b32 s44, s44, 2
	s_waitcnt lgkmcnt(8)
	v_fma_f32 v31, -v10, v47, v31
	v_mov_b32_e32 v43, s44
	s_add_i32 s44, s43, s21
	s_waitcnt lgkmcnt(7)
	v_fma_f32 v31, -v11, v49, v31
	s_lshl_b32 s44, s44, 2
	s_waitcnt lgkmcnt(6)
	v_fma_f32 v31, -v12, v51, v31
	v_mov_b32_e32 v45, s44
	s_add_i32 s44, s43, s41
	s_waitcnt lgkmcnt(5)
	v_fma_f32 v31, -v13, v53, v31
	;; [unrolled: 7-line block ×3, first 2 shown]
	s_lshl_b32 s44, s44, 2
	s_waitcnt lgkmcnt(2)
	v_fma_f32 v31, -v19, v59, v31
	ds_read2_b32 v[64:65], v41 offset1:1
	ds_read2_b32 v[66:67], v43 offset1:1
	ds_read2_b32 v[68:69], v45 offset1:1
	ds_read2_b32 v[70:71], v47 offset1:1
	v_mov_b32_e32 v41, s44
	s_add_i32 s44, s43, s42
	s_waitcnt lgkmcnt(5)
	v_fma_f32 v31, -v20, v61, v31
	s_lshl_b32 s44, s44, 2
	s_waitcnt lgkmcnt(4)
	v_fma_f32 v31, -v21, v63, v31
	v_mov_b32_e32 v43, s44
	s_add_i32 s44, s43, s20
	s_waitcnt lgkmcnt(3)
	v_fma_f32 v31, -v22, v65, v31
	s_lshl_b32 s44, s44, 2
	s_waitcnt lgkmcnt(2)
	v_fma_f32 v31, -v23, v67, v31
	v_mov_b32_e32 v45, s44
	ds_read2_b32 v[72:73], v41 offset1:1
	ds_read2_b32 v[74:75], v43 offset1:1
	ds_read2_b32 v[76:77], v45 offset1:1
	s_waitcnt lgkmcnt(4)
	v_fma_f32 v31, -v24, v69, v31
	s_waitcnt lgkmcnt(3)
	v_fma_f32 v31, -v25, v71, v31
	;; [unrolled: 2-line block ×4, first 2 shown]
	s_waitcnt lgkmcnt(0)
	v_mul_f32_e32 v31, v77, v31
	ds_write_b32 v34, v31 offset:4096
	v_fma_f32 v34, -v7, v40, v39
	v_fma_f32 v34, -v8, v42, v34
	;; [unrolled: 1-line block ×8, first 2 shown]
	s_add_i32 s44, s36, 0xfffff5b0
	v_fma_f32 v34, -v16, v56, v34
	v_mov_b32_e32 v41, s44
	v_fma_f32 v34, -v19, v58, v34
	s_sub_i32 s44, s26, 22
	v_fma_f32 v34, -v20, v60, v34
	s_add_i32 s45, s44, s31
	v_fma_f32 v34, -v21, v62, v34
	s_lshl_b32 s45, s45, 2
	v_fma_f32 v34, -v22, v64, v34
	v_mov_b32_e32 v40, s45
	s_add_i32 s45, s44, s33
	v_fma_f32 v34, -v23, v66, v34
	s_lshl_b32 s45, s45, 2
	ds_read_b32 v41, v41
	v_fma_f32 v34, -v24, v68, v34
	v_mov_b32_e32 v42, s45
	s_add_i32 s45, s44, s30
	v_fma_f32 v34, -v25, v70, v34
	s_lshl_b32 s45, s45, 2
	v_fma_f32 v34, -v28, v72, v34
	v_mov_b32_e32 v44, s45
	s_add_i32 s45, s44, s34
	v_fma_f32 v34, -v29, v74, v34
	s_lshl_b32 s43, s43, 5
	s_lshl_b32 s45, s45, 2
	v_fma_f32 v34, -v31, v76, v34
	v_or_b32_e32 v39, s43, v0
	v_mov_b32_e32 v46, s45
	s_add_i32 s45, s44, s29
	s_waitcnt lgkmcnt(0)
	v_mul_f32_e32 v34, v41, v34
	v_lshlrev_b32_e32 v39, 2, v39
	s_lshl_b32 s45, s45, 2
	ds_read2_b32 v[40:41], v40 offset1:1
	ds_read2_b32 v[42:43], v42 offset1:1
	;; [unrolled: 1-line block ×4, first 2 shown]
	ds_write_b32 v39, v34 offset:4096
	v_mov_b32_e32 v39, s45
	s_add_i32 s45, s44, s35
	s_lshl_b32 s45, s45, 2
	s_waitcnt lgkmcnt(4)
	v_fma_f32 v37, -v7, v41, v37
	v_mov_b32_e32 v41, s45
	s_add_i32 s45, s44, s27
	s_lshl_b32 s45, s45, 2
	s_waitcnt lgkmcnt(3)
	v_fma_f32 v37, -v8, v43, v37
	v_mov_b32_e32 v43, s45
	s_add_i32 s45, s44, s37
	s_lshl_b32 s45, s45, 2
	ds_read2_b32 v[48:49], v39 offset1:1
	ds_read2_b32 v[50:51], v41 offset1:1
	;; [unrolled: 1-line block ×3, first 2 shown]
	v_mov_b32_e32 v39, s45
	s_add_i32 s45, s44, s28
	s_lshl_b32 s45, s45, 2
	ds_read2_b32 v[54:55], v39 offset1:1
	v_mov_b32_e32 v39, s45
	s_add_i32 s45, s44, s38
	s_lshl_b32 s45, s45, 2
	v_mov_b32_e32 v41, s45
	s_add_i32 s45, s44, s25
	s_lshl_b32 s45, s45, 2
	;; [unrolled: 3-line block ×3, first 2 shown]
	s_waitcnt lgkmcnt(6)
	v_fma_f32 v37, -v9, v45, v37
	v_mov_b32_e32 v45, s45
	s_add_i32 s45, s44, s24
	s_lshl_b32 s45, s45, 2
	ds_read2_b32 v[56:57], v39 offset1:1
	ds_read2_b32 v[58:59], v41 offset1:1
	;; [unrolled: 1-line block ×4, first 2 shown]
	v_mov_b32_e32 v39, s45
	s_add_i32 s45, s44, s40
	s_lshl_b32 s45, s45, 2
	v_mov_b32_e32 v41, s45
	s_add_i32 s45, s44, s21
	s_lshl_b32 s45, s45, 2
	v_mov_b32_e32 v43, s45
	s_add_i32 s45, s44, s41
	s_waitcnt lgkmcnt(9)
	v_fma_f32 v37, -v10, v47, v37
	s_lshl_b32 s45, s45, 2
	s_waitcnt lgkmcnt(7)
	v_fma_f32 v37, -v11, v49, v37
	ds_read2_b32 v[64:65], v39 offset1:1
	ds_read2_b32 v[66:67], v41 offset1:1
	;; [unrolled: 1-line block ×3, first 2 shown]
	v_mov_b32_e32 v39, s45
	s_add_i32 s45, s44, s23
	s_waitcnt lgkmcnt(9)
	v_fma_f32 v37, -v12, v51, v37
	s_lshl_b32 s45, s45, 2
	s_waitcnt lgkmcnt(8)
	v_fma_f32 v37, -v13, v53, v37
	ds_read2_b32 v[70:71], v39 offset1:1
	v_mov_b32_e32 v39, s45
	s_add_i32 s45, s44, s42
	s_waitcnt lgkmcnt(8)
	v_fma_f32 v37, -v14, v55, v37
	s_lshl_b32 s45, s45, 2
	s_waitcnt lgkmcnt(7)
	v_fma_f32 v37, -v16, v57, v37
	v_mov_b32_e32 v41, s45
	s_add_i32 s45, s44, s20
	s_waitcnt lgkmcnt(6)
	v_fma_f32 v37, -v19, v59, v37
	s_lshl_b32 s45, s45, 2
	s_waitcnt lgkmcnt(5)
	v_fma_f32 v37, -v20, v61, v37
	;; [unrolled: 7-line block ×4, first 2 shown]
	ds_read2_b32 v[72:73], v39 offset1:1
	ds_read2_b32 v[74:75], v41 offset1:1
	ds_read2_b32 v[76:77], v43 offset1:1
	ds_read2_b32 v[78:79], v45 offset1:1
	v_mov_b32_e32 v39, s45
	s_waitcnt lgkmcnt(4)
	v_fma_f32 v37, -v25, v71, v37
	s_add_i32 s45, s36, 0xfffff4a8
	ds_read2_b32 v[80:81], v39 offset1:1
	s_waitcnt lgkmcnt(4)
	v_fma_f32 v37, -v28, v73, v37
	v_mov_b32_e32 v41, s45
	s_sub_i32 s45, s26, 24
	s_waitcnt lgkmcnt(3)
	v_fma_f32 v37, -v29, v75, v37
	s_add_i32 s46, s45, s31
	s_waitcnt lgkmcnt(2)
	v_fma_f32 v37, -v31, v77, v37
	s_lshl_b32 s46, s46, 2
	s_waitcnt lgkmcnt(1)
	v_fma_f32 v37, -v34, v79, v37
	v_mov_b32_e32 v43, s46
	s_add_i32 s46, s45, s33
	s_lshl_b32 s46, s46, 2
	s_waitcnt lgkmcnt(0)
	v_mul_f32_e32 v37, v81, v37
	v_mov_b32_e32 v39, s46
	ds_read_b32 v41, v41
	ds_read2_b32 v[82:83], v43 offset1:1
	ds_read2_b32 v[84:85], v39 offset1:1
	ds_write_b32 v36, v37 offset:4096
	v_fma_f32 v36, -v7, v40, v38
	v_fma_f32 v36, -v8, v42, v36
	;; [unrolled: 1-line block ×20, first 2 shown]
	s_lshl_b32 s44, s44, 5
	v_fma_f32 v36, -v37, v80, v36
	v_or_b32_e32 v38, s44, v0
	s_add_i32 s46, s45, s30
	s_waitcnt lgkmcnt(3)
	v_mul_f32_e32 v36, v41, v36
	v_lshlrev_b32_e32 v38, 2, v38
	s_lshl_b32 s46, s46, 2
	ds_write_b32 v38, v36 offset:4096
	v_mov_b32_e32 v38, s46
	s_add_i32 s46, s45, s34
	s_lshl_b32 s46, s46, 2
	v_mov_b32_e32 v40, s46
	s_add_i32 s46, s45, s29
	s_lshl_b32 s46, s46, 2
	;; [unrolled: 3-line block ×3, first 2 shown]
	v_mov_b32_e32 v44, s46
	s_waitcnt lgkmcnt(3)
	v_fma_f32 v35, -v7, v83, v35
	ds_read2_b32 v[38:39], v38 offset1:1
	ds_read2_b32 v[40:41], v40 offset1:1
	;; [unrolled: 1-line block ×4, first 2 shown]
	s_add_i32 s46, s45, s27
	s_waitcnt lgkmcnt(6)
	v_fma_f32 v35, -v8, v85, v35
	s_lshl_b32 s46, s46, 2
	s_waitcnt lgkmcnt(3)
	v_fma_f32 v35, -v9, v39, v35
	v_mov_b32_e32 v39, s46
	s_add_i32 s46, s45, s37
	s_lshl_b32 s46, s46, 2
	s_waitcnt lgkmcnt(2)
	v_fma_f32 v35, -v10, v41, v35
	v_mov_b32_e32 v41, s46
	s_add_i32 s46, s45, s28
	;; [unrolled: 5-line block ×3, first 2 shown]
	s_lshl_b32 s46, s46, 2
	ds_read2_b32 v[46:47], v39 offset1:1
	ds_read2_b32 v[48:49], v41 offset1:1
	;; [unrolled: 1-line block ×3, first 2 shown]
	v_mov_b32_e32 v39, s46
	s_add_i32 s46, s45, s25
	s_lshl_b32 s46, s46, 2
	ds_read2_b32 v[52:53], v39 offset1:1
	v_mov_b32_e32 v39, s46
	s_add_i32 s46, s45, s39
	s_lshl_b32 s46, s46, 2
	v_mov_b32_e32 v41, s46
	s_add_i32 s46, s45, s24
	s_lshl_b32 s46, s46, 2
	;; [unrolled: 3-line block ×3, first 2 shown]
	s_waitcnt lgkmcnt(4)
	v_fma_f32 v35, -v12, v45, v35
	v_mov_b32_e32 v45, s46
	s_add_i32 s46, s45, s21
	s_lshl_b32 s46, s46, 2
	ds_read2_b32 v[54:55], v39 offset1:1
	ds_read2_b32 v[56:57], v41 offset1:1
	;; [unrolled: 1-line block ×4, first 2 shown]
	v_mov_b32_e32 v39, s46
	s_add_i32 s46, s45, s41
	s_lshl_b32 s46, s46, 2
	v_mov_b32_e32 v41, s46
	s_add_i32 s46, s45, s23
	s_lshl_b32 s46, s46, 2
	;; [unrolled: 3-line block ×3, first 2 shown]
	s_waitcnt lgkmcnt(7)
	v_fma_f32 v35, -v13, v47, v35
	ds_read2_b32 v[62:63], v39 offset1:1
	ds_read2_b32 v[64:65], v41 offset1:1
	;; [unrolled: 1-line block ×3, first 2 shown]
	v_mov_b32_e32 v39, s46
	s_add_i32 s46, s45, s20
	s_waitcnt lgkmcnt(9)
	v_fma_f32 v35, -v14, v49, v35
	s_lshl_b32 s46, s46, 2
	s_waitcnt lgkmcnt(8)
	v_fma_f32 v35, -v16, v51, v35
	ds_read2_b32 v[68:69], v39 offset1:1
	v_mov_b32_e32 v39, s46
	s_add_i32 s46, s45, s43
	s_waitcnt lgkmcnt(8)
	v_fma_f32 v35, -v19, v53, v35
	s_lshl_b32 s46, s46, 2
	s_waitcnt lgkmcnt(7)
	v_fma_f32 v35, -v20, v55, v35
	v_mov_b32_e32 v41, s46
	s_add_i32 s46, s45, s19
	s_waitcnt lgkmcnt(6)
	v_fma_f32 v35, -v21, v57, v35
	s_lshl_b32 s46, s46, 2
	s_waitcnt lgkmcnt(5)
	v_fma_f32 v35, -v22, v59, v35
	;; [unrolled: 7-line block ×4, first 2 shown]
	ds_read2_b32 v[70:71], v39 offset1:1
	ds_read2_b32 v[72:73], v41 offset1:1
	;; [unrolled: 1-line block ×4, first 2 shown]
	v_mov_b32_e32 v39, s46
	s_waitcnt lgkmcnt(4)
	v_fma_f32 v35, -v29, v69, v35
	s_add_i32 s46, s36, 0xfffff3a0
	ds_read2_b32 v[78:79], v39 offset1:1
	s_waitcnt lgkmcnt(4)
	v_fma_f32 v35, -v31, v71, v35
	v_mov_b32_e32 v41, s46
	s_sub_i32 s46, s26, 26
	s_waitcnt lgkmcnt(3)
	v_fma_f32 v35, -v34, v73, v35
	s_add_i32 s47, s46, s31
	s_waitcnt lgkmcnt(2)
	v_fma_f32 v35, -v37, v75, v35
	s_lshl_b32 s47, s47, 2
	s_waitcnt lgkmcnt(1)
	v_fma_f32 v35, -v36, v77, v35
	v_mov_b32_e32 v43, s47
	s_add_i32 s47, s46, s33
	s_lshl_b32 s47, s47, 2
	s_waitcnt lgkmcnt(0)
	v_mul_f32_e32 v35, v79, v35
	v_mov_b32_e32 v39, s47
	ds_read_b32 v41, v41
	ds_read2_b32 v[80:81], v43 offset1:1
	ds_read2_b32 v[86:87], v39 offset1:1
	ds_write_b32 v30, v35 offset:4096
	v_fma_f32 v30, -v7, v82, v32
	v_fma_f32 v30, -v8, v84, v30
	;; [unrolled: 1-line block ×22, first 2 shown]
	s_lshl_b32 s45, s45, 5
	v_fma_f32 v30, -v35, v78, v30
	v_or_b32_e32 v32, s45, v0
	s_add_i32 s47, s46, s30
	s_waitcnt lgkmcnt(3)
	v_mul_f32_e32 v30, v41, v30
	v_lshlrev_b32_e32 v32, 2, v32
	s_lshl_b32 s47, s47, 2
	ds_write_b32 v32, v30 offset:4096
	s_waitcnt lgkmcnt(3)
	v_fma_f32 v32, -v7, v81, v33
	v_mov_b32_e32 v33, s47
	s_add_i32 s47, s46, s34
	s_lshl_b32 s47, s47, 2
	v_mov_b32_e32 v40, s47
	s_add_i32 s47, s46, s29
	s_lshl_b32 s47, s47, 2
	;; [unrolled: 3-line block ×4, first 2 shown]
	ds_read2_b32 v[38:39], v33 offset1:1
	ds_read2_b32 v[40:41], v40 offset1:1
	;; [unrolled: 1-line block ×4, first 2 shown]
	v_mov_b32_e32 v33, s47
	s_add_i32 s47, s46, s37
	s_waitcnt lgkmcnt(6)
	v_fma_f32 v32, -v8, v87, v32
	s_lshl_b32 s47, s47, 2
	s_waitcnt lgkmcnt(3)
	v_fma_f32 v32, -v9, v39, v32
	v_mov_b32_e32 v39, s47
	s_add_i32 s47, s46, s28
	s_lshl_b32 s47, s47, 2
	s_waitcnt lgkmcnt(2)
	v_fma_f32 v32, -v10, v41, v32
	v_mov_b32_e32 v41, s47
	s_add_i32 s47, s46, s38
	s_lshl_b32 s47, s47, 2
	ds_read2_b32 v[46:47], v33 offset1:1
	ds_read2_b32 v[48:49], v39 offset1:1
	ds_read2_b32 v[50:51], v41 offset1:1
	v_mov_b32_e32 v33, s47
	s_add_i32 s47, s46, s25
	s_lshl_b32 s47, s47, 2
	ds_read2_b32 v[52:53], v33 offset1:1
	v_mov_b32_e32 v33, s47
	s_add_i32 s47, s46, s39
	s_lshl_b32 s47, s47, 2
	v_mov_b32_e32 v39, s47
	s_add_i32 s47, s46, s24
	s_lshl_b32 s47, s47, 2
	;; [unrolled: 3-line block ×3, first 2 shown]
	s_waitcnt lgkmcnt(5)
	v_fma_f32 v32, -v11, v43, v32
	v_mov_b32_e32 v43, s47
	s_add_i32 s47, s46, s21
	s_lshl_b32 s47, s47, 2
	ds_read2_b32 v[54:55], v33 offset1:1
	ds_read2_b32 v[56:57], v39 offset1:1
	;; [unrolled: 1-line block ×4, first 2 shown]
	v_mov_b32_e32 v33, s47
	s_add_i32 s47, s46, s41
	s_lshl_b32 s47, s47, 2
	v_mov_b32_e32 v39, s47
	s_add_i32 s47, s46, s23
	s_lshl_b32 s47, s47, 2
	;; [unrolled: 3-line block ×3, first 2 shown]
	s_waitcnt lgkmcnt(8)
	v_fma_f32 v32, -v12, v45, v32
	ds_read2_b32 v[62:63], v33 offset1:1
	ds_read2_b32 v[64:65], v39 offset1:1
	ds_read2_b32 v[66:67], v41 offset1:1
	v_mov_b32_e32 v33, s47
	s_add_i32 s47, s46, s20
	s_waitcnt lgkmcnt(10)
	v_fma_f32 v32, -v13, v47, v32
	s_lshl_b32 s47, s47, 2
	s_waitcnt lgkmcnt(9)
	v_fma_f32 v32, -v14, v49, v32
	ds_read2_b32 v[68:69], v33 offset1:1
	v_mov_b32_e32 v33, s47
	s_add_i32 s47, s46, s43
	s_waitcnt lgkmcnt(9)
	v_fma_f32 v32, -v16, v51, v32
	s_lshl_b32 s47, s47, 2
	s_waitcnt lgkmcnt(8)
	v_fma_f32 v32, -v19, v53, v32
	v_mov_b32_e32 v39, s47
	s_add_i32 s47, s46, s19
	s_waitcnt lgkmcnt(7)
	v_fma_f32 v32, -v20, v55, v32
	s_lshl_b32 s47, s47, 2
	s_waitcnt lgkmcnt(6)
	v_fma_f32 v32, -v21, v57, v32
	;; [unrolled: 7-line block ×4, first 2 shown]
	ds_read2_b32 v[70:71], v33 offset1:1
	ds_read2_b32 v[72:73], v39 offset1:1
	;; [unrolled: 1-line block ×4, first 2 shown]
	v_mov_b32_e32 v33, s47
	s_add_i32 s47, s46, s45
	s_waitcnt lgkmcnt(5)
	v_fma_f32 v32, -v28, v67, v32
	s_lshl_b32 s47, s47, 2
	s_waitcnt lgkmcnt(4)
	v_fma_f32 v32, -v29, v69, v32
	v_mov_b32_e32 v39, s47
	s_add_i32 s47, s46, s18
	s_waitcnt lgkmcnt(3)
	v_fma_f32 v32, -v31, v71, v32
	s_lshl_b32 s47, s47, 2
	s_waitcnt lgkmcnt(2)
	v_fma_f32 v32, -v34, v73, v32
	v_mov_b32_e32 v41, s47
	ds_read2_b32 v[78:79], v33 offset1:1
	ds_read2_b32 v[82:83], v39 offset1:1
	;; [unrolled: 1-line block ×3, first 2 shown]
	s_waitcnt lgkmcnt(4)
	v_fma_f32 v32, -v37, v75, v32
	s_waitcnt lgkmcnt(3)
	v_fma_f32 v32, -v36, v77, v32
	;; [unrolled: 2-line block ×4, first 2 shown]
	s_waitcnt lgkmcnt(0)
	v_mul_f32_e32 v32, v85, v32
	ds_write_b32 v26, v32 offset:4096
	v_fma_f32 v26, -v7, v80, v27
	v_fma_f32 v26, -v8, v86, v26
	;; [unrolled: 1-line block ×18, first 2 shown]
	s_add_i32 s47, s36, 0xfffff298
	v_fma_f32 v26, -v31, v70, v26
	v_mov_b32_e32 v33, s47
	v_fma_f32 v26, -v34, v72, v26
	ds_read_b32 v33, v33
	v_fma_f32 v26, -v37, v74, v26
	v_fma_f32 v26, -v36, v76, v26
	;; [unrolled: 1-line block ×4, first 2 shown]
	s_lshl_b32 s46, s46, 5
	s_sub_i32 s47, s26, 28
	v_fma_f32 v26, -v32, v84, v26
	v_or_b32_e32 v27, s46, v0
	s_add_i32 s48, s47, s31
	s_waitcnt lgkmcnt(0)
	v_mul_f32_e32 v26, v33, v26
	v_lshlrev_b32_e32 v27, 2, v27
	s_lshl_b32 s48, s48, 2
	ds_write_b32 v27, v26 offset:4096
	v_mov_b32_e32 v27, s48
	s_add_i32 s48, s47, s33
	s_lshl_b32 s48, s48, 2
	v_mov_b32_e32 v33, s48
	s_add_i32 s48, s47, s30
	s_lshl_b32 s48, s48, 2
	;; [unrolled: 3-line block ×3, first 2 shown]
	ds_read2_b32 v[38:39], v27 offset1:1
	ds_read2_b32 v[40:41], v33 offset1:1
	;; [unrolled: 1-line block ×3, first 2 shown]
	v_mov_b32_e32 v27, s48
	s_add_i32 s48, s47, s29
	s_lshl_b32 s48, s48, 2
	ds_read2_b32 v[44:45], v27 offset1:1
	v_mov_b32_e32 v27, s48
	s_add_i32 s48, s47, s35
	s_lshl_b32 s48, s48, 2
	v_mov_b32_e32 v33, s48
	s_add_i32 s48, s47, s27
	s_lshl_b32 s48, s48, 2
	s_waitcnt lgkmcnt(3)
	v_fma_f32 v5, -v7, v39, v5
	v_mov_b32_e32 v39, s48
	s_add_i32 s48, s47, s37
	s_lshl_b32 s48, s48, 2
	s_waitcnt lgkmcnt(2)
	v_fma_f32 v5, -v8, v41, v5
	v_mov_b32_e32 v41, s48
	s_add_i32 s48, s47, s28
	s_lshl_b32 s48, s48, 2
	ds_read2_b32 v[46:47], v27 offset1:1
	ds_read2_b32 v[48:49], v33 offset1:1
	ds_read2_b32 v[50:51], v39 offset1:1
	ds_read2_b32 v[52:53], v41 offset1:1
	v_mov_b32_e32 v27, s48
	s_add_i32 s48, s47, s38
	s_lshl_b32 s48, s48, 2
	v_mov_b32_e32 v33, s48
	s_add_i32 s48, s47, s25
	s_lshl_b32 s48, s48, 2
	;; [unrolled: 3-line block ×3, first 2 shown]
	ds_read2_b32 v[54:55], v27 offset1:1
	ds_read2_b32 v[56:57], v33 offset1:1
	;; [unrolled: 1-line block ×3, first 2 shown]
	v_mov_b32_e32 v27, s48
	s_add_i32 s48, s47, s24
	s_lshl_b32 s48, s48, 2
	ds_read2_b32 v[60:61], v27 offset1:1
	v_mov_b32_e32 v27, s48
	s_add_i32 s48, s47, s40
	s_lshl_b32 s48, s48, 2
	v_mov_b32_e32 v33, s48
	s_add_i32 s48, s47, s21
	s_lshl_b32 s48, s48, 2
	;; [unrolled: 3-line block ×4, first 2 shown]
	ds_read2_b32 v[62:63], v27 offset1:1
	ds_read2_b32 v[64:65], v33 offset1:1
	;; [unrolled: 1-line block ×4, first 2 shown]
	v_mov_b32_e32 v27, s48
	s_add_i32 s48, s47, s42
	s_waitcnt lgkmcnt(13)
	v_fma_f32 v5, -v9, v43, v5
	s_lshl_b32 s48, s48, 2
	s_waitcnt lgkmcnt(12)
	v_fma_f32 v5, -v10, v45, v5
	v_mov_b32_e32 v33, s48
	s_add_i32 s48, s47, s20
	s_waitcnt lgkmcnt(11)
	v_fma_f32 v5, -v11, v47, v5
	s_lshl_b32 s48, s48, 2
	s_waitcnt lgkmcnt(10)
	v_fma_f32 v5, -v12, v49, v5
	;; [unrolled: 7-line block ×3, first 2 shown]
	ds_read2_b32 v[70:71], v27 offset1:1
	ds_read2_b32 v[72:73], v33 offset1:1
	;; [unrolled: 1-line block ×3, first 2 shown]
	v_mov_b32_e32 v27, s48
	s_add_i32 s48, s47, s19
	s_waitcnt lgkmcnt(10)
	v_fma_f32 v5, -v16, v55, v5
	s_lshl_b32 s48, s48, 2
	s_waitcnt lgkmcnt(9)
	v_fma_f32 v5, -v19, v57, v5
	ds_read2_b32 v[76:77], v27 offset1:1
	v_mov_b32_e32 v27, s48
	s_add_i32 s48, s47, s44
	s_waitcnt lgkmcnt(9)
	v_fma_f32 v5, -v20, v59, v5
	s_lshl_b32 s48, s48, 2
	s_waitcnt lgkmcnt(8)
	v_fma_f32 v5, -v21, v61, v5
	v_mov_b32_e32 v33, s48
	s_add_i32 s48, s47, s15
	s_waitcnt lgkmcnt(7)
	v_fma_f32 v5, -v22, v63, v5
	s_lshl_b32 s48, s48, 2
	s_waitcnt lgkmcnt(6)
	v_fma_f32 v5, -v23, v65, v5
	;; [unrolled: 7-line block ×4, first 2 shown]
	ds_read2_b32 v[78:79], v27 offset1:1
	ds_read2_b32 v[80:81], v33 offset1:1
	;; [unrolled: 1-line block ×4, first 2 shown]
	v_mov_b32_e32 v27, s48
	s_add_i32 s48, s47, s46
	s_waitcnt lgkmcnt(5)
	v_fma_f32 v5, -v31, v75, v5
	s_lshl_b32 s48, s48, 2
	s_waitcnt lgkmcnt(4)
	v_fma_f32 v5, -v34, v77, v5
	v_mov_b32_e32 v33, s48
	s_add_i32 s48, s47, s14
	s_waitcnt lgkmcnt(3)
	v_fma_f32 v5, -v37, v79, v5
	s_lshl_b32 s48, s48, 2
	s_waitcnt lgkmcnt(2)
	v_fma_f32 v5, -v36, v81, v5
	v_mov_b32_e32 v39, s48
	ds_read2_b32 v[86:87], v27 offset1:1
	ds_read2_b32 v[88:89], v33 offset1:1
	;; [unrolled: 1-line block ×3, first 2 shown]
	s_waitcnt lgkmcnt(4)
	v_fma_f32 v5, -v35, v83, v5
	s_waitcnt lgkmcnt(3)
	v_fma_f32 v5, -v30, v85, v5
	s_add_i32 s48, s36, 0xfffff190
	s_waitcnt lgkmcnt(2)
	v_fma_f32 v5, -v32, v87, v5
	v_mov_b32_e32 v27, s48
	s_waitcnt lgkmcnt(1)
	v_fma_f32 v5, -v26, v89, v5
	ds_read_b32 v33, v27
	s_waitcnt lgkmcnt(1)
	v_mul_f32_e32 v27, v91, v5
	ds_write_b32 v3, v27 offset:4096
	v_fma_f32 v3, -v7, v38, v4
	v_fma_f32 v3, -v8, v40, v3
	;; [unrolled: 1-line block ×19, first 2 shown]
	s_sub_i32 s49, s26, 30
	v_fma_f32 v3, -v34, v76, v3
	s_add_i32 s48, s49, s31
	v_fma_f32 v3, -v37, v78, v3
	s_lshl_b32 s48, s48, 2
	v_fma_f32 v3, -v36, v80, v3
	v_mov_b32_e32 v4, s48
	s_add_i32 s48, s49, s33
	v_fma_f32 v3, -v35, v82, v3
	s_lshl_b32 s48, s48, 2
	v_fma_f32 v3, -v30, v84, v3
	v_mov_b32_e32 v5, s48
	;; [unrolled: 5-line block ×3, first 2 shown]
	s_add_i32 s48, s49, s34
	v_fma_f32 v3, -v27, v90, v3
	s_lshl_b32 s47, s47, 5
	s_lshl_b32 s48, s48, 2
	s_waitcnt lgkmcnt(1)
	v_mul_f32_e32 v33, v33, v3
	v_or_b32_e32 v3, s47, v0
	v_mov_b32_e32 v44, s48
	s_add_i32 s48, s49, s29
	v_lshlrev_b32_e32 v3, 2, v3
	s_lshl_b32 s48, s48, 2
	ds_read2_b32 v[38:39], v4 offset1:1
	ds_read2_b32 v[40:41], v5 offset1:1
	;; [unrolled: 1-line block ×4, first 2 shown]
	ds_write_b32 v3, v33 offset:4096
	v_mov_b32_e32 v3, s48
	s_add_i32 s48, s49, s35
	s_lshl_b32 s48, s48, 2
	v_mov_b32_e32 v4, s48
	s_add_i32 s48, s49, s27
	s_lshl_b32 s48, s48, 2
	;; [unrolled: 3-line block ×3, first 2 shown]
	ds_read2_b32 v[46:47], v3 offset1:1
	ds_read2_b32 v[48:49], v4 offset1:1
	;; [unrolled: 1-line block ×3, first 2 shown]
	v_mov_b32_e32 v3, s48
	s_add_i32 s48, s49, s28
	s_lshl_b32 s48, s48, 2
	ds_read2_b32 v[52:53], v3 offset1:1
	v_mov_b32_e32 v3, s48
	s_add_i32 s48, s49, s38
	s_lshl_b32 s48, s48, 2
	v_mov_b32_e32 v4, s48
	s_add_i32 s48, s49, s25
	s_lshl_b32 s48, s48, 2
	;; [unrolled: 3-line block ×3, first 2 shown]
	s_waitcnt lgkmcnt(8)
	v_fma_f32 v2, -v7, v39, v2
	v_mov_b32_e32 v39, s48
	s_add_i32 s48, s49, s24
	s_lshl_b32 s48, s48, 2
	ds_read2_b32 v[54:55], v3 offset1:1
	ds_read2_b32 v[56:57], v4 offset1:1
	;; [unrolled: 1-line block ×4, first 2 shown]
	v_mov_b32_e32 v3, s48
	s_add_i32 s48, s49, s40
	s_lshl_b32 s48, s48, 2
	v_mov_b32_e32 v4, s48
	s_add_i32 s48, s49, s21
	s_lshl_b32 s48, s48, 2
	;; [unrolled: 3-line block ×3, first 2 shown]
	ds_read2_b32 v[62:63], v3 offset1:1
	ds_read2_b32 v[64:65], v4 offset1:1
	;; [unrolled: 1-line block ×3, first 2 shown]
	v_mov_b32_e32 v3, s48
	s_add_i32 s48, s49, s23
	s_lshl_b32 s48, s48, 2
	ds_read2_b32 v[68:69], v3 offset1:1
	v_mov_b32_e32 v3, s48
	s_add_i32 s48, s49, s42
	s_waitcnt lgkmcnt(14)
	v_fma_f32 v2, -v8, v41, v2
	s_lshl_b32 s48, s48, 2
	v_fma_f32 v2, -v9, v43, v2
	v_mov_b32_e32 v4, s48
	s_add_i32 s48, s49, s20
	s_waitcnt lgkmcnt(13)
	v_fma_f32 v2, -v10, v45, v2
	s_lshl_b32 s48, s48, 2
	s_waitcnt lgkmcnt(11)
	v_fma_f32 v2, -v11, v47, v2
	v_mov_b32_e32 v5, s48
	s_add_i32 s48, s49, s43
	s_waitcnt lgkmcnt(10)
	v_fma_f32 v2, -v12, v49, v2
	s_lshl_b32 s48, s48, 2
	s_waitcnt lgkmcnt(9)
	v_fma_f32 v2, -v13, v51, v2
	v_mov_b32_e32 v39, s48
	s_add_i32 s48, s49, s19
	s_waitcnt lgkmcnt(8)
	v_fma_f32 v2, -v14, v53, v2
	s_lshl_b32 s48, s48, 2
	s_waitcnt lgkmcnt(7)
	v_fma_f32 v2, -v16, v55, v2
	ds_read2_b32 v[70:71], v3 offset1:1
	ds_read2_b32 v[72:73], v4 offset1:1
	;; [unrolled: 1-line block ×4, first 2 shown]
	v_mov_b32_e32 v3, s48
	s_add_i32 s48, s49, s44
	s_waitcnt lgkmcnt(10)
	v_fma_f32 v2, -v19, v57, v2
	s_lshl_b32 s48, s48, 2
	s_waitcnt lgkmcnt(9)
	v_fma_f32 v2, -v20, v59, v2
	v_mov_b32_e32 v4, s48
	s_add_i32 s48, s49, s15
	s_waitcnt lgkmcnt(8)
	v_fma_f32 v2, -v21, v61, v2
	s_lshl_b32 s48, s48, 2
	s_waitcnt lgkmcnt(7)
	v_fma_f32 v2, -v22, v63, v2
	;; [unrolled: 7-line block ×3, first 2 shown]
	ds_read2_b32 v[78:79], v3 offset1:1
	ds_read2_b32 v[80:81], v4 offset1:1
	;; [unrolled: 1-line block ×3, first 2 shown]
	v_mov_b32_e32 v3, s48
	s_add_i32 s48, s49, s18
	s_waitcnt lgkmcnt(7)
	v_fma_f32 v2, -v25, v69, v2
	s_lshl_b32 s48, s48, 2
	s_waitcnt lgkmcnt(6)
	v_fma_f32 v2, -v28, v71, v2
	ds_read2_b32 v[84:85], v3 offset1:1
	v_mov_b32_e32 v3, s48
	s_add_i32 s48, s49, s46
	s_waitcnt lgkmcnt(6)
	v_fma_f32 v2, -v29, v73, v2
	s_lshl_b32 s48, s48, 2
	s_waitcnt lgkmcnt(5)
	v_fma_f32 v2, -v31, v75, v2
	v_mov_b32_e32 v4, s48
	s_add_i32 s48, s49, s14
	s_waitcnt lgkmcnt(4)
	v_fma_f32 v2, -v34, v77, v2
	s_lshl_b32 s48, s48, 2
	s_waitcnt lgkmcnt(3)
	v_fma_f32 v2, -v37, v79, v2
	;; [unrolled: 7-line block ×3, first 2 shown]
	v_mov_b32_e32 v39, s48
	ds_read2_b32 v[86:87], v3 offset1:1
	ds_read2_b32 v[88:89], v4 offset1:1
	;; [unrolled: 1-line block ×4, first 2 shown]
	s_waitcnt lgkmcnt(4)
	v_fma_f32 v2, -v30, v85, v2
	s_waitcnt lgkmcnt(3)
	v_fma_f32 v2, -v32, v87, v2
	s_waitcnt lgkmcnt(2)
	v_fma_f32 v2, -v26, v89, v2
	s_add_i32 s48, s49, s9
	s_waitcnt lgkmcnt(1)
	v_fma_f32 v2, -v27, v91, v2
	s_lshl_b32 s48, s48, 2
	s_waitcnt lgkmcnt(0)
	v_fma_f32 v39, -v33, v93, v2
	v_mov_b32_e32 v2, s48
	s_add_i32 s48, s36, 0xfffff088
	v_mov_b32_e32 v3, s48
	s_sub_i32 s48, s26, 32
	ds_read2_b32 v[94:95], v2 offset1:1
	s_add_i32 s31, s48, s31
	s_lshl_b32 s31, s31, 2
	v_mov_b32_e32 v4, s31
	s_add_i32 s31, s48, s33
	s_lshl_b32 s31, s31, 2
	v_mov_b32_e32 v5, s31
	s_waitcnt lgkmcnt(0)
	v_mul_f32_e32 v96, v95, v39
	ds_read_b32 v41, v3
	ds_read2_b32 v[2:3], v4 offset1:1
	ds_read2_b32 v[4:5], v5 offset1:1
	ds_write_b32 v17, v96 offset:4096
	v_fma_f32 v17, -v7, v38, v18
	v_fma_f32 v17, -v8, v40, v17
	v_fma_f32 v17, -v9, v42, v17
	v_fma_f32 v17, -v10, v44, v17
	v_fma_f32 v17, -v11, v46, v17
	v_fma_f32 v17, -v12, v48, v17
	v_fma_f32 v17, -v13, v50, v17
	v_fma_f32 v17, -v14, v52, v17
	v_fma_f32 v17, -v16, v54, v17
	v_fma_f32 v17, -v19, v56, v17
	v_fma_f32 v17, -v20, v58, v17
	v_fma_f32 v17, -v21, v60, v17
	v_fma_f32 v17, -v22, v62, v17
	v_fma_f32 v17, -v23, v64, v17
	v_fma_f32 v17, -v24, v66, v17
	v_fma_f32 v17, -v25, v68, v17
	v_fma_f32 v17, -v28, v70, v17
	v_fma_f32 v17, -v29, v72, v17
	v_fma_f32 v17, -v31, v74, v17
	v_fma_f32 v17, -v34, v76, v17
	v_fma_f32 v17, -v37, v78, v17
	v_fma_f32 v17, -v36, v80, v17
	v_fma_f32 v17, -v35, v82, v17
	v_fma_f32 v17, -v30, v84, v17
	v_fma_f32 v17, -v32, v86, v17
	v_fma_f32 v17, -v26, v88, v17
	v_fma_f32 v17, -v27, v90, v17
	v_fma_f32 v17, -v33, v92, v17
	s_lshl_b32 s31, s49, 5
	v_fma_f32 v17, -v96, v94, v17
	v_or_b32_e32 v18, s31, v0
	s_add_i32 s30, s48, s30
	s_add_i32 s29, s48, s29
	s_waitcnt lgkmcnt(3)
	v_mul_f32_e32 v17, v41, v17
	v_lshlrev_b32_e32 v18, 2, v18
	s_waitcnt lgkmcnt(2)
	v_fma_f32 v3, -v7, v3, v15
	s_lshl_b32 s30, s30, 2
	s_lshl_b32 s29, s29, 2
	ds_write_b32 v18, v17 offset:4096
	s_waitcnt lgkmcnt(2)
	v_fma_f32 v3, -v8, v5, v3
	v_mov_b32_e32 v5, s30
	s_add_i32 s30, s48, s34
	v_mov_b32_e32 v18, s29
	s_add_i32 s29, s48, s35
	s_lshl_b32 s30, s30, 2
	s_lshl_b32 s29, s29, 2
	s_add_i32 s27, s48, s27
	v_mov_b32_e32 v15, s30
	ds_read2_b32 v[38:39], v5 offset1:1
	ds_read2_b32 v[40:41], v15 offset1:1
	;; [unrolled: 1-line block ×3, first 2 shown]
	v_mov_b32_e32 v5, s29
	s_lshl_b32 s27, s27, 2
	ds_read2_b32 v[44:45], v5 offset1:1
	v_mov_b32_e32 v5, s27
	s_add_i32 s27, s48, s37
	s_lshl_b32 s27, s27, 2
	v_mov_b32_e32 v15, s27
	s_add_i32 s27, s48, s28
	s_lshl_b32 s27, s27, 2
	v_mov_b32_e32 v18, s27
	s_add_i32 s27, s48, s38
	s_add_i32 s25, s48, s25
	;; [unrolled: 1-line block ×3, first 2 shown]
	s_lshl_b32 s27, s27, 2
	s_lshl_b32 s25, s25, 2
	;; [unrolled: 1-line block ×3, first 2 shown]
	s_waitcnt lgkmcnt(3)
	v_fma_f32 v3, -v9, v39, v3
	v_mov_b32_e32 v39, s27
	ds_read2_b32 v[46:47], v5 offset1:1
	ds_read2_b32 v[48:49], v15 offset1:1
	;; [unrolled: 1-line block ×4, first 2 shown]
	v_mov_b32_e32 v5, s25
	s_add_i32 s25, s48, s39
	v_mov_b32_e32 v18, s24
	s_add_i32 s24, s48, s40
	s_waitcnt lgkmcnt(6)
	v_fma_f32 v3, -v10, v41, v3
	s_lshl_b32 s25, s25, 2
	s_lshl_b32 s24, s24, 2
	s_add_i32 s21, s48, s21
	s_waitcnt lgkmcnt(5)
	v_fma_f32 v3, -v11, v43, v3
	v_mov_b32_e32 v15, s25
	ds_read2_b32 v[54:55], v5 offset1:1
	ds_read2_b32 v[56:57], v15 offset1:1
	;; [unrolled: 1-line block ×3, first 2 shown]
	v_mov_b32_e32 v5, s24
	s_lshl_b32 s21, s21, 2
	s_waitcnt lgkmcnt(7)
	v_fma_f32 v3, -v12, v45, v3
	ds_read2_b32 v[60:61], v5 offset1:1
	v_mov_b32_e32 v5, s21
	s_add_i32 s21, s48, s41
	s_waitcnt lgkmcnt(7)
	v_fma_f32 v3, -v13, v47, v3
	s_lshl_b32 s21, s21, 2
	s_waitcnt lgkmcnt(6)
	v_fma_f32 v3, -v14, v49, v3
	v_mov_b32_e32 v15, s21
	s_add_i32 s21, s48, s23
	s_waitcnt lgkmcnt(5)
	v_fma_f32 v3, -v16, v51, v3
	s_lshl_b32 s21, s21, 2
	s_waitcnt lgkmcnt(4)
	v_fma_f32 v3, -v19, v53, v3
	v_mov_b32_e32 v18, s21
	s_add_i32 s21, s48, s42
	s_add_i32 s20, s48, s20
	;; [unrolled: 1-line block ×3, first 2 shown]
	s_waitcnt lgkmcnt(3)
	v_fma_f32 v3, -v20, v55, v3
	s_lshl_b32 s21, s21, 2
	s_lshl_b32 s20, s20, 2
	;; [unrolled: 1-line block ×3, first 2 shown]
	s_waitcnt lgkmcnt(2)
	v_fma_f32 v3, -v21, v57, v3
	v_mov_b32_e32 v39, s21
	ds_read2_b32 v[62:63], v5 offset1:1
	ds_read2_b32 v[64:65], v15 offset1:1
	;; [unrolled: 1-line block ×4, first 2 shown]
	v_mov_b32_e32 v5, s20
	s_add_i32 s20, s48, s43
	v_mov_b32_e32 v18, s19
	s_add_i32 s19, s48, s44
	s_waitcnt lgkmcnt(5)
	v_fma_f32 v3, -v22, v59, v3
	s_lshl_b32 s20, s20, 2
	s_lshl_b32 s19, s19, 2
	s_add_i32 s15, s48, s15
	s_waitcnt lgkmcnt(4)
	v_fma_f32 v3, -v23, v61, v3
	v_mov_b32_e32 v15, s20
	ds_read2_b32 v[70:71], v5 offset1:1
	ds_read2_b32 v[72:73], v15 offset1:1
	;; [unrolled: 1-line block ×3, first 2 shown]
	v_mov_b32_e32 v5, s19
	s_lshl_b32 s15, s15, 2
	s_waitcnt lgkmcnt(6)
	v_fma_f32 v3, -v24, v63, v3
	ds_read2_b32 v[76:77], v5 offset1:1
	v_mov_b32_e32 v5, s15
	s_add_i32 s15, s48, s45
	s_waitcnt lgkmcnt(6)
	v_fma_f32 v3, -v25, v65, v3
	s_lshl_b32 s15, s15, 2
	s_waitcnt lgkmcnt(5)
	v_fma_f32 v3, -v28, v67, v3
	v_mov_b32_e32 v15, s15
	s_add_i32 s15, s48, s18
	s_waitcnt lgkmcnt(4)
	v_fma_f32 v3, -v29, v69, v3
	s_lshl_b32 s15, s15, 2
	s_waitcnt lgkmcnt(3)
	v_fma_f32 v3, -v31, v71, v3
	v_mov_b32_e32 v18, s15
	s_add_i32 s15, s48, s46
	s_waitcnt lgkmcnt(2)
	v_fma_f32 v3, -v34, v73, v3
	s_lshl_b32 s15, s15, 2
	s_add_i32 s14, s48, s14
	s_add_i32 s9, s48, s9
	s_waitcnt lgkmcnt(1)
	v_fma_f32 v3, -v37, v75, v3
	v_mov_b32_e32 v39, s15
	ds_read2_b32 v[78:79], v5 offset1:1
	ds_read2_b32 v[80:81], v15 offset1:1
	;; [unrolled: 1-line block ×4, first 2 shown]
	s_lshl_b32 s14, s14, 2
	s_lshl_b32 s9, s9, 2
	s_waitcnt lgkmcnt(4)
	v_fma_f32 v3, -v36, v77, v3
	v_mov_b32_e32 v5, s14
	s_add_i32 s14, s48, s47
	v_mov_b32_e32 v18, s9
	s_add_i32 s9, s48, s31
	s_waitcnt lgkmcnt(3)
	v_fma_f32 v3, -v35, v79, v3
	s_lshl_b32 s14, s14, 2
	s_lshl_b32 s9, s9, 2
	s_add_i32 s8, s48, s8
	s_waitcnt lgkmcnt(2)
	v_fma_f32 v3, -v30, v81, v3
	v_mov_b32_e32 v15, s14
	ds_read2_b32 v[86:87], v5 offset1:1
	ds_read2_b32 v[88:89], v15 offset1:1
	;; [unrolled: 1-line block ×3, first 2 shown]
	v_mov_b32_e32 v5, s9
	s_lshl_b32 s8, s8, 2
	s_waitcnt lgkmcnt(4)
	v_fma_f32 v3, -v32, v83, v3
	ds_read2_b32 v[92:93], v5 offset1:1
	v_mov_b32_e32 v5, s8
	s_waitcnt lgkmcnt(4)
	v_fma_f32 v3, -v26, v85, v3
	ds_read2_b32 v[94:95], v5 offset1:1
	s_waitcnt lgkmcnt(4)
	v_fma_f32 v3, -v27, v87, v3
	s_waitcnt lgkmcnt(3)
	v_fma_f32 v3, -v33, v89, v3
	;; [unrolled: 2-line block ×4, first 2 shown]
	s_waitcnt lgkmcnt(0)
	v_mul_f32_e32 v3, v95, v3
	ds_write_b32 v1, v3 offset:4096
	v_fma_f32 v1, -v7, v2, v6
	v_fma_f32 v1, -v8, v4, v1
	v_fma_f32 v1, -v9, v38, v1
	v_fma_f32 v1, -v10, v40, v1
	v_fma_f32 v1, -v11, v42, v1
	v_fma_f32 v1, -v12, v44, v1
	v_fma_f32 v1, -v13, v46, v1
	v_fma_f32 v1, -v14, v48, v1
	v_fma_f32 v1, -v16, v50, v1
	v_fma_f32 v1, -v19, v52, v1
	v_fma_f32 v1, -v20, v54, v1
	v_fma_f32 v1, -v21, v56, v1
	v_fma_f32 v1, -v22, v58, v1
	v_fma_f32 v1, -v23, v60, v1
	v_fma_f32 v1, -v24, v62, v1
	v_fma_f32 v1, -v25, v64, v1
	v_fma_f32 v1, -v28, v66, v1
	v_fma_f32 v1, -v29, v68, v1
	v_fma_f32 v1, -v31, v70, v1
	v_fma_f32 v1, -v34, v72, v1
	v_fma_f32 v1, -v37, v74, v1
	v_fma_f32 v1, -v36, v76, v1
	v_fma_f32 v1, -v35, v78, v1
	v_fma_f32 v1, -v30, v80, v1
	s_add_i32 s8, s36, 0xffffef80
	v_fma_f32 v1, -v32, v82, v1
	v_mov_b32_e32 v5, s8
	v_fma_f32 v1, -v26, v84, v1
	ds_read_b32 v5, v5
	v_fma_f32 v1, -v27, v86, v1
	v_fma_f32 v1, -v33, v88, v1
	;; [unrolled: 1-line block ×5, first 2 shown]
	v_lshlrev_b32_e32 v2, 2, v0
	s_waitcnt lgkmcnt(0)
	v_mul_f32_e32 v1, v5, v1
	v_lshl_or_b32 v2, s48, 7, v2
	s_sub_i32 s8, s26, 33
	ds_write_b32 v2, v1 offset:4096
.LBB36_51:
	s_cmp_gt_i32 s8, -1
	s_cbranch_scc0 .LBB36_70
; %bb.52:
	s_cmp_lt_u32 s8, 27
	s_cbranch_scc1 .LBB36_57
; %bb.53:
	s_lshl_b32 s9, s8, 5
	v_or_b32_e32 v1, s9, v0
	v_lshlrev_b32_e32 v1, 2, v1
	v_add_u32_e32 v2, 0xe00, v1
	ds_read2_b32 v[28:29], v2 offset0:96 offset1:128
	v_add_u32_e32 v2, 0xc00, v1
	ds_read2_b32 v[26:27], v2 offset0:160 offset1:192
	ds_read2_b32 v[24:25], v2 offset0:96 offset1:128
	ds_read2_b32 v[22:23], v2 offset0:32 offset1:64
	v_add_u32_e32 v2, 0xa00, v1
	ds_read2_b32 v[20:21], v2 offset0:96 offset1:128
	v_add_u32_e32 v2, 0x800, v1
	ds_read2_b32 v[18:19], v2 offset0:160 offset1:192
	ds_read2_b32 v[16:17], v2 offset0:96 offset1:128
	ds_read2_b32 v[14:15], v2 offset0:32 offset1:64
	;; [unrolled: 6-line block ×3, first 2 shown]
	v_add_u32_e32 v2, 0x200, v1
	ds_read2_b32 v[4:5], v2 offset0:96 offset1:128
	ds_read2_b32 v[2:3], v1 offset0:160 offset1:192
	s_cmp_le_i32 s6, s8
	s_cbranch_scc1 .LBB36_56
; %bb.54:
	s_lshl_b32 s15, s26, 7
	s_lshl_b32 s14, s8, 2
	s_add_i32 s14, s15, s14
	v_lshl_or_b32 v30, v0, 2, s15
	s_addk_i32 s14, 0xff14
	v_add_u32_e32 v30, 0xf80, v30
	s_mov_b32 s15, s6
.LBB36_55:                              ; =>This Inner Loop Header: Depth=1
	v_mov_b32_e32 v31, s14
	ds_read_b32 v32, v30
	ds_read2_b32 v[34:35], v31 offset0:26 offset1:27
	ds_read2_b32 v[36:37], v31 offset0:24 offset1:25
	;; [unrolled: 1-line block ×13, first 2 shown]
	ds_read2_b32 v[60:61], v31 offset1:1
	s_add_i32 s15, s15, -1
	s_addk_i32 s14, 0xff80
	v_add_u32_e32 v30, 0xffffff80, v30
	s_cmp_gt_i32 s15, s8
	s_waitcnt lgkmcnt(13)
	v_pk_fma_f32 v[28:29], v[32:33], v[34:35], v[28:29] op_sel_hi:[0,1,1] neg_lo:[1,0,0] neg_hi:[1,0,0]
	s_waitcnt lgkmcnt(12)
	v_pk_fma_f32 v[26:27], v[32:33], v[36:37], v[26:27] op_sel_hi:[0,1,1] neg_lo:[1,0,0] neg_hi:[1,0,0]
	;; [unrolled: 2-line block ×14, first 2 shown]
	s_cbranch_scc1 .LBB36_55
.LBB36_56:
	s_add_i32 s14, s8, -1
	s_add_i32 s15, s14, s9
	s_lshl_b32 s15, s15, 2
	v_add_u32_e32 v30, 0x1000, v1
	v_mov_b32_e32 v1, s15
	s_lshl_b32 s15, s14, 5
	s_mul_i32 s14, s8, 0x84
	s_add_i32 s18, s14, 0xffffff7c
	s_add_i32 s19, s8, -3
	v_mov_b32_e32 v31, s18
	s_add_i32 s18, s19, s9
	ds_read2_b32 v[32:33], v1 offset1:1
	s_lshl_b32 s18, s18, 2
	v_mov_b32_e32 v34, s18
	s_add_i32 s18, s19, s15
	s_lshl_b32 s18, s18, 2
	v_mov_b32_e32 v1, s18
	ds_read_b32 v31, v31
	ds_read2_b32 v[34:35], v34 offset1:1
	ds_read2_b32 v[36:37], v1 offset1:1
	s_waitcnt lgkmcnt(3)
	v_mul_f32_e32 v1, v33, v29
	s_sub_i32 s18, s9, 64
	v_fma_f32 v28, -v1, v32, v28
	v_or_b32_e32 v29, s15, v0
	s_add_i32 s20, s19, s18
	s_waitcnt lgkmcnt(2)
	v_mul_f32_e32 v28, v31, v28
	v_lshlrev_b32_e32 v29, 2, v29
	s_lshl_b32 s20, s20, 2
	ds_write_b32 v30, v1
	ds_write_b32 v29, v28 offset:4096
	v_mov_b32_e32 v29, s20
	s_add_i32 s20, s14, 0xfffffe74
	s_add_i32 s21, s8, -5
	v_mov_b32_e32 v32, s20
	s_add_i32 s20, s21, s9
	s_lshl_b32 s20, s20, 2
	ds_read2_b32 v[30:31], v29 offset1:1
	v_mov_b32_e32 v33, s20
	s_add_i32 s20, s21, s15
	s_lshl_b32 s20, s20, 2
	s_waitcnt lgkmcnt(4)
	v_fma_f32 v27, -v1, v35, v27
	v_mov_b32_e32 v29, s20
	s_waitcnt lgkmcnt(3)
	v_fma_f32 v27, -v28, v37, v27
	ds_read_b32 v35, v32
	ds_read2_b32 v[32:33], v33 offset1:1
	ds_read2_b32 v[38:39], v29 offset1:1
	v_or_b32_e32 v29, s18, v0
	v_fma_f32 v26, -v1, v34, v26
	s_waitcnt lgkmcnt(3)
	v_mul_f32_e32 v27, v31, v27
	v_lshlrev_b32_e32 v29, 2, v29
	v_fma_f32 v26, -v28, v36, v26
	s_lshl_b32 s19, s19, 5
	ds_write_b32 v29, v27 offset:4096
	v_fma_f32 v26, -v27, v30, v26
	v_or_b32_e32 v29, s19, v0
	s_add_i32 s20, s21, s18
	s_waitcnt lgkmcnt(3)
	v_mul_f32_e32 v26, v35, v26
	v_lshlrev_b32_e32 v29, 2, v29
	s_lshl_b32 s20, s20, 2
	ds_write_b32 v29, v26 offset:4096
	v_mov_b32_e32 v29, s20
	s_add_i32 s20, s21, s19
	s_lshl_b32 s20, s20, 2
	s_waitcnt lgkmcnt(3)
	v_fma_f32 v25, -v1, v33, v25
	v_mov_b32_e32 v33, s20
	s_add_i32 s20, s9, 0xffffff80
	s_add_i32 s23, s21, s20
	s_lshl_b32 s23, s23, 2
	v_mov_b32_e32 v36, s23
	s_add_i32 s23, s14, 0xfffffd6c
	ds_read2_b32 v[30:31], v29 offset1:1
	ds_read2_b32 v[34:35], v33 offset1:1
	;; [unrolled: 1-line block ×3, first 2 shown]
	v_mov_b32_e32 v29, s23
	s_waitcnt lgkmcnt(5)
	v_fma_f32 v25, -v28, v39, v25
	ds_read_b32 v29, v29
	v_fma_f32 v24, -v1, v32, v24
	s_waitcnt lgkmcnt(3)
	v_fma_f32 v25, -v27, v31, v25
	v_fma_f32 v24, -v28, v38, v24
	s_waitcnt lgkmcnt(2)
	v_fma_f32 v25, -v26, v35, v25
	v_fma_f32 v24, -v27, v30, v24
	s_waitcnt lgkmcnt(1)
	v_mul_f32_e32 v25, v37, v25
	v_fma_f32 v24, -v26, v34, v24
	v_fma_f32 v24, -v25, v36, v24
	s_lshl_b32 s21, s21, 5
	s_add_i32 s24, s8, -7
	s_waitcnt lgkmcnt(0)
	v_mul_f32_e32 v24, v29, v24
	v_or_b32_e32 v29, s21, v0
	s_add_i32 s23, s24, s9
	v_lshlrev_b32_e32 v29, 2, v29
	s_lshl_b32 s23, s23, 2
	ds_write_b32 v29, v24 offset:4096
	v_mov_b32_e32 v29, s23
	s_add_i32 s23, s24, s15
	s_lshl_b32 s23, s23, 2
	v_mov_b32_e32 v32, s23
	s_add_i32 s23, s24, s18
	v_or_b32_e32 v31, s20, v0
	s_lshl_b32 s23, s23, 2
	v_lshlrev_b32_e32 v31, 2, v31
	v_mov_b32_e32 v34, s23
	s_add_i32 s23, s24, s19
	ds_write_b32 v31, v25 offset:4096
	s_lshl_b32 s23, s23, 2
	ds_read2_b32 v[30:31], v29 offset1:1
	ds_read2_b32 v[32:33], v32 offset1:1
	;; [unrolled: 1-line block ×3, first 2 shown]
	v_mov_b32_e32 v29, s23
	s_add_i32 s23, s24, s20
	s_lshl_b32 s23, s23, 2
	ds_read2_b32 v[36:37], v29 offset1:1
	v_mov_b32_e32 v29, s23
	s_add_i32 s23, s24, s21
	s_lshl_b32 s23, s23, 2
	s_waitcnt lgkmcnt(3)
	v_fma_f32 v23, -v1, v31, v23
	v_mov_b32_e32 v31, s23
	s_add_i32 s23, s14, 0xfffffce8
	ds_read2_b32 v[38:39], v29 offset1:1
	ds_read2_b32 v[40:41], v31 offset1:1
	v_mov_b32_e32 v29, s23
	s_waitcnt lgkmcnt(4)
	v_fma_f32 v23, -v28, v33, v23
	ds_read_b32 v29, v29
	s_waitcnt lgkmcnt(4)
	v_fma_f32 v23, -v27, v35, v23
	s_waitcnt lgkmcnt(3)
	v_fma_f32 v23, -v26, v37, v23
	s_waitcnt lgkmcnt(2)
	v_fma_f32 v23, -v25, v39, v23
	s_waitcnt lgkmcnt(1)
	v_fma_f32 v23, -v24, v41, v23
	s_add_i32 s23, s9, 0xffffff40
	s_waitcnt lgkmcnt(0)
	v_mul_f32_e32 v23, v29, v23
	v_or_b32_e32 v29, s23, v0
	s_add_i32 s25, s24, s23
	v_lshlrev_b32_e32 v29, 2, v29
	s_lshl_b32 s25, s25, 2
	ds_write_b32 v29, v23 offset:4096
	v_fma_f32 v22, -v1, v30, v22
	v_mov_b32_e32 v29, s25
	s_add_i32 s25, s14, 0xfffffc64
	v_fma_f32 v22, -v28, v32, v22
	ds_read_b32 v29, v29
	v_mov_b32_e32 v30, s25
	v_fma_f32 v22, -v27, v34, v22
	ds_read_b32 v30, v30
	v_fma_f32 v22, -v26, v36, v22
	v_fma_f32 v22, -v25, v38, v22
	s_add_i32 s27, s8, -9
	v_fma_f32 v22, -v24, v40, v22
	s_add_i32 s25, s27, s9
	s_waitcnt lgkmcnt(1)
	v_fma_f32 v22, -v23, v29, v22
	s_lshl_b32 s25, s25, 2
	s_waitcnt lgkmcnt(0)
	v_mul_f32_e32 v22, v30, v22
	v_mov_b32_e32 v30, s25
	s_add_i32 s25, s27, s15
	s_lshl_b32 s25, s25, 2
	v_mov_b32_e32 v32, s25
	s_add_i32 s25, s27, s18
	s_lshl_b32 s25, s25, 2
	;; [unrolled: 3-line block ×3, first 2 shown]
	s_lshl_b32 s25, s25, 2
	v_or_b32_e32 v29, s24, v0
	v_mov_b32_e32 v36, s25
	s_add_i32 s25, s27, s20
	v_lshlrev_b32_e32 v29, 2, v29
	s_lshl_b32 s25, s25, 2
	ds_read2_b32 v[30:31], v30 offset1:1
	ds_read2_b32 v[32:33], v32 offset1:1
	;; [unrolled: 1-line block ×4, first 2 shown]
	ds_write_b32 v29, v22 offset:4096
	v_mov_b32_e32 v29, s25
	s_add_i32 s25, s27, s21
	s_lshl_b32 s25, s25, 2
	s_waitcnt lgkmcnt(4)
	v_fma_f32 v21, -v1, v31, v21
	v_mov_b32_e32 v31, s25
	s_add_i32 s25, s27, s23
	s_lshl_b32 s25, s25, 2
	s_waitcnt lgkmcnt(3)
	v_fma_f32 v21, -v28, v33, v21
	v_mov_b32_e32 v33, s25
	s_add_i32 s25, s27, s24
	ds_read2_b32 v[38:39], v29 offset1:1
	s_lshl_b32 s25, s25, 2
	v_mov_b32_e32 v29, s25
	s_add_i32 s25, s14, 0xfffffbe0
	s_waitcnt lgkmcnt(3)
	v_fma_f32 v21, -v27, v35, v21
	ds_read2_b32 v[40:41], v31 offset1:1
	ds_read2_b32 v[42:43], v33 offset1:1
	;; [unrolled: 1-line block ×3, first 2 shown]
	v_mov_b32_e32 v29, s25
	s_waitcnt lgkmcnt(5)
	v_fma_f32 v21, -v26, v37, v21
	ds_read_b32 v29, v29
	s_waitcnt lgkmcnt(4)
	v_fma_f32 v21, -v25, v39, v21
	s_waitcnt lgkmcnt(3)
	v_fma_f32 v21, -v24, v41, v21
	;; [unrolled: 2-line block ×4, first 2 shown]
	s_add_i32 s25, s9, 0xffffff00
	s_waitcnt lgkmcnt(0)
	v_mul_f32_e32 v21, v29, v21
	v_or_b32_e32 v29, s25, v0
	v_fma_f32 v20, -v1, v30, v20
	s_add_i32 s28, s27, s25
	v_lshlrev_b32_e32 v29, 2, v29
	v_fma_f32 v20, -v28, v32, v20
	s_lshl_b32 s28, s28, 2
	ds_write_b32 v29, v21 offset:4096
	v_fma_f32 v20, -v27, v34, v20
	v_mov_b32_e32 v29, s28
	s_add_i32 s28, s14, 0xfffffb5c
	v_fma_f32 v20, -v26, v36, v20
	ds_read_b32 v29, v29
	v_mov_b32_e32 v30, s28
	v_fma_f32 v20, -v25, v38, v20
	ds_read_b32 v30, v30
	v_fma_f32 v20, -v24, v40, v20
	v_fma_f32 v20, -v23, v42, v20
	v_fma_f32 v20, -v22, v44, v20
	s_lshl_b32 s27, s27, 5
	s_add_i32 s29, s8, -11
	s_waitcnt lgkmcnt(1)
	v_fma_f32 v20, -v21, v29, v20
	v_or_b32_e32 v29, s27, v0
	s_add_i32 s28, s29, s9
	s_waitcnt lgkmcnt(0)
	v_mul_f32_e32 v20, v30, v20
	v_lshlrev_b32_e32 v29, 2, v29
	s_lshl_b32 s28, s28, 2
	ds_write_b32 v29, v20 offset:4096
	v_mov_b32_e32 v29, s28
	s_add_i32 s28, s29, s15
	s_lshl_b32 s28, s28, 2
	v_mov_b32_e32 v32, s28
	s_add_i32 s28, s29, s18
	s_lshl_b32 s28, s28, 2
	;; [unrolled: 3-line block ×3, first 2 shown]
	ds_read2_b32 v[30:31], v29 offset1:1
	ds_read2_b32 v[32:33], v32 offset1:1
	;; [unrolled: 1-line block ×3, first 2 shown]
	v_mov_b32_e32 v29, s28
	s_add_i32 s28, s29, s20
	s_lshl_b32 s28, s28, 2
	ds_read2_b32 v[36:37], v29 offset1:1
	v_mov_b32_e32 v29, s28
	s_add_i32 s28, s29, s21
	s_lshl_b32 s28, s28, 2
	s_waitcnt lgkmcnt(3)
	v_fma_f32 v19, -v1, v31, v19
	v_mov_b32_e32 v31, s28
	s_add_i32 s28, s29, s23
	s_lshl_b32 s28, s28, 2
	s_waitcnt lgkmcnt(2)
	v_fma_f32 v19, -v28, v33, v19
	;; [unrolled: 5-line block ×3, first 2 shown]
	v_mov_b32_e32 v35, s28
	s_add_i32 s28, s29, s25
	s_lshl_b32 s28, s28, 2
	ds_read2_b32 v[38:39], v29 offset1:1
	ds_read2_b32 v[40:41], v31 offset1:1
	;; [unrolled: 1-line block ×4, first 2 shown]
	v_mov_b32_e32 v29, s28
	s_add_i32 s28, s29, s27
	s_lshl_b32 s28, s28, 2
	v_mov_b32_e32 v31, s28
	s_add_i32 s28, s9, 0xfffffec0
	s_add_i32 s30, s29, s28
	v_fma_f32 v18, -v1, v30, v18
	s_lshl_b32 s30, s30, 2
	v_fma_f32 v18, -v28, v32, v18
	s_waitcnt lgkmcnt(4)
	v_fma_f32 v19, -v26, v37, v19
	v_mov_b32_e32 v33, s30
	s_add_i32 s30, s14, 0xfffffa54
	v_fma_f32 v18, -v27, v34, v18
	s_add_i32 s31, s8, -13
	s_waitcnt lgkmcnt(3)
	v_fma_f32 v19, -v25, v39, v19
	ds_read2_b32 v[46:47], v29 offset1:1
	ds_read2_b32 v[48:49], v31 offset1:1
	;; [unrolled: 1-line block ×3, first 2 shown]
	v_mov_b32_e32 v29, s30
	v_fma_f32 v18, -v26, v36, v18
	s_add_i32 s30, s31, s9
	s_waitcnt lgkmcnt(5)
	v_fma_f32 v19, -v24, v41, v19
	v_fma_f32 v18, -v25, v38, v18
	s_lshl_b32 s30, s30, 2
	s_waitcnt lgkmcnt(4)
	v_fma_f32 v19, -v23, v43, v19
	v_fma_f32 v18, -v24, v40, v18
	v_mov_b32_e32 v30, s30
	s_add_i32 s30, s31, s15
	s_waitcnt lgkmcnt(3)
	v_fma_f32 v19, -v22, v45, v19
	ds_read_b32 v29, v29
	v_fma_f32 v18, -v23, v42, v18
	s_lshl_b32 s30, s30, 2
	s_waitcnt lgkmcnt(3)
	v_fma_f32 v19, -v21, v47, v19
	v_fma_f32 v18, -v22, v44, v18
	v_mov_b32_e32 v32, s30
	s_add_i32 s30, s31, s18
	s_waitcnt lgkmcnt(2)
	v_fma_f32 v19, -v20, v49, v19
	v_fma_f32 v18, -v21, v46, v18
	s_lshl_b32 s30, s30, 2
	s_waitcnt lgkmcnt(1)
	v_mul_f32_e32 v19, v51, v19
	v_fma_f32 v18, -v20, v48, v18
	v_mov_b32_e32 v34, s30
	s_add_i32 s30, s31, s19
	v_or_b32_e32 v31, s28, v0
	v_fma_f32 v18, -v19, v50, v18
	s_lshl_b32 s29, s29, 5
	s_lshl_b32 s30, s30, 2
	v_lshlrev_b32_e32 v31, 2, v31
	s_waitcnt lgkmcnt(0)
	v_mul_f32_e32 v18, v29, v18
	v_or_b32_e32 v29, s29, v0
	v_mov_b32_e32 v36, s30
	s_add_i32 s30, s31, s20
	ds_write_b32 v31, v19 offset:4096
	v_lshlrev_b32_e32 v29, 2, v29
	s_lshl_b32 s30, s30, 2
	ds_read2_b32 v[30:31], v30 offset1:1
	ds_read2_b32 v[32:33], v32 offset1:1
	;; [unrolled: 1-line block ×4, first 2 shown]
	ds_write_b32 v29, v18 offset:4096
	v_mov_b32_e32 v29, s30
	s_add_i32 s30, s31, s21
	s_lshl_b32 s30, s30, 2
	s_waitcnt lgkmcnt(4)
	v_fma_f32 v17, -v1, v31, v17
	v_mov_b32_e32 v31, s30
	s_add_i32 s30, s31, s23
	s_lshl_b32 s30, s30, 2
	s_waitcnt lgkmcnt(3)
	v_fma_f32 v17, -v28, v33, v17
	v_mov_b32_e32 v33, s30
	s_add_i32 s30, s31, s24
	s_lshl_b32 s30, s30, 2
	ds_read2_b32 v[38:39], v29 offset1:1
	ds_read2_b32 v[40:41], v31 offset1:1
	;; [unrolled: 1-line block ×3, first 2 shown]
	v_mov_b32_e32 v29, s30
	s_add_i32 s30, s31, s25
	s_lshl_b32 s30, s30, 2
	ds_read2_b32 v[44:45], v29 offset1:1
	v_mov_b32_e32 v29, s30
	s_add_i32 s30, s31, s27
	s_lshl_b32 s30, s30, 2
	v_mov_b32_e32 v31, s30
	s_add_i32 s30, s31, s28
	s_lshl_b32 s30, s30, 2
	;; [unrolled: 3-line block ×3, first 2 shown]
	v_fma_f32 v16, -v1, v30, v16
	s_waitcnt lgkmcnt(6)
	v_fma_f32 v17, -v27, v35, v17
	v_mov_b32_e32 v35, s30
	s_add_i32 s30, s9, 0xfffffe80
	v_fma_f32 v16, -v28, v32, v16
	s_waitcnt lgkmcnt(5)
	v_fma_f32 v17, -v26, v37, v17
	s_add_i32 s33, s31, s30
	v_fma_f32 v16, -v27, v34, v16
	s_waitcnt lgkmcnt(3)
	v_fma_f32 v17, -v25, v39, v17
	s_lshl_b32 s33, s33, 2
	v_fma_f32 v16, -v26, v36, v16
	s_waitcnt lgkmcnt(2)
	v_fma_f32 v17, -v24, v41, v17
	ds_read2_b32 v[46:47], v29 offset1:1
	ds_read2_b32 v[48:49], v31 offset1:1
	ds_read2_b32 v[50:51], v33 offset1:1
	ds_read2_b32 v[52:53], v35 offset1:1
	v_mov_b32_e32 v29, s33
	s_add_i32 s33, s14, 0xfffff94c
	s_add_i32 s34, s8, -15
	v_fma_f32 v16, -v25, v38, v16
	s_waitcnt lgkmcnt(5)
	v_fma_f32 v17, -v23, v43, v17
	v_mov_b32_e32 v31, s33
	s_add_i32 s33, s34, s9
	v_fma_f32 v16, -v24, v40, v16
	s_waitcnt lgkmcnt(4)
	v_fma_f32 v17, -v22, v45, v17
	s_lshl_b32 s33, s33, 2
	ds_read2_b32 v[54:55], v29 offset1:1
	v_fma_f32 v16, -v23, v42, v16
	s_waitcnt lgkmcnt(4)
	v_fma_f32 v17, -v21, v47, v17
	v_mov_b32_e32 v33, s33
	s_add_i32 s33, s34, s15
	v_fma_f32 v16, -v22, v44, v16
	s_waitcnt lgkmcnt(3)
	v_fma_f32 v17, -v20, v49, v17
	s_lshl_b32 s33, s33, 2
	v_fma_f32 v16, -v21, v46, v16
	s_waitcnt lgkmcnt(2)
	v_fma_f32 v17, -v19, v51, v17
	v_mov_b32_e32 v29, s33
	v_fma_f32 v16, -v20, v48, v16
	s_waitcnt lgkmcnt(1)
	v_fma_f32 v17, -v18, v53, v17
	ds_read_b32 v31, v31
	ds_read2_b32 v[56:57], v33 offset1:1
	ds_read2_b32 v[58:59], v29 offset1:1
	v_or_b32_e32 v29, s30, v0
	v_fma_f32 v16, -v19, v50, v16
	s_waitcnt lgkmcnt(3)
	v_mul_f32_e32 v17, v55, v17
	v_lshlrev_b32_e32 v29, 2, v29
	v_fma_f32 v16, -v18, v52, v16
	s_lshl_b32 s31, s31, 5
	ds_write_b32 v29, v17 offset:4096
	v_fma_f32 v16, -v17, v54, v16
	v_or_b32_e32 v29, s31, v0
	s_add_i32 s33, s34, s18
	s_waitcnt lgkmcnt(3)
	v_mul_f32_e32 v16, v31, v16
	v_lshlrev_b32_e32 v29, 2, v29
	s_lshl_b32 s33, s33, 2
	ds_write_b32 v29, v16 offset:4096
	v_mov_b32_e32 v29, s33
	s_add_i32 s33, s34, s19
	s_lshl_b32 s33, s33, 2
	v_mov_b32_e32 v32, s33
	s_add_i32 s33, s34, s20
	s_lshl_b32 s33, s33, 2
	;; [unrolled: 3-line block ×4, first 2 shown]
	s_waitcnt lgkmcnt(3)
	v_fma_f32 v15, -v1, v57, v15
	ds_read2_b32 v[30:31], v29 offset1:1
	ds_read2_b32 v[32:33], v32 offset1:1
	;; [unrolled: 1-line block ×4, first 2 shown]
	v_mov_b32_e32 v29, s33
	s_add_i32 s33, s34, s24
	s_waitcnt lgkmcnt(6)
	v_fma_f32 v15, -v28, v59, v15
	s_lshl_b32 s33, s33, 2
	s_waitcnt lgkmcnt(3)
	v_fma_f32 v15, -v27, v31, v15
	v_mov_b32_e32 v31, s33
	s_add_i32 s33, s34, s25
	s_lshl_b32 s33, s33, 2
	s_waitcnt lgkmcnt(2)
	v_fma_f32 v15, -v26, v33, v15
	v_mov_b32_e32 v33, s33
	s_add_i32 s33, s34, s27
	s_lshl_b32 s33, s33, 2
	ds_read2_b32 v[38:39], v29 offset1:1
	ds_read2_b32 v[40:41], v31 offset1:1
	;; [unrolled: 1-line block ×3, first 2 shown]
	v_mov_b32_e32 v29, s33
	s_add_i32 s33, s34, s28
	s_lshl_b32 s33, s33, 2
	ds_read2_b32 v[44:45], v29 offset1:1
	v_mov_b32_e32 v29, s33
	s_add_i32 s33, s34, s29
	s_lshl_b32 s33, s33, 2
	v_mov_b32_e32 v31, s33
	s_add_i32 s33, s34, s30
	s_lshl_b32 s33, s33, 2
	v_fma_f32 v14, -v1, v56, v14
	v_mov_b32_e32 v33, s33
	s_add_i32 s33, s34, s31
	v_fma_f32 v14, -v28, v58, v14
	s_lshl_b32 s33, s33, 2
	v_fma_f32 v14, -v27, v30, v14
	s_waitcnt lgkmcnt(5)
	v_fma_f32 v15, -v25, v35, v15
	v_mov_b32_e32 v35, s33
	s_add_i32 s33, s9, 0xfffffe40
	v_fma_f32 v14, -v26, v32, v14
	s_waitcnt lgkmcnt(4)
	v_fma_f32 v15, -v24, v37, v15
	s_add_i32 s35, s34, s33
	v_fma_f32 v14, -v25, v34, v14
	s_waitcnt lgkmcnt(3)
	v_fma_f32 v15, -v23, v39, v15
	s_lshl_b32 s35, s35, 2
	v_fma_f32 v14, -v24, v36, v14
	s_waitcnt lgkmcnt(2)
	v_fma_f32 v15, -v22, v41, v15
	ds_read2_b32 v[46:47], v29 offset1:1
	ds_read2_b32 v[48:49], v31 offset1:1
	;; [unrolled: 1-line block ×4, first 2 shown]
	v_mov_b32_e32 v29, s35
	s_add_i32 s35, s14, 0xfffff844
	s_sub_i32 s36, s8, 17
	v_fma_f32 v14, -v23, v38, v14
	s_waitcnt lgkmcnt(5)
	v_fma_f32 v15, -v21, v43, v15
	v_mov_b32_e32 v31, s35
	s_add_i32 s35, s36, s9
	v_fma_f32 v14, -v22, v40, v14
	s_waitcnt lgkmcnt(4)
	v_fma_f32 v15, -v20, v45, v15
	s_lshl_b32 s35, s35, 2
	ds_read2_b32 v[54:55], v29 offset1:1
	v_fma_f32 v14, -v21, v42, v14
	s_waitcnt lgkmcnt(4)
	v_fma_f32 v15, -v19, v47, v15
	v_mov_b32_e32 v33, s35
	s_add_i32 s35, s36, s15
	v_fma_f32 v14, -v20, v44, v14
	s_waitcnt lgkmcnt(3)
	v_fma_f32 v15, -v18, v49, v15
	s_lshl_b32 s35, s35, 2
	v_fma_f32 v14, -v19, v46, v14
	s_waitcnt lgkmcnt(2)
	v_fma_f32 v15, -v17, v51, v15
	v_mov_b32_e32 v29, s35
	v_fma_f32 v14, -v18, v48, v14
	s_waitcnt lgkmcnt(1)
	v_fma_f32 v15, -v16, v53, v15
	ds_read_b32 v31, v31
	ds_read2_b32 v[60:61], v33 offset1:1
	ds_read2_b32 v[62:63], v29 offset1:1
	v_or_b32_e32 v29, s33, v0
	v_fma_f32 v14, -v17, v50, v14
	s_waitcnt lgkmcnt(3)
	v_mul_f32_e32 v15, v55, v15
	v_lshlrev_b32_e32 v29, 2, v29
	v_fma_f32 v14, -v16, v52, v14
	s_lshl_b32 s34, s34, 5
	ds_write_b32 v29, v15 offset:4096
	v_fma_f32 v14, -v15, v54, v14
	v_or_b32_e32 v29, s34, v0
	s_add_i32 s35, s36, s18
	s_waitcnt lgkmcnt(3)
	v_mul_f32_e32 v14, v31, v14
	v_lshlrev_b32_e32 v29, 2, v29
	s_lshl_b32 s35, s35, 2
	ds_write_b32 v29, v14 offset:4096
	v_mov_b32_e32 v29, s35
	s_add_i32 s35, s36, s19
	s_lshl_b32 s35, s35, 2
	v_mov_b32_e32 v32, s35
	s_add_i32 s35, s36, s20
	s_lshl_b32 s35, s35, 2
	;; [unrolled: 3-line block ×4, first 2 shown]
	s_waitcnt lgkmcnt(3)
	v_fma_f32 v13, -v1, v61, v13
	ds_read2_b32 v[30:31], v29 offset1:1
	ds_read2_b32 v[32:33], v32 offset1:1
	ds_read2_b32 v[34:35], v34 offset1:1
	ds_read2_b32 v[36:37], v36 offset1:1
	v_mov_b32_e32 v29, s35
	s_add_i32 s35, s36, s24
	s_waitcnt lgkmcnt(6)
	v_fma_f32 v13, -v28, v63, v13
	s_lshl_b32 s35, s35, 2
	s_waitcnt lgkmcnt(3)
	v_fma_f32 v13, -v27, v31, v13
	v_mov_b32_e32 v31, s35
	s_add_i32 s35, s36, s25
	s_lshl_b32 s35, s35, 2
	s_waitcnt lgkmcnt(2)
	v_fma_f32 v13, -v26, v33, v13
	v_mov_b32_e32 v33, s35
	s_add_i32 s35, s36, s27
	s_lshl_b32 s35, s35, 2
	ds_read2_b32 v[38:39], v29 offset1:1
	ds_read2_b32 v[40:41], v31 offset1:1
	;; [unrolled: 1-line block ×3, first 2 shown]
	v_mov_b32_e32 v29, s35
	s_add_i32 s35, s36, s28
	s_lshl_b32 s35, s35, 2
	ds_read2_b32 v[44:45], v29 offset1:1
	v_mov_b32_e32 v29, s35
	s_add_i32 s35, s36, s29
	s_lshl_b32 s35, s35, 2
	v_mov_b32_e32 v31, s35
	s_add_i32 s35, s36, s30
	s_lshl_b32 s35, s35, 2
	v_fma_f32 v12, -v1, v60, v12
	v_mov_b32_e32 v33, s35
	s_add_i32 s35, s36, s31
	v_fma_f32 v12, -v28, v62, v12
	s_lshl_b32 s35, s35, 2
	v_fma_f32 v12, -v27, v30, v12
	s_waitcnt lgkmcnt(5)
	v_fma_f32 v13, -v25, v35, v13
	v_mov_b32_e32 v35, s35
	s_add_i32 s35, s36, s33
	v_fma_f32 v12, -v26, v32, v12
	s_waitcnt lgkmcnt(4)
	v_fma_f32 v13, -v24, v37, v13
	s_lshl_b32 s35, s35, 2
	v_fma_f32 v12, -v25, v34, v12
	s_waitcnt lgkmcnt(3)
	v_fma_f32 v13, -v23, v39, v13
	ds_read2_b32 v[46:47], v29 offset1:1
	ds_read2_b32 v[48:49], v31 offset1:1
	;; [unrolled: 1-line block ×4, first 2 shown]
	v_mov_b32_e32 v29, s35
	s_add_i32 s35, s36, s34
	v_fma_f32 v12, -v24, v36, v12
	s_waitcnt lgkmcnt(6)
	v_fma_f32 v13, -v22, v41, v13
	s_lshl_b32 s35, s35, 2
	v_fma_f32 v12, -v23, v38, v12
	s_waitcnt lgkmcnt(5)
	v_fma_f32 v13, -v21, v43, v13
	v_mov_b32_e32 v31, s35
	s_add_i32 s35, s9, 0xfffffe00
	v_fma_f32 v12, -v22, v40, v12
	s_waitcnt lgkmcnt(4)
	v_fma_f32 v13, -v20, v45, v13
	s_add_i32 s37, s36, s35
	v_fma_f32 v12, -v21, v42, v12
	s_waitcnt lgkmcnt(3)
	v_fma_f32 v13, -v19, v47, v13
	s_lshl_b32 s37, s37, 2
	v_fma_f32 v12, -v20, v44, v12
	s_waitcnt lgkmcnt(2)
	v_fma_f32 v13, -v18, v49, v13
	v_mov_b32_e32 v33, s37
	s_add_i32 s37, s14, 0xfffff73c
	ds_read2_b32 v[54:55], v29 offset1:1
	ds_read2_b32 v[56:57], v31 offset1:1
	;; [unrolled: 1-line block ×3, first 2 shown]
	v_fma_f32 v12, -v19, v46, v12
	s_waitcnt lgkmcnt(4)
	v_fma_f32 v13, -v17, v51, v13
	v_mov_b32_e32 v29, s37
	v_fma_f32 v12, -v18, v48, v12
	s_waitcnt lgkmcnt(3)
	v_fma_f32 v13, -v16, v53, v13
	ds_read_b32 v29, v29
	v_fma_f32 v12, -v17, v50, v12
	s_waitcnt lgkmcnt(3)
	v_fma_f32 v13, -v15, v55, v13
	v_fma_f32 v12, -v16, v52, v12
	s_waitcnt lgkmcnt(2)
	v_fma_f32 v13, -v14, v57, v13
	v_fma_f32 v12, -v15, v54, v12
	s_waitcnt lgkmcnt(1)
	v_mul_f32_e32 v13, v59, v13
	v_fma_f32 v12, -v14, v56, v12
	v_fma_f32 v12, -v13, v58, v12
	s_lshl_b32 s36, s36, 5
	s_sub_i32 s38, s8, 19
	s_waitcnt lgkmcnt(0)
	v_mul_f32_e32 v12, v29, v12
	v_or_b32_e32 v29, s36, v0
	s_add_i32 s37, s38, s9
	v_lshlrev_b32_e32 v29, 2, v29
	s_lshl_b32 s37, s37, 2
	ds_write_b32 v29, v12 offset:4096
	v_mov_b32_e32 v29, s37
	s_add_i32 s37, s38, s15
	s_lshl_b32 s37, s37, 2
	v_mov_b32_e32 v32, s37
	s_add_i32 s37, s38, s18
	v_or_b32_e32 v31, s35, v0
	s_lshl_b32 s37, s37, 2
	v_lshlrev_b32_e32 v31, 2, v31
	v_mov_b32_e32 v34, s37
	s_add_i32 s37, s38, s19
	ds_write_b32 v31, v13 offset:4096
	s_lshl_b32 s37, s37, 2
	ds_read2_b32 v[30:31], v29 offset1:1
	ds_read2_b32 v[32:33], v32 offset1:1
	;; [unrolled: 1-line block ×3, first 2 shown]
	v_mov_b32_e32 v29, s37
	s_add_i32 s37, s38, s20
	s_lshl_b32 s37, s37, 2
	ds_read2_b32 v[36:37], v29 offset1:1
	v_mov_b32_e32 v29, s37
	s_add_i32 s37, s38, s21
	s_lshl_b32 s37, s37, 2
	s_waitcnt lgkmcnt(3)
	v_fma_f32 v11, -v1, v31, v11
	v_mov_b32_e32 v31, s37
	s_add_i32 s37, s38, s23
	s_lshl_b32 s37, s37, 2
	s_waitcnt lgkmcnt(2)
	v_fma_f32 v11, -v28, v33, v11
	;; [unrolled: 5-line block ×3, first 2 shown]
	v_mov_b32_e32 v35, s37
	s_add_i32 s37, s38, s25
	s_lshl_b32 s37, s37, 2
	ds_read2_b32 v[38:39], v29 offset1:1
	ds_read2_b32 v[40:41], v31 offset1:1
	;; [unrolled: 1-line block ×4, first 2 shown]
	v_mov_b32_e32 v29, s37
	s_add_i32 s37, s38, s27
	s_lshl_b32 s37, s37, 2
	v_mov_b32_e32 v31, s37
	s_add_i32 s37, s38, s28
	s_lshl_b32 s37, s37, 2
	;; [unrolled: 3-line block ×3, first 2 shown]
	ds_read2_b32 v[46:47], v29 offset1:1
	ds_read2_b32 v[48:49], v31 offset1:1
	;; [unrolled: 1-line block ×3, first 2 shown]
	v_mov_b32_e32 v29, s37
	s_add_i32 s37, s38, s30
	s_lshl_b32 s37, s37, 2
	ds_read2_b32 v[52:53], v29 offset1:1
	v_mov_b32_e32 v29, s37
	s_add_i32 s37, s38, s31
	s_lshl_b32 s37, s37, 2
	v_mov_b32_e32 v31, s37
	s_add_i32 s37, s38, s33
	s_lshl_b32 s37, s37, 2
	v_fma_f32 v10, -v1, v30, v10
	v_mov_b32_e32 v33, s37
	s_add_i32 s37, s38, s34
	v_fma_f32 v10, -v28, v32, v10
	s_waitcnt lgkmcnt(8)
	v_fma_f32 v11, -v26, v37, v11
	s_lshl_b32 s37, s37, 2
	v_fma_f32 v10, -v27, v34, v10
	s_waitcnt lgkmcnt(7)
	v_fma_f32 v11, -v25, v39, v11
	v_mov_b32_e32 v35, s37
	s_add_i32 s37, s38, s35
	v_fma_f32 v10, -v26, v36, v10
	s_waitcnt lgkmcnt(6)
	v_fma_f32 v11, -v24, v41, v11
	s_lshl_b32 s37, s37, 2
	v_fma_f32 v10, -v25, v38, v10
	s_waitcnt lgkmcnt(5)
	v_fma_f32 v11, -v23, v43, v11
	ds_read2_b32 v[54:55], v29 offset1:1
	ds_read2_b32 v[56:57], v31 offset1:1
	;; [unrolled: 1-line block ×4, first 2 shown]
	v_mov_b32_e32 v29, s37
	s_add_i32 s37, s38, s36
	v_fma_f32 v10, -v24, v40, v10
	s_waitcnt lgkmcnt(8)
	v_fma_f32 v11, -v22, v45, v11
	s_lshl_b32 s37, s37, 2
	v_fma_f32 v10, -v23, v42, v10
	s_waitcnt lgkmcnt(7)
	v_fma_f32 v11, -v21, v47, v11
	v_mov_b32_e32 v31, s37
	s_add_i32 s37, s9, 0xfffffdc0
	v_fma_f32 v10, -v22, v44, v10
	s_waitcnt lgkmcnt(6)
	v_fma_f32 v11, -v20, v49, v11
	s_add_i32 s39, s38, s37
	v_fma_f32 v10, -v21, v46, v10
	s_waitcnt lgkmcnt(5)
	v_fma_f32 v11, -v19, v51, v11
	s_lshl_b32 s39, s39, 2
	v_fma_f32 v10, -v20, v48, v10
	s_waitcnt lgkmcnt(4)
	v_fma_f32 v11, -v18, v53, v11
	v_mov_b32_e32 v33, s39
	s_add_i32 s39, s14, 0xfffff634
	v_fma_f32 v10, -v19, v50, v10
	s_sub_i32 s40, s8, 21
	s_waitcnt lgkmcnt(3)
	v_fma_f32 v11, -v17, v55, v11
	ds_read2_b32 v[62:63], v29 offset1:1
	ds_read2_b32 v[64:65], v31 offset1:1
	;; [unrolled: 1-line block ×3, first 2 shown]
	v_mov_b32_e32 v29, s39
	v_fma_f32 v10, -v18, v52, v10
	s_add_i32 s39, s40, s9
	s_waitcnt lgkmcnt(5)
	v_fma_f32 v11, -v16, v57, v11
	v_fma_f32 v10, -v17, v54, v10
	s_lshl_b32 s39, s39, 2
	s_waitcnt lgkmcnt(4)
	v_fma_f32 v11, -v15, v59, v11
	v_fma_f32 v10, -v16, v56, v10
	v_mov_b32_e32 v30, s39
	s_add_i32 s39, s40, s15
	s_waitcnt lgkmcnt(3)
	v_fma_f32 v11, -v14, v61, v11
	ds_read_b32 v29, v29
	v_fma_f32 v10, -v15, v58, v10
	s_lshl_b32 s39, s39, 2
	s_waitcnt lgkmcnt(3)
	v_fma_f32 v11, -v13, v63, v11
	v_fma_f32 v10, -v14, v60, v10
	v_mov_b32_e32 v32, s39
	s_add_i32 s39, s40, s18
	s_waitcnt lgkmcnt(2)
	v_fma_f32 v11, -v12, v65, v11
	v_fma_f32 v10, -v13, v62, v10
	s_lshl_b32 s39, s39, 2
	s_waitcnt lgkmcnt(1)
	v_mul_f32_e32 v11, v67, v11
	v_fma_f32 v10, -v12, v64, v10
	v_mov_b32_e32 v34, s39
	s_add_i32 s39, s40, s19
	v_or_b32_e32 v31, s37, v0
	v_fma_f32 v10, -v11, v66, v10
	s_lshl_b32 s38, s38, 5
	s_lshl_b32 s39, s39, 2
	v_lshlrev_b32_e32 v31, 2, v31
	s_waitcnt lgkmcnt(0)
	v_mul_f32_e32 v10, v29, v10
	v_or_b32_e32 v29, s38, v0
	v_mov_b32_e32 v36, s39
	s_add_i32 s39, s40, s20
	ds_write_b32 v31, v11 offset:4096
	v_lshlrev_b32_e32 v29, 2, v29
	s_lshl_b32 s39, s39, 2
	ds_read2_b32 v[30:31], v30 offset1:1
	ds_read2_b32 v[32:33], v32 offset1:1
	;; [unrolled: 1-line block ×4, first 2 shown]
	ds_write_b32 v29, v10 offset:4096
	v_mov_b32_e32 v29, s39
	s_add_i32 s39, s40, s21
	s_lshl_b32 s39, s39, 2
	s_waitcnt lgkmcnt(4)
	v_fma_f32 v9, -v1, v31, v9
	v_mov_b32_e32 v31, s39
	s_add_i32 s39, s40, s23
	s_lshl_b32 s39, s39, 2
	s_waitcnt lgkmcnt(3)
	v_fma_f32 v9, -v28, v33, v9
	v_mov_b32_e32 v33, s39
	s_add_i32 s39, s40, s24
	s_lshl_b32 s39, s39, 2
	ds_read2_b32 v[38:39], v29 offset1:1
	ds_read2_b32 v[40:41], v31 offset1:1
	;; [unrolled: 1-line block ×3, first 2 shown]
	v_mov_b32_e32 v29, s39
	s_add_i32 s39, s40, s25
	s_lshl_b32 s39, s39, 2
	ds_read2_b32 v[44:45], v29 offset1:1
	v_mov_b32_e32 v29, s39
	s_add_i32 s39, s40, s27
	s_lshl_b32 s39, s39, 2
	v_mov_b32_e32 v31, s39
	s_add_i32 s39, s40, s28
	s_lshl_b32 s39, s39, 2
	;; [unrolled: 3-line block ×3, first 2 shown]
	s_waitcnt lgkmcnt(6)
	v_fma_f32 v9, -v27, v35, v9
	v_mov_b32_e32 v35, s39
	s_add_i32 s39, s40, s30
	s_lshl_b32 s39, s39, 2
	ds_read2_b32 v[46:47], v29 offset1:1
	ds_read2_b32 v[48:49], v31 offset1:1
	ds_read2_b32 v[50:51], v33 offset1:1
	ds_read2_b32 v[52:53], v35 offset1:1
	v_mov_b32_e32 v29, s39
	s_add_i32 s39, s40, s31
	s_lshl_b32 s39, s39, 2
	v_mov_b32_e32 v31, s39
	s_add_i32 s39, s40, s33
	s_lshl_b32 s39, s39, 2
	;; [unrolled: 3-line block ×3, first 2 shown]
	v_fma_f32 v8, -v1, v30, v8
	ds_read2_b32 v[54:55], v29 offset1:1
	ds_read2_b32 v[56:57], v31 offset1:1
	;; [unrolled: 1-line block ×3, first 2 shown]
	v_mov_b32_e32 v29, s39
	s_add_i32 s39, s40, s35
	v_fma_f32 v8, -v28, v32, v8
	s_waitcnt lgkmcnt(12)
	v_fma_f32 v9, -v26, v37, v9
	s_lshl_b32 s39, s39, 2
	v_fma_f32 v8, -v27, v34, v8
	s_waitcnt lgkmcnt(10)
	v_fma_f32 v9, -v25, v39, v9
	ds_read2_b32 v[60:61], v29 offset1:1
	v_mov_b32_e32 v29, s39
	s_add_i32 s39, s40, s36
	v_fma_f32 v8, -v26, v36, v8
	s_waitcnt lgkmcnt(10)
	v_fma_f32 v9, -v24, v41, v9
	s_lshl_b32 s39, s39, 2
	v_fma_f32 v8, -v25, v38, v8
	s_waitcnt lgkmcnt(9)
	v_fma_f32 v9, -v23, v43, v9
	v_mov_b32_e32 v31, s39
	s_add_i32 s39, s40, s37
	v_fma_f32 v8, -v24, v40, v8
	s_waitcnt lgkmcnt(8)
	v_fma_f32 v9, -v22, v45, v9
	s_lshl_b32 s39, s39, 2
	v_fma_f32 v8, -v23, v42, v8
	s_waitcnt lgkmcnt(7)
	v_fma_f32 v9, -v21, v47, v9
	v_mov_b32_e32 v33, s39
	s_add_i32 s39, s40, s38
	v_fma_f32 v8, -v22, v44, v8
	s_waitcnt lgkmcnt(6)
	v_fma_f32 v9, -v20, v49, v9
	s_lshl_b32 s39, s39, 2
	v_fma_f32 v8, -v21, v46, v8
	s_waitcnt lgkmcnt(5)
	v_fma_f32 v9, -v19, v51, v9
	v_mov_b32_e32 v35, s39
	s_add_i32 s39, s9, 0xfffffd80
	v_fma_f32 v8, -v20, v48, v8
	s_waitcnt lgkmcnt(4)
	v_fma_f32 v9, -v18, v53, v9
	s_add_i32 s41, s40, s39
	v_fma_f32 v8, -v19, v50, v8
	s_waitcnt lgkmcnt(3)
	v_fma_f32 v9, -v17, v55, v9
	s_lshl_b32 s41, s41, 2
	v_fma_f32 v8, -v18, v52, v8
	s_waitcnt lgkmcnt(2)
	v_fma_f32 v9, -v16, v57, v9
	ds_read2_b32 v[62:63], v29 offset1:1
	ds_read2_b32 v[64:65], v31 offset1:1
	ds_read2_b32 v[66:67], v33 offset1:1
	ds_read2_b32 v[68:69], v35 offset1:1
	v_mov_b32_e32 v29, s41
	s_add_i32 s41, s14, 0xfffff52c
	s_sub_i32 s42, s8, 23
	v_fma_f32 v8, -v17, v54, v8
	s_waitcnt lgkmcnt(5)
	v_fma_f32 v9, -v15, v59, v9
	v_mov_b32_e32 v31, s41
	s_add_i32 s41, s42, s9
	v_fma_f32 v8, -v16, v56, v8
	s_waitcnt lgkmcnt(4)
	v_fma_f32 v9, -v14, v61, v9
	s_lshl_b32 s41, s41, 2
	ds_read2_b32 v[70:71], v29 offset1:1
	v_fma_f32 v8, -v15, v58, v8
	s_waitcnt lgkmcnt(4)
	v_fma_f32 v9, -v13, v63, v9
	v_mov_b32_e32 v33, s41
	s_add_i32 s41, s42, s15
	v_fma_f32 v8, -v14, v60, v8
	s_waitcnt lgkmcnt(3)
	v_fma_f32 v9, -v12, v65, v9
	s_lshl_b32 s41, s41, 2
	v_fma_f32 v8, -v13, v62, v8
	s_waitcnt lgkmcnt(2)
	v_fma_f32 v9, -v11, v67, v9
	v_mov_b32_e32 v29, s41
	v_fma_f32 v8, -v12, v64, v8
	s_waitcnt lgkmcnt(1)
	v_fma_f32 v9, -v10, v69, v9
	ds_read_b32 v31, v31
	ds_read2_b32 v[72:73], v33 offset1:1
	ds_read2_b32 v[74:75], v29 offset1:1
	v_or_b32_e32 v29, s39, v0
	v_fma_f32 v8, -v11, v66, v8
	s_waitcnt lgkmcnt(3)
	v_mul_f32_e32 v9, v71, v9
	v_lshlrev_b32_e32 v29, 2, v29
	v_fma_f32 v8, -v10, v68, v8
	s_lshl_b32 s40, s40, 5
	ds_write_b32 v29, v9 offset:4096
	v_fma_f32 v8, -v9, v70, v8
	v_or_b32_e32 v29, s40, v0
	s_add_i32 s41, s42, s18
	s_waitcnt lgkmcnt(3)
	v_mul_f32_e32 v8, v31, v8
	v_lshlrev_b32_e32 v29, 2, v29
	s_lshl_b32 s41, s41, 2
	ds_write_b32 v29, v8 offset:4096
	v_mov_b32_e32 v29, s41
	s_add_i32 s41, s42, s19
	s_lshl_b32 s41, s41, 2
	v_mov_b32_e32 v32, s41
	s_add_i32 s41, s42, s20
	s_lshl_b32 s41, s41, 2
	;; [unrolled: 3-line block ×4, first 2 shown]
	s_waitcnt lgkmcnt(3)
	v_fma_f32 v7, -v1, v73, v7
	ds_read2_b32 v[30:31], v29 offset1:1
	ds_read2_b32 v[32:33], v32 offset1:1
	;; [unrolled: 1-line block ×4, first 2 shown]
	v_mov_b32_e32 v29, s41
	s_add_i32 s41, s42, s24
	s_waitcnt lgkmcnt(6)
	v_fma_f32 v7, -v28, v75, v7
	s_lshl_b32 s41, s41, 2
	s_waitcnt lgkmcnt(3)
	v_fma_f32 v7, -v27, v31, v7
	v_mov_b32_e32 v31, s41
	s_add_i32 s41, s42, s25
	s_lshl_b32 s41, s41, 2
	s_waitcnt lgkmcnt(2)
	v_fma_f32 v7, -v26, v33, v7
	v_mov_b32_e32 v33, s41
	s_add_i32 s41, s42, s27
	s_lshl_b32 s41, s41, 2
	ds_read2_b32 v[38:39], v29 offset1:1
	ds_read2_b32 v[40:41], v31 offset1:1
	;; [unrolled: 1-line block ×3, first 2 shown]
	v_mov_b32_e32 v29, s41
	s_add_i32 s41, s42, s28
	s_lshl_b32 s41, s41, 2
	ds_read2_b32 v[44:45], v29 offset1:1
	v_mov_b32_e32 v29, s41
	s_add_i32 s41, s42, s29
	s_lshl_b32 s41, s41, 2
	v_mov_b32_e32 v31, s41
	s_add_i32 s41, s42, s30
	s_lshl_b32 s41, s41, 2
	v_mov_b32_e32 v33, s41
	s_add_i32 s41, s42, s31
	s_lshl_b32 s41, s41, 2
	s_waitcnt lgkmcnt(5)
	v_fma_f32 v7, -v25, v35, v7
	v_mov_b32_e32 v35, s41
	s_add_i32 s41, s42, s33
	s_lshl_b32 s41, s41, 2
	ds_read2_b32 v[46:47], v29 offset1:1
	ds_read2_b32 v[48:49], v31 offset1:1
	;; [unrolled: 1-line block ×4, first 2 shown]
	v_mov_b32_e32 v29, s41
	s_add_i32 s41, s42, s34
	s_lshl_b32 s41, s41, 2
	v_mov_b32_e32 v31, s41
	s_add_i32 s41, s42, s35
	s_lshl_b32 s41, s41, 2
	v_fma_f32 v6, -v1, v72, v6
	v_mov_b32_e32 v33, s41
	s_add_i32 s41, s42, s36
	v_fma_f32 v6, -v28, v74, v6
	s_lshl_b32 s41, s41, 2
	v_fma_f32 v6, -v27, v30, v6
	ds_read2_b32 v[54:55], v29 offset1:1
	ds_read2_b32 v[56:57], v31 offset1:1
	;; [unrolled: 1-line block ×3, first 2 shown]
	v_mov_b32_e32 v29, s41
	s_add_i32 s41, s42, s37
	v_fma_f32 v6, -v26, v32, v6
	s_waitcnt lgkmcnt(11)
	v_fma_f32 v7, -v24, v37, v7
	s_lshl_b32 s41, s41, 2
	v_fma_f32 v6, -v25, v34, v6
	s_waitcnt lgkmcnt(10)
	v_fma_f32 v7, -v23, v39, v7
	ds_read2_b32 v[60:61], v29 offset1:1
	v_mov_b32_e32 v29, s41
	s_add_i32 s41, s42, s38
	v_fma_f32 v6, -v24, v36, v6
	s_waitcnt lgkmcnt(10)
	v_fma_f32 v7, -v22, v41, v7
	s_lshl_b32 s41, s41, 2
	v_fma_f32 v6, -v23, v38, v6
	s_waitcnt lgkmcnt(9)
	v_fma_f32 v7, -v21, v43, v7
	v_mov_b32_e32 v31, s41
	s_add_i32 s41, s42, s39
	v_fma_f32 v6, -v22, v40, v6
	s_waitcnt lgkmcnt(8)
	v_fma_f32 v7, -v20, v45, v7
	s_lshl_b32 s41, s41, 2
	v_fma_f32 v6, -v21, v42, v6
	s_waitcnt lgkmcnt(7)
	v_fma_f32 v7, -v19, v47, v7
	;; [unrolled: 9-line block ×3, first 2 shown]
	v_mov_b32_e32 v35, s41
	s_add_i32 s41, s9, 0xfffffd40
	v_fma_f32 v6, -v18, v48, v6
	s_waitcnt lgkmcnt(4)
	v_fma_f32 v7, -v16, v53, v7
	s_add_i32 s43, s42, s41
	v_fma_f32 v6, -v17, v50, v6
	s_waitcnt lgkmcnt(3)
	v_fma_f32 v7, -v15, v55, v7
	s_lshl_b32 s43, s43, 2
	v_fma_f32 v6, -v16, v52, v6
	s_waitcnt lgkmcnt(2)
	v_fma_f32 v7, -v14, v57, v7
	ds_read2_b32 v[62:63], v29 offset1:1
	ds_read2_b32 v[64:65], v31 offset1:1
	;; [unrolled: 1-line block ×4, first 2 shown]
	v_mov_b32_e32 v29, s43
	s_add_i32 s43, s14, 0xfffff424
	v_fma_f32 v6, -v15, v54, v6
	s_waitcnt lgkmcnt(5)
	v_fma_f32 v7, -v13, v59, v7
	v_mov_b32_e32 v31, s43
	s_sub_i32 s43, s8, 25
	v_fma_f32 v6, -v14, v56, v6
	s_waitcnt lgkmcnt(4)
	v_fma_f32 v7, -v12, v61, v7
	s_add_i32 s44, s43, s9
	ds_read2_b32 v[70:71], v29 offset1:1
	v_fma_f32 v6, -v13, v58, v6
	s_waitcnt lgkmcnt(4)
	v_fma_f32 v7, -v11, v63, v7
	s_lshl_b32 s44, s44, 2
	v_fma_f32 v6, -v12, v60, v6
	s_waitcnt lgkmcnt(3)
	v_fma_f32 v7, -v10, v65, v7
	v_mov_b32_e32 v33, s44
	s_add_i32 s44, s43, s15
	v_fma_f32 v6, -v11, v62, v6
	s_waitcnt lgkmcnt(2)
	v_fma_f32 v7, -v9, v67, v7
	s_lshl_b32 s44, s44, 2
	v_fma_f32 v6, -v10, v64, v6
	s_waitcnt lgkmcnt(1)
	v_fma_f32 v7, -v8, v69, v7
	v_mov_b32_e32 v29, s44
	ds_read_b32 v31, v31
	ds_read2_b32 v[76:77], v33 offset1:1
	ds_read2_b32 v[78:79], v29 offset1:1
	v_fma_f32 v6, -v9, v66, v6
	s_waitcnt lgkmcnt(3)
	v_mul_f32_e32 v29, v71, v7
	v_fma_f32 v6, -v8, v68, v6
	v_fma_f32 v6, -v29, v70, v6
	s_lshl_b32 s42, s42, 5
	s_waitcnt lgkmcnt(2)
	v_mul_f32_e32 v80, v31, v6
	v_or_b32_e32 v6, s42, v0
	s_add_i32 s44, s43, s18
	v_lshlrev_b32_e32 v6, 2, v6
	s_lshl_b32 s44, s44, 2
	ds_write_b32 v6, v80 offset:4096
	v_mov_b32_e32 v6, s44
	s_add_i32 s44, s43, s19
	s_lshl_b32 s44, s44, 2
	v_mov_b32_e32 v30, s44
	s_add_i32 s44, s43, s20
	s_lshl_b32 s44, s44, 2
	v_or_b32_e32 v7, s41, v0
	v_mov_b32_e32 v32, s44
	s_add_i32 s44, s43, s21
	v_lshlrev_b32_e32 v7, 2, v7
	s_lshl_b32 s44, s44, 2
	ds_write_b32 v7, v29 offset:4096
	v_mov_b32_e32 v34, s44
	s_waitcnt lgkmcnt(3)
	v_fma_f32 v5, -v1, v77, v5
	ds_read2_b32 v[6:7], v6 offset1:1
	ds_read2_b32 v[30:31], v30 offset1:1
	;; [unrolled: 1-line block ×4, first 2 shown]
	s_add_i32 s44, s43, s23
	s_waitcnt lgkmcnt(6)
	v_fma_f32 v5, -v28, v79, v5
	s_lshl_b32 s44, s44, 2
	s_waitcnt lgkmcnt(3)
	v_fma_f32 v5, -v27, v7, v5
	v_mov_b32_e32 v7, s44
	s_add_i32 s44, s43, s24
	s_lshl_b32 s44, s44, 2
	s_waitcnt lgkmcnt(2)
	v_fma_f32 v5, -v26, v31, v5
	v_mov_b32_e32 v31, s44
	s_add_i32 s44, s43, s25
	;; [unrolled: 5-line block ×3, first 2 shown]
	s_lshl_b32 s44, s44, 2
	ds_read2_b32 v[36:37], v7 offset1:1
	ds_read2_b32 v[38:39], v31 offset1:1
	;; [unrolled: 1-line block ×3, first 2 shown]
	v_mov_b32_e32 v7, s44
	s_add_i32 s44, s43, s28
	s_lshl_b32 s44, s44, 2
	ds_read2_b32 v[42:43], v7 offset1:1
	v_mov_b32_e32 v7, s44
	s_add_i32 s44, s43, s29
	s_lshl_b32 s44, s44, 2
	v_mov_b32_e32 v31, s44
	s_add_i32 s44, s43, s30
	s_lshl_b32 s44, s44, 2
	;; [unrolled: 3-line block ×3, first 2 shown]
	s_waitcnt lgkmcnt(4)
	v_fma_f32 v5, -v24, v35, v5
	v_mov_b32_e32 v35, s44
	s_add_i32 s44, s43, s33
	s_lshl_b32 s44, s44, 2
	ds_read2_b32 v[44:45], v7 offset1:1
	ds_read2_b32 v[46:47], v31 offset1:1
	;; [unrolled: 1-line block ×4, first 2 shown]
	v_mov_b32_e32 v7, s44
	s_add_i32 s44, s43, s34
	s_lshl_b32 s44, s44, 2
	v_mov_b32_e32 v31, s44
	s_add_i32 s44, s43, s35
	s_lshl_b32 s44, s44, 2
	v_fma_f32 v4, -v1, v76, v4
	v_mov_b32_e32 v33, s44
	s_add_i32 s44, s43, s36
	v_fma_f32 v4, -v28, v78, v4
	s_lshl_b32 s44, s44, 2
	v_fma_f32 v4, -v27, v6, v4
	ds_read2_b32 v[52:53], v7 offset1:1
	ds_read2_b32 v[54:55], v31 offset1:1
	;; [unrolled: 1-line block ×3, first 2 shown]
	v_mov_b32_e32 v7, s44
	s_add_i32 s44, s43, s37
	v_fma_f32 v4, -v26, v30, v4
	s_lshl_b32 s44, s44, 2
	v_fma_f32 v4, -v25, v32, v4
	s_waitcnt lgkmcnt(10)
	v_fma_f32 v5, -v23, v37, v5
	ds_read2_b32 v[58:59], v7 offset1:1
	v_mov_b32_e32 v7, s44
	s_add_i32 s44, s43, s38
	v_fma_f32 v4, -v24, v34, v4
	s_waitcnt lgkmcnt(10)
	v_fma_f32 v5, -v22, v39, v5
	s_lshl_b32 s44, s44, 2
	v_fma_f32 v4, -v23, v36, v4
	s_waitcnt lgkmcnt(9)
	v_fma_f32 v5, -v21, v41, v5
	v_mov_b32_e32 v31, s44
	s_add_i32 s44, s43, s39
	v_fma_f32 v4, -v22, v38, v4
	s_waitcnt lgkmcnt(8)
	v_fma_f32 v5, -v20, v43, v5
	s_lshl_b32 s44, s44, 2
	v_fma_f32 v4, -v21, v40, v4
	s_waitcnt lgkmcnt(7)
	v_fma_f32 v5, -v19, v45, v5
	;; [unrolled: 9-line block ×4, first 2 shown]
	ds_read2_b32 v[60:61], v7 offset1:1
	ds_read2_b32 v[62:63], v31 offset1:1
	;; [unrolled: 1-line block ×4, first 2 shown]
	v_mov_b32_e32 v7, s44
	s_add_i32 s44, s43, s42
	v_fma_f32 v4, -v16, v50, v4
	s_waitcnt lgkmcnt(6)
	v_fma_f32 v5, -v14, v55, v5
	s_lshl_b32 s44, s44, 2
	v_fma_f32 v4, -v15, v52, v4
	s_waitcnt lgkmcnt(5)
	v_fma_f32 v5, -v13, v57, v5
	v_mov_b32_e32 v31, s44
	s_add_i32 s44, s9, 0xfffffd00
	v_fma_f32 v4, -v14, v54, v4
	s_waitcnt lgkmcnt(4)
	v_fma_f32 v5, -v12, v59, v5
	s_add_i32 s45, s43, s44
	v_fma_f32 v4, -v13, v56, v4
	s_waitcnt lgkmcnt(3)
	v_fma_f32 v5, -v11, v61, v5
	s_lshl_b32 s45, s45, 2
	v_fma_f32 v4, -v12, v58, v4
	s_waitcnt lgkmcnt(2)
	v_fma_f32 v5, -v10, v63, v5
	v_mov_b32_e32 v33, s45
	s_add_i32 s45, s14, 0xfffff31c
	ds_read2_b32 v[68:69], v7 offset1:1
	ds_read2_b32 v[70:71], v31 offset1:1
	;; [unrolled: 1-line block ×3, first 2 shown]
	v_fma_f32 v4, -v11, v60, v4
	s_waitcnt lgkmcnt(4)
	v_fma_f32 v5, -v9, v65, v5
	v_mov_b32_e32 v7, s45
	v_fma_f32 v4, -v10, v62, v4
	s_waitcnt lgkmcnt(3)
	v_fma_f32 v5, -v8, v67, v5
	ds_read_b32 v7, v7
	v_fma_f32 v4, -v9, v64, v4
	s_waitcnt lgkmcnt(3)
	v_fma_f32 v5, -v29, v69, v5
	v_fma_f32 v4, -v8, v66, v4
	s_waitcnt lgkmcnt(2)
	v_fma_f32 v5, -v80, v71, v5
	v_fma_f32 v4, -v29, v68, v4
	s_lshl_b32 s45, s43, 5
	s_sub_i32 s43, s8, 27
	s_waitcnt lgkmcnt(1)
	v_mul_f32_e32 v81, v73, v5
	v_fma_f32 v4, -v80, v70, v4
	s_add_i32 s15, s43, s15
	v_fma_f32 v4, -v81, v72, v4
	s_lshl_b32 s15, s15, 2
	v_or_b32_e32 v5, s44, v0
	s_waitcnt lgkmcnt(0)
	v_mul_f32_e32 v82, v7, v4
	v_or_b32_e32 v4, s45, v0
	s_add_i32 s46, s43, s9
	v_mov_b32_e32 v6, s15
	s_add_i32 s15, s43, s18
	v_lshlrev_b32_e32 v5, 2, v5
	v_lshlrev_b32_e32 v4, 2, v4
	s_lshl_b32 s46, s46, 2
	s_lshl_b32 s15, s15, 2
	ds_write_b32 v5, v81 offset:4096
	ds_write_b32 v4, v82 offset:4096
	v_mov_b32_e32 v4, s46
	v_mov_b32_e32 v30, s15
	s_add_i32 s15, s43, s19
	s_lshl_b32 s15, s15, 2
	ds_read2_b32 v[4:5], v4 offset1:1
	ds_read2_b32 v[6:7], v6 offset1:1
	;; [unrolled: 1-line block ×3, first 2 shown]
	v_mov_b32_e32 v32, s15
	s_add_i32 s15, s43, s20
	s_lshl_b32 s15, s15, 2
	s_waitcnt lgkmcnt(2)
	v_fma_f32 v3, -v1, v5, v3
	v_mov_b32_e32 v5, s15
	s_add_i32 s15, s43, s21
	s_lshl_b32 s15, s15, 2
	s_waitcnt lgkmcnt(1)
	v_fma_f32 v3, -v28, v7, v3
	;; [unrolled: 5-line block ×3, first 2 shown]
	v_mov_b32_e32 v31, s15
	s_add_i32 s15, s43, s24
	s_lshl_b32 s15, s15, 2
	v_mov_b32_e32 v40, s15
	s_add_i32 s15, s43, s25
	s_lshl_b32 s15, s15, 2
	ds_read2_b32 v[32:33], v32 offset1:1
	ds_read2_b32 v[34:35], v5 offset1:1
	;; [unrolled: 1-line block ×5, first 2 shown]
	v_mov_b32_e32 v5, s15
	s_add_i32 s15, s43, s27
	s_lshl_b32 s15, s15, 2
	v_mov_b32_e32 v7, s15
	s_add_i32 s15, s43, s28
	s_lshl_b32 s15, s15, 2
	;; [unrolled: 3-line block ×3, first 2 shown]
	ds_read2_b32 v[42:43], v5 offset1:1
	ds_read2_b32 v[44:45], v7 offset1:1
	;; [unrolled: 1-line block ×3, first 2 shown]
	v_mov_b32_e32 v5, s15
	s_add_i32 s15, s43, s30
	s_lshl_b32 s15, s15, 2
	ds_read2_b32 v[48:49], v5 offset1:1
	v_mov_b32_e32 v5, s15
	s_add_i32 s15, s43, s31
	s_lshl_b32 s15, s15, 2
	v_mov_b32_e32 v7, s15
	s_add_i32 s15, s43, s33
	s_lshl_b32 s15, s15, 2
	;; [unrolled: 3-line block ×3, first 2 shown]
	s_waitcnt lgkmcnt(8)
	v_fma_f32 v3, -v26, v33, v3
	v_mov_b32_e32 v33, s15
	s_add_i32 s15, s43, s35
	s_lshl_b32 s15, s15, 2
	ds_read2_b32 v[50:51], v5 offset1:1
	ds_read2_b32 v[52:53], v7 offset1:1
	;; [unrolled: 1-line block ×4, first 2 shown]
	v_mov_b32_e32 v5, s15
	s_add_i32 s15, s43, s36
	v_fma_f32 v1, -v1, v4, v2
	s_lshl_b32 s15, s15, 2
	v_fma_f32 v1, -v28, v6, v1
	v_mov_b32_e32 v7, s15
	s_add_i32 s15, s43, s37
	v_fma_f32 v1, -v27, v30, v1
	s_waitcnt lgkmcnt(11)
	v_fma_f32 v3, -v25, v35, v3
	s_lshl_b32 s15, s15, 2
	v_fma_f32 v1, -v26, v32, v1
	s_waitcnt lgkmcnt(10)
	v_fma_f32 v3, -v24, v37, v3
	v_mov_b32_e32 v31, s15
	s_add_i32 s15, s43, s38
	v_fma_f32 v1, -v25, v34, v1
	s_waitcnt lgkmcnt(9)
	v_fma_f32 v3, -v23, v39, v3
	s_lshl_b32 s15, s15, 2
	v_fma_f32 v1, -v24, v36, v1
	s_waitcnt lgkmcnt(8)
	v_fma_f32 v3, -v22, v41, v3
	ds_read2_b32 v[58:59], v5 offset1:1
	ds_read2_b32 v[60:61], v7 offset1:1
	;; [unrolled: 1-line block ×3, first 2 shown]
	v_mov_b32_e32 v5, s15
	s_add_i32 s15, s43, s39
	v_fma_f32 v1, -v23, v38, v1
	s_waitcnt lgkmcnt(10)
	v_fma_f32 v3, -v21, v43, v3
	s_lshl_b32 s15, s15, 2
	v_fma_f32 v1, -v22, v40, v1
	s_waitcnt lgkmcnt(9)
	v_fma_f32 v3, -v20, v45, v3
	ds_read2_b32 v[64:65], v5 offset1:1
	v_mov_b32_e32 v5, s15
	s_add_i32 s15, s43, s40
	v_fma_f32 v1, -v21, v42, v1
	s_waitcnt lgkmcnt(9)
	v_fma_f32 v3, -v19, v47, v3
	s_lshl_b32 s15, s15, 2
	v_fma_f32 v1, -v20, v44, v1
	s_waitcnt lgkmcnt(8)
	v_fma_f32 v3, -v18, v49, v3
	v_mov_b32_e32 v7, s15
	s_add_i32 s15, s43, s41
	v_fma_f32 v1, -v19, v46, v1
	s_waitcnt lgkmcnt(7)
	v_fma_f32 v3, -v17, v51, v3
	s_lshl_b32 s15, s15, 2
	v_fma_f32 v1, -v18, v48, v1
	s_waitcnt lgkmcnt(6)
	v_fma_f32 v3, -v16, v53, v3
	;; [unrolled: 9-line block ×4, first 2 shown]
	ds_read2_b32 v[66:67], v5 offset1:1
	ds_read2_b32 v[68:69], v7 offset1:1
	;; [unrolled: 1-line block ×4, first 2 shown]
	v_mov_b32_e32 v5, s15
	s_add_i32 s15, s43, s45
	v_fma_f32 v1, -v13, v58, v1
	s_waitcnt lgkmcnt(5)
	v_fma_f32 v3, -v11, v63, v3
	s_lshl_b32 s15, s15, 2
	s_addk_i32 s9, 0xfcc0
	v_fma_f32 v1, -v12, v60, v1
	s_waitcnt lgkmcnt(4)
	v_fma_f32 v3, -v10, v65, v3
	v_mov_b32_e32 v7, s15
	s_add_i32 s15, s43, s9
	v_fma_f32 v1, -v11, v62, v1
	s_waitcnt lgkmcnt(3)
	v_fma_f32 v3, -v9, v67, v3
	s_lshl_b32 s15, s15, 2
	v_fma_f32 v1, -v10, v64, v1
	s_waitcnt lgkmcnt(2)
	v_fma_f32 v3, -v8, v69, v3
	v_mov_b32_e32 v31, s15
	s_addk_i32 s14, 0xf214
	ds_read2_b32 v[74:75], v5 offset1:1
	ds_read2_b32 v[76:77], v7 offset1:1
	;; [unrolled: 1-line block ×3, first 2 shown]
	v_fma_f32 v1, -v9, v66, v1
	s_waitcnt lgkmcnt(4)
	v_fma_f32 v3, -v29, v71, v3
	v_mov_b32_e32 v5, s14
	v_fma_f32 v1, -v8, v68, v1
	s_waitcnt lgkmcnt(3)
	v_fma_f32 v3, -v80, v73, v3
	ds_read_b32 v5, v5
	v_fma_f32 v1, -v29, v70, v1
	s_waitcnt lgkmcnt(3)
	v_fma_f32 v3, -v81, v75, v3
	v_fma_f32 v1, -v80, v72, v1
	s_waitcnt lgkmcnt(2)
	v_fma_f32 v3, -v82, v77, v3
	v_fma_f32 v1, -v81, v74, v1
	s_waitcnt lgkmcnt(1)
	v_mul_f32_e32 v3, v79, v3
	v_fma_f32 v1, -v82, v76, v1
	v_or_b32_e32 v7, s9, v0
	v_fma_f32 v1, -v3, v78, v1
	v_lshlrev_b32_e32 v2, 2, v0
	v_lshlrev_b32_e32 v7, 2, v7
	s_waitcnt lgkmcnt(0)
	v_mul_f32_e32 v1, v5, v1
	v_lshl_or_b32 v2, s43, 7, v2
	s_sub_i32 s8, s8, 28
	ds_write_b32 v7, v3 offset:4096
	ds_write_b32 v2, v1 offset:4096
.LBB36_57:
	s_cmp_lt_i32 s8, 0
	s_cbranch_scc1 .LBB36_70
; %bb.58:
	s_bitcmp1_b32 s8, 0
	s_cselect_b64 s[14:15], -1, 0
	s_and_b64 vcc, exec, s[14:15]
	s_mov_b32 s9, s8
	s_cbranch_vccnz .LBB36_63
; %bb.59:
	v_lshlrev_b32_e32 v1, 2, v0
	v_lshl_or_b32 v2, s8, 7, v1
	ds_read_b32 v1, v2 offset:4096
	s_cmp_le_i32 s6, s8
	s_cbranch_scc1 .LBB36_62
; %bb.60:
	s_lshl_b32 s14, s26, 7
	s_lshl_b32 s9, s8, 2
	s_add_i32 s9, s14, s9
	v_lshl_or_b32 v3, v0, 2, s14
	s_addk_i32 s9, 0xff80
	v_add_u32_e32 v3, 0xf80, v3
	s_mov_b32 s14, s6
.LBB36_61:                              ; =>This Inner Loop Header: Depth=1
	v_mov_b32_e32 v5, s9
	ds_read_b32 v4, v3
	ds_read_b32 v5, v5
	s_add_i32 s14, s14, -1
	s_addk_i32 s9, 0xff80
	v_add_u32_e32 v3, 0xffffff80, v3
	s_cmp_gt_i32 s14, s8
	s_waitcnt lgkmcnt(0)
	v_fma_f32 v1, -v4, v5, v1
	s_cbranch_scc1 .LBB36_61
.LBB36_62:
	s_mul_i32 s9, s8, 0x84
	v_mov_b32_e32 v3, s9
	ds_read_b32 v3, v3
	v_add_u32_e32 v2, 0x1000, v2
	s_add_i32 s9, s8, -1
	s_waitcnt lgkmcnt(0)
	v_mul_f32_e32 v1, v3, v1
	ds_write_b32 v2, v1
.LBB36_63:
	s_cmp_eq_u32 s8, 0
	s_cbranch_scc1 .LBB36_70
; %bb.64:
	s_lshl_b32 s14, s26, 7
	s_lshl_b32 s8, s9, 2
	s_add_i32 s15, s14, s8
	v_lshl_or_b32 v1, v0, 2, s14
	s_add_i32 s8, s15, 0xffffff80
	v_add_u32_e32 v1, 0xf80, v1
	s_add_i32 s14, s15, 0xffffff7c
	v_lshlrev_b32_e32 v2, 2, v0
	s_branch .LBB36_66
.LBB36_65:                              ;   in Loop: Header=BB36_66 Depth=1
	s_addk_i32 s15, 0xff7c
	v_add_u32_e32 v4, 0x1000, v5
	v_mov_b32_e32 v5, s15
	ds_read_b32 v5, v5
	s_add_i32 s15, s9, -2
	s_add_i32 s8, s8, -8
	;; [unrolled: 1-line block ×3, first 2 shown]
	s_cmp_lt_i32 s9, 2
	s_waitcnt lgkmcnt(0)
	v_mul_f32_e32 v3, v5, v3
	s_mov_b32 s9, s15
	ds_write_b32 v4, v3
	s_cbranch_scc1 .LBB36_70
.LBB36_66:                              ; =>This Loop Header: Depth=1
                                        ;     Child Loop BB36_67 Depth 2
                                        ;     Child Loop BB36_69 Depth 2
	v_lshl_or_b32 v3, s9, 7, v2
	ds_read_b32 v4, v3 offset:4096
	s_cmp_le_i32 s6, s9
	v_mov_b32_e32 v5, v1
	s_mov_b32 s15, s8
	s_mov_b32 s18, s6
	s_cbranch_scc1 .LBB36_68
.LBB36_67:                              ;   Parent Loop BB36_66 Depth=1
                                        ; =>  This Inner Loop Header: Depth=2
	v_mov_b32_e32 v7, s15
	ds_read_b32 v6, v5
	ds_read_b32 v7, v7
	s_add_i32 s18, s18, -1
	s_addk_i32 s15, 0xff80
	v_add_u32_e32 v5, 0xffffff80, v5
	s_cmp_gt_i32 s18, s9
	s_waitcnt lgkmcnt(0)
	v_fma_f32 v4, -v6, v7, v4
	s_cbranch_scc1 .LBB36_67
.LBB36_68:                              ;   in Loop: Header=BB36_66 Depth=1
	s_mul_i32 s15, s9, 0x84
	v_add_u32_e32 v6, 0x1000, v3
	v_mov_b32_e32 v3, s15
	s_lshl_b32 s18, s9, 7
	ds_read_b32 v7, v3
	s_addk_i32 s18, 0xff80
	v_lshl_or_b32 v5, v0, 2, s18
	ds_read_b32 v3, v5 offset:4096
	s_cmp_le_i32 s26, s9
	s_waitcnt lgkmcnt(1)
	v_mul_f32_e32 v4, v7, v4
	ds_write_b32 v6, v4
	v_mov_b32_e32 v4, v1
	s_mov_b32 s18, s14
	s_mov_b32 s19, s26
	s_cbranch_scc1 .LBB36_65
.LBB36_69:                              ;   Parent Loop BB36_66 Depth=1
                                        ; =>  This Inner Loop Header: Depth=2
	v_mov_b32_e32 v7, s18
	ds_read_b32 v6, v4
	ds_read_b32 v7, v7
	s_add_i32 s19, s19, -1
	s_addk_i32 s18, 0xff80
	v_add_u32_e32 v4, 0xffffff80, v4
	s_cmp_gt_i32 s19, s9
	s_waitcnt lgkmcnt(0)
	v_fma_f32 v3, -v6, v7, v3
	s_cbranch_scc1 .LBB36_69
	s_branch .LBB36_65
.LBB36_70:
	s_waitcnt lgkmcnt(0)
	; wave barrier
	s_waitcnt lgkmcnt(0)
	s_and_saveexec_b64 s[8:9], s[12:13]
	s_cbranch_execz .LBB36_82
; %bb.71:
	s_cmp_lt_i32 s10, 2
	s_cbranch_scc1 .LBB36_79
; %bb.72:
	s_add_i32 s8, s26, -2
	s_lshr_b32 s9, s8, 1
	s_add_i32 s9, s9, 1
	s_mov_b32 s10, 0
	s_mov_b32 s6, 1
	s_cmp_lt_u32 s8, 14
	s_mov_b32 s8, s10
	s_cbranch_scc1 .LBB36_75
; %bb.73:
	s_mul_i32 s8, s1, s7
	s_mul_hi_u32 s10, s0, s7
	s_add_i32 s15, s10, s8
	s_mul_i32 s14, s0, s7
	s_lshl_b64 s[18:19], s[4:5], 2
	v_lshlrev_b32_e32 v1, 2, v0
	s_and_b32 s12, s9, -8
	s_lshl_b64 s[14:15], s[14:15], 2
	v_mov_b32_e32 v2, s19
	v_add_co_u32_e32 v1, vcc, s18, v1
	s_lshl_b64 s[18:19], s[16:17], 2
	s_add_u32 s8, s2, s18
	s_addc_u32 s10, s3, s19
	s_add_u32 s14, s8, s14
	s_addc_u32 s15, s10, s15
	v_addc_co_u32_e32 v4, vcc, 0, v2, vcc
	v_pk_mov_b32 v[2:3], s[14:15], s[14:15] op_sel:[0,1]
	v_mad_u64_u32 v[2:3], s[14:15], v1, s22, v[2:3]
	v_mul_lo_u32 v1, v1, s11
	v_mul_lo_u32 v4, v4, s22
	v_add3_u32 v1, v4, v3, v1
	v_add_co_u32_e32 v2, vcc, 56, v2
	v_addc_co_u32_e32 v3, vcc, 0, v1, vcc
	s_mov_b32 s8, 0
	s_mov_b32 s10, 0
.LBB36_74:                              ; =>This Inner Loop Header: Depth=1
	s_lshl_b32 s13, s10, 5
	s_lshl_b32 s14, s6, 5
	v_or_b32_e32 v4, s13, v0
	s_add_i32 s15, s13, 64
	s_add_i32 s18, s14, 64
	;; [unrolled: 1-line block ×7, first 2 shown]
	s_addk_i32 s13, 0x1c0
	v_or_b32_e32 v1, s14, v0
	s_add_i32 s20, s14, 0x80
	s_add_i32 s23, s14, 0xc0
	;; [unrolled: 1-line block ×5, first 2 shown]
	s_addk_i32 s14, 0x1c0
	v_or_b32_e32 v5, s18, v0
	v_or_b32_e32 v6, s15, v0
	;; [unrolled: 1-line block ×8, first 2 shown]
	v_lshlrev_b32_e32 v4, 2, v4
	v_or_b32_e32 v7, s20, v0
	v_or_b32_e32 v9, s23, v0
	;; [unrolled: 1-line block ×6, first 2 shown]
	v_lshlrev_b32_e32 v6, 2, v6
	v_lshlrev_b32_e32 v19, 2, v5
	v_lshlrev_b32_e32 v8, 2, v8
	v_lshlrev_b32_e32 v10, 2, v10
	v_lshlrev_b32_e32 v12, 2, v12
	v_lshlrev_b32_e32 v14, 2, v14
	v_lshlrev_b32_e32 v16, 2, v16
	v_lshlrev_b32_e32 v18, 2, v18
	v_lshlrev_b32_e32 v1, 2, v1
	v_lshlrev_b32_e32 v20, 2, v7
	v_lshlrev_b32_e32 v21, 2, v9
	v_lshlrev_b32_e32 v22, 2, v11
	v_lshlrev_b32_e32 v23, 2, v13
	v_lshlrev_b32_e32 v24, 2, v15
	v_lshlrev_b32_e32 v25, 2, v17
	ds_read_b32 v4, v4 offset:4096
	ds_read_b32 v5, v1 offset:4096
	;; [unrolled: 1-line block ×16, first 2 shown]
	s_add_i32 s8, s8, 16
	s_add_i32 s6, s6, 16
	;; [unrolled: 1-line block ×3, first 2 shown]
	s_add_i32 s12, s12, -8
	s_waitcnt lgkmcnt(12)
	global_store_dwordx4 v[2:3], v[4:7], off offset:-56
	s_waitcnt lgkmcnt(8)
	global_store_dwordx4 v[2:3], v[8:11], off offset:-40
	;; [unrolled: 2-line block ×4, first 2 shown]
	v_add_co_u32_e32 v2, vcc, 64, v2
	s_cmp_lg_u32 s12, 0
	v_addc_co_u32_e32 v3, vcc, 0, v3, vcc
	s_cbranch_scc1 .LBB36_74
.LBB36_75:
	s_and_b32 s12, s9, 7
	s_cmp_eq_u32 s12, 0
	s_mov_b32 s9, 0
	s_cbranch_scc1 .LBB36_78
; %bb.76:
	s_mul_i32 s13, s1, s7
	s_mul_hi_u32 s14, s0, s7
	s_add_i32 s15, s14, s13
	s_mul_i32 s14, s0, s7
	s_lshl_b64 s[18:19], s[4:5], 2
	v_lshlrev_b32_e32 v1, 2, v0
	s_lshl_b64 s[14:15], s[14:15], 2
	v_mov_b32_e32 v2, s19
	v_add_co_u32_e32 v4, vcc, s18, v1
	s_lshl_b64 s[18:19], s[16:17], 2
	s_lshl_b64 s[8:9], s[8:9], 2
	s_add_u32 s8, s2, s8
	s_addc_u32 s9, s3, s9
	s_add_u32 s8, s8, s18
	s_addc_u32 s9, s9, s19
	;; [unrolled: 2-line block ×3, first 2 shown]
	v_addc_co_u32_e32 v5, vcc, 0, v2, vcc
	v_pk_mov_b32 v[2:3], s[8:9], s[8:9] op_sel:[0,1]
	v_mad_u64_u32 v[2:3], s[8:9], v4, s22, v[2:3]
	v_mul_lo_u32 v4, v4, s11
	v_mul_lo_u32 v5, v5, s22
	v_add3_u32 v3, v5, v3, v4
	s_lshl_b32 s8, s12, 3
.LBB36_77:                              ; =>This Inner Loop Header: Depth=1
	v_lshl_or_b32 v4, s10, 7, v1
	v_lshl_or_b32 v5, s6, 7, v1
	ds_read_b32 v4, v4 offset:4096
	ds_read_b32 v5, v5 offset:4096
	s_add_i32 s6, s6, 2
	s_add_i32 s10, s10, 2
	s_add_i32 s8, s8, -8
	s_cmp_lg_u32 s8, 0
	s_waitcnt lgkmcnt(0)
	global_store_dwordx2 v[2:3], v[4:5], off
	v_add_co_u32_e32 v2, vcc, 8, v2
	v_addc_co_u32_e32 v3, vcc, 0, v3, vcc
	s_cbranch_scc1 .LBB36_77
.LBB36_78:
	s_and_b32 s10, s26, 62
	s_cmp_lg_u32 s26, s10
	s_cselect_b64 s[8:9], -1, 0
	s_and_b64 vcc, exec, s[8:9]
	s_cbranch_vccnz .LBB36_80
	s_branch .LBB36_82
.LBB36_79:
	s_mov_b32 s10, 0
	s_cbranch_execz .LBB36_82
.LBB36_80:
	v_lshlrev_b32_e32 v0, 2, v0
	s_mul_i32 s1, s1, s7
	s_mul_hi_u32 s8, s0, s7
	v_lshl_or_b32 v1, s10, 7, v0
	s_add_i32 s1, s8, s1
	s_mul_i32 s0, s0, s7
	s_lshl_b64 s[4:5], s[4:5], 2
	v_add_u32_e32 v2, 0x1000, v1
	s_sub_i32 s6, s26, s10
	s_lshl_b64 s[0:1], s[0:1], 2
	v_mov_b32_e32 v1, s5
	v_add_co_u32_e32 v3, vcc, s4, v0
	s_lshl_b64 s[4:5], s[16:17], 2
	s_lshl_b32 s7, s10, 2
	s_add_u32 s2, s2, s7
	s_addc_u32 s3, s3, 0
	s_add_u32 s2, s2, s4
	s_addc_u32 s3, s3, s5
	s_add_u32 s0, s2, s0
	s_addc_u32 s1, s3, s1
	v_addc_co_u32_e32 v4, vcc, 0, v1, vcc
	v_pk_mov_b32 v[0:1], s[0:1], s[0:1] op_sel:[0,1]
	v_mad_u64_u32 v[0:1], s[0:1], v3, s22, v[0:1]
	v_mul_lo_u32 v3, v3, s11
	v_mul_lo_u32 v4, v4, s22
	v_add3_u32 v1, v4, v1, v3
.LBB36_81:                              ; =>This Inner Loop Header: Depth=1
	ds_read_b32 v3, v2
	s_add_i32 s6, s6, -1
	v_add_u32_e32 v2, 0x80, v2
	s_cmp_lg_u32 s6, 0
	s_waitcnt lgkmcnt(0)
	global_store_dword v[0:1], v3, off
	v_add_co_u32_e32 v0, vcc, 4, v0
	v_addc_co_u32_e32 v1, vcc, 0, v1, vcc
	s_cbranch_scc1 .LBB36_81
.LBB36_82:
	s_endpgm
	.section	.rodata,"a",@progbits
	.p2align	6, 0x0
	.amdhsa_kernel _ZL38rocblas_trsm_small_left_device_sharedBILi32ELi32ELb0EffPKfPfEv13rocblas_fill_18rocblas_operation_17rocblas_diagonal_iiT3_T4_lilT5_lili
		.amdhsa_group_segment_fixed_size 8192
		.amdhsa_private_segment_fixed_size 0
		.amdhsa_kernarg_size 352
		.amdhsa_user_sgpr_count 6
		.amdhsa_user_sgpr_private_segment_buffer 1
		.amdhsa_user_sgpr_dispatch_ptr 0
		.amdhsa_user_sgpr_queue_ptr 0
		.amdhsa_user_sgpr_kernarg_segment_ptr 1
		.amdhsa_user_sgpr_dispatch_id 0
		.amdhsa_user_sgpr_flat_scratch_init 0
		.amdhsa_user_sgpr_kernarg_preload_length 0
		.amdhsa_user_sgpr_kernarg_preload_offset 0
		.amdhsa_user_sgpr_private_segment_size 0
		.amdhsa_uses_dynamic_stack 0
		.amdhsa_system_sgpr_private_segment_wavefront_offset 0
		.amdhsa_system_sgpr_workgroup_id_x 1
		.amdhsa_system_sgpr_workgroup_id_y 0
		.amdhsa_system_sgpr_workgroup_id_z 1
		.amdhsa_system_sgpr_workgroup_info 0
		.amdhsa_system_vgpr_workitem_id 0
		.amdhsa_next_free_vgpr 97
		.amdhsa_next_free_sgpr 50
		.amdhsa_accum_offset 100
		.amdhsa_reserve_vcc 1
		.amdhsa_reserve_flat_scratch 0
		.amdhsa_float_round_mode_32 0
		.amdhsa_float_round_mode_16_64 0
		.amdhsa_float_denorm_mode_32 3
		.amdhsa_float_denorm_mode_16_64 3
		.amdhsa_dx10_clamp 1
		.amdhsa_ieee_mode 1
		.amdhsa_fp16_overflow 0
		.amdhsa_tg_split 0
		.amdhsa_exception_fp_ieee_invalid_op 0
		.amdhsa_exception_fp_denorm_src 0
		.amdhsa_exception_fp_ieee_div_zero 0
		.amdhsa_exception_fp_ieee_overflow 0
		.amdhsa_exception_fp_ieee_underflow 0
		.amdhsa_exception_fp_ieee_inexact 0
		.amdhsa_exception_int_div_zero 0
	.end_amdhsa_kernel
	.section	.text._ZL38rocblas_trsm_small_left_device_sharedBILi32ELi32ELb0EffPKfPfEv13rocblas_fill_18rocblas_operation_17rocblas_diagonal_iiT3_T4_lilT5_lili,"axG",@progbits,_ZL38rocblas_trsm_small_left_device_sharedBILi32ELi32ELb0EffPKfPfEv13rocblas_fill_18rocblas_operation_17rocblas_diagonal_iiT3_T4_lilT5_lili,comdat
.Lfunc_end36:
	.size	_ZL38rocblas_trsm_small_left_device_sharedBILi32ELi32ELb0EffPKfPfEv13rocblas_fill_18rocblas_operation_17rocblas_diagonal_iiT3_T4_lilT5_lili, .Lfunc_end36-_ZL38rocblas_trsm_small_left_device_sharedBILi32ELi32ELb0EffPKfPfEv13rocblas_fill_18rocblas_operation_17rocblas_diagonal_iiT3_T4_lilT5_lili
                                        ; -- End function
	.section	.AMDGPU.csdata,"",@progbits
; Kernel info:
; codeLenInByte = 38092
; NumSgprs: 54
; NumVgprs: 97
; NumAgprs: 0
; TotalNumVgprs: 97
; ScratchSize: 0
; MemoryBound: 0
; FloatMode: 240
; IeeeMode: 1
; LDSByteSize: 8192 bytes/workgroup (compile time only)
; SGPRBlocks: 6
; VGPRBlocks: 12
; NumSGPRsForWavesPerEU: 54
; NumVGPRsForWavesPerEU: 97
; AccumOffset: 100
; Occupancy: 2
; WaveLimiterHint : 0
; COMPUTE_PGM_RSRC2:SCRATCH_EN: 0
; COMPUTE_PGM_RSRC2:USER_SGPR: 6
; COMPUTE_PGM_RSRC2:TRAP_HANDLER: 0
; COMPUTE_PGM_RSRC2:TGID_X_EN: 1
; COMPUTE_PGM_RSRC2:TGID_Y_EN: 0
; COMPUTE_PGM_RSRC2:TGID_Z_EN: 1
; COMPUTE_PGM_RSRC2:TIDIG_COMP_CNT: 0
; COMPUTE_PGM_RSRC3_GFX90A:ACCUM_OFFSET: 24
; COMPUTE_PGM_RSRC3_GFX90A:TG_SPLIT: 0
	.section	.text._ZL30rocblas_trsm_small_left_deviceILi32ELi32ELb0EffPKfPfEv13rocblas_fill_18rocblas_operation_17rocblas_diagonal_iiT3_T4_lilT5_lili,"axG",@progbits,_ZL30rocblas_trsm_small_left_deviceILi32ELi32ELb0EffPKfPfEv13rocblas_fill_18rocblas_operation_17rocblas_diagonal_iiT3_T4_lilT5_lili,comdat
	.globl	_ZL30rocblas_trsm_small_left_deviceILi32ELi32ELb0EffPKfPfEv13rocblas_fill_18rocblas_operation_17rocblas_diagonal_iiT3_T4_lilT5_lili ; -- Begin function _ZL30rocblas_trsm_small_left_deviceILi32ELi32ELb0EffPKfPfEv13rocblas_fill_18rocblas_operation_17rocblas_diagonal_iiT3_T4_lilT5_lili
	.p2align	8
	.type	_ZL30rocblas_trsm_small_left_deviceILi32ELi32ELb0EffPKfPfEv13rocblas_fill_18rocblas_operation_17rocblas_diagonal_iiT3_T4_lilT5_lili,@function
_ZL30rocblas_trsm_small_left_deviceILi32ELi32ELb0EffPKfPfEv13rocblas_fill_18rocblas_operation_17rocblas_diagonal_iiT3_T4_lilT5_lili: ; @_ZL30rocblas_trsm_small_left_deviceILi32ELi32ELb0EffPKfPfEv13rocblas_fill_18rocblas_operation_17rocblas_diagonal_iiT3_T4_lilT5_lili
; %bb.0:
	s_load_dwordx4 s[8:11], s[4:5], 0x4
	s_load_dword s16, s[4:5], 0x14
	s_load_dwordx4 s[0:3], s[4:5], 0x30
	s_load_dwordx2 s[20:21], s[4:5], 0x40
	s_mov_b32 s19, 0
	s_waitcnt lgkmcnt(0)
	s_min_i32 s18, s10, 32
	v_cmp_gt_i32_e32 vcc, s18, v0
	s_and_saveexec_b64 s[22:23], vcc
	s_cbranch_execz .LBB37_15
; %bb.1:
	s_load_dword s24, s[4:5], 0x28
	s_load_dwordx4 s[12:15], s[4:5], 0x18
	s_cmp_gt_u32 s18, 1
	s_cselect_b64 s[26:27], -1, 0
	s_mov_b32 s17, 1
	s_waitcnt lgkmcnt(0)
	s_cmp_eq_u32 s24, 1
	s_cselect_b64 s[28:29], -1, 0
	s_and_b64 s[28:29], s[26:27], s[28:29]
	s_mov_b64 s[26:27], -1
	s_and_b64 vcc, exec, s[28:29]
	s_cbranch_vccz .LBB37_9
; %bb.2:
	s_add_i32 s26, s18, -2
	s_lshr_b32 s25, s26, 1
	s_add_i32 s25, s25, 1
	s_cmp_lt_u32 s26, 14
	s_mov_b32 s26, s19
	s_cbranch_scc1 .LBB37_5
; %bb.3:
	s_mul_i32 s17, s1, s7
	s_mul_hi_u32 s19, s0, s7
	s_add_i32 s29, s19, s17
	s_mul_i32 s28, s0, s7
	s_and_b32 s27, s25, -8
	s_lshl_b64 s[28:29], s[28:29], 2
	s_lshl_b64 s[30:31], s[14:15], 2
	s_add_u32 s17, s28, s30
	s_addc_u32 s19, s29, s31
	s_add_u32 s17, s12, s17
	v_lshlrev_b32_e32 v1, 2, v0
	s_addc_u32 s19, s13, s19
	v_mov_b32_e32 v2, s19
	v_add_co_u32_e32 v1, vcc, s17, v1
	v_addc_co_u32_e32 v3, vcc, 0, v2, vcc
	v_add_co_u32_e32 v2, vcc, 56, v1
	v_addc_co_u32_e32 v3, vcc, 0, v3, vcc
	s_mov_b32 s17, 1
	s_mov_b32 s26, 0
	s_mov_b32 s19, 0
.LBB37_4:                               ; =>This Inner Loop Header: Depth=1
	global_load_dwordx4 v[4:7], v[2:3], off offset:-56
	global_load_dwordx4 v[8:11], v[2:3], off offset:-40
	;; [unrolled: 1-line block ×4, first 2 shown]
	s_lshl_b32 s28, s19, 5
	s_lshl_b32 s29, s17, 5
	s_add_i32 s26, s26, 16
	s_add_i32 s17, s17, 16
	;; [unrolled: 1-line block ×3, first 2 shown]
	s_add_i32 s27, s27, -8
	v_add_co_u32_e32 v2, vcc, 64, v2
	v_or_b32_e32 v1, s29, v0
	v_or_b32_e32 v20, s28, v0
	s_add_i32 s30, s28, 64
	s_add_i32 s31, s29, 64
	;; [unrolled: 1-line block ×12, first 2 shown]
	s_addk_i32 s28, 0x1c0
	s_addk_i32 s29, 0x1c0
	v_addc_co_u32_e32 v3, vcc, 0, v3, vcc
	v_lshlrev_b32_e32 v20, 2, v20
	v_or_b32_e32 v21, s31, v0
	v_or_b32_e32 v22, s30, v0
	;; [unrolled: 1-line block ×14, first 2 shown]
	s_cmp_lg_u32 s27, 0
	v_lshlrev_b32_e32 v1, 2, v1
	v_lshlrev_b32_e32 v22, 2, v22
	;; [unrolled: 1-line block ×15, first 2 shown]
	s_waitcnt vmcnt(3)
	ds_write_b32 v20, v4
	ds_write_b32 v1, v5
	ds_write_b32 v22, v6
	ds_write_b32 v21, v7
	s_waitcnt vmcnt(2)
	ds_write_b32 v24, v8
	ds_write_b32 v23, v9
	ds_write_b32 v26, v10
	ds_write_b32 v25, v11
	;; [unrolled: 5-line block ×4, first 2 shown]
	s_cbranch_scc1 .LBB37_4
.LBB37_5:
	s_and_b32 s25, s25, 7
	s_cmp_eq_u32 s25, 0
	s_mov_b32 s27, 0
	s_cbranch_scc1 .LBB37_8
; %bb.6:
	s_mul_i32 s28, s1, s7
	s_mul_hi_u32 s29, s0, s7
	s_add_i32 s29, s29, s28
	s_mul_i32 s28, s0, s7
	s_lshl_b64 s[28:29], s[28:29], 2
	s_lshl_b64 s[30:31], s[14:15], 2
	s_add_u32 s28, s28, s30
	s_addc_u32 s29, s29, s31
	s_lshl_b64 s[26:27], s[26:27], 2
	s_add_u32 s26, s12, s26
	s_addc_u32 s27, s13, s27
	s_add_u32 s26, s26, s28
	v_lshlrev_b32_e32 v1, 2, v0
	s_addc_u32 s27, s27, s29
	v_mov_b32_e32 v3, s27
	v_add_co_u32_e32 v2, vcc, s26, v1
	v_addc_co_u32_e32 v3, vcc, 0, v3, vcc
	s_lshl_b32 s25, s25, 3
.LBB37_7:                               ; =>This Inner Loop Header: Depth=1
	global_load_dwordx2 v[4:5], v[2:3], off
	v_lshl_or_b32 v6, s19, 7, v1
	v_lshl_or_b32 v7, s17, 7, v1
	s_add_i32 s17, s17, 2
	s_add_i32 s19, s19, 2
	v_add_co_u32_e32 v2, vcc, 8, v2
	s_add_i32 s25, s25, -8
	v_addc_co_u32_e32 v3, vcc, 0, v3, vcc
	s_cmp_lg_u32 s25, 0
	s_waitcnt vmcnt(0)
	ds_write_b32 v6, v4
	ds_write_b32 v7, v5
	s_cbranch_scc1 .LBB37_7
.LBB37_8:
	s_and_b32 s19, s18, -2
	s_cmp_lg_u32 s18, s19
	s_cselect_b64 s[26:27], -1, 0
.LBB37_9:
	s_and_b64 vcc, exec, s[26:27]
	s_cbranch_vccz .LBB37_12
; %bb.10:
	s_ashr_i32 s25, s24, 31
	s_mul_i32 s1, s1, s7
	s_mul_hi_u32 s17, s0, s7
	s_add_i32 s1, s17, s1
	s_mul_hi_u32 s17, s24, s19
	s_mul_i32 s26, s25, s19
	s_mul_i32 s0, s0, s7
	s_add_i32 s27, s17, s26
	s_mul_i32 s26, s24, s19
	s_lshl_b64 s[0:1], s[0:1], 2
	s_lshl_b64 s[26:27], s[26:27], 2
	s_add_u32 s17, s0, s26
	s_addc_u32 s26, s1, s27
	s_lshl_b64 s[0:1], s[14:15], 2
	s_add_u32 s0, s17, s0
	s_addc_u32 s1, s26, s1
	s_add_u32 s0, s12, s0
	v_lshlrev_b32_e32 v1, 2, v0
	s_addc_u32 s1, s13, s1
	v_mov_b32_e32 v3, s1
	v_add_co_u32_e32 v2, vcc, s0, v1
	s_lshl_b64 s[0:1], s[24:25], 2
	v_addc_co_u32_e32 v3, vcc, 0, v3, vcc
	v_lshl_or_b32 v1, s19, 7, v1
	s_sub_i32 s12, s18, s19
	v_mov_b32_e32 v4, s1
.LBB37_11:                              ; =>This Inner Loop Header: Depth=1
	global_load_dword v5, v[2:3], off
	v_add_co_u32_e32 v2, vcc, s0, v2
	s_add_i32 s12, s12, -1
	v_addc_co_u32_e32 v3, vcc, v3, v4, vcc
	s_cmp_eq_u32 s12, 0
	s_waitcnt vmcnt(0)
	ds_write_b32 v1, v5
	v_add_u32_e32 v1, 0x80, v1
	s_cbranch_scc0 .LBB37_11
.LBB37_12:
	v_mul_u32_u24_e32 v1, 33, v0
	s_cmpk_lg_i32 s9, 0x84
	v_lshlrev_b32_e32 v1, 2, v1
	v_mov_b32_e32 v2, 1.0
	s_cbranch_scc0 .LBB37_14
; %bb.13:
	ds_read_b32 v2, v1
	s_waitcnt lgkmcnt(0)
	v_div_scale_f32 v3, s[0:1], v2, v2, 1.0
	v_rcp_f32_e32 v4, v3
	v_div_scale_f32 v5, vcc, 1.0, v2, 1.0
	v_fma_f32 v6, -v3, v4, 1.0
	v_fmac_f32_e32 v4, v6, v4
	v_mul_f32_e32 v6, v5, v4
	v_fma_f32 v7, -v3, v6, v5
	v_fmac_f32_e32 v6, v7, v4
	v_fma_f32 v3, -v3, v6, v5
	v_div_fmas_f32 v3, v3, v4, v6
	v_div_fixup_f32 v2, v3, v2, 1.0
.LBB37_14:
	ds_write_b32 v1, v2
.LBB37_15:
	s_or_b64 exec, exec, s[22:23]
	s_load_dword s0, s[4:5], 0x60
	s_lshl_b32 s9, s6, 5
	s_sub_i32 s1, s11, s9
	s_waitcnt lgkmcnt(0)
	; wave barrier
	s_waitcnt lgkmcnt(0)
	s_add_i32 s0, s0, -1
	s_cmp_ge_u32 s6, s0
	s_cselect_b32 s0, s1, 32
	v_cmp_gt_i32_e32 vcc, s0, v0
	s_and_saveexec_b64 s[0:1], vcc
	s_cbranch_execz .LBB37_66
; %bb.16:
	s_load_dwordx2 s[0:1], s[4:5], 0x50
	s_load_dword s6, s[4:5], 0x48
	v_add_u32_e32 v0, s9, v0
	s_waitcnt lgkmcnt(0)
	s_mul_i32 s1, s7, s1
	s_mul_hi_u32 s4, s7, s0
	s_mul_i32 s0, s7, s0
	s_add_i32 s1, s4, s1
	s_lshl_b64 s[0:1], s[0:1], 2
	s_add_u32 s7, s2, s0
	s_addc_u32 s11, s3, s1
	s_lshl_b64 s[4:5], s[20:21], 2
	s_add_u32 s12, s7, s4
	v_mad_i64_i32 v[0:1], s[6:7], s6, v0, 0
	s_addc_u32 s11, s11, s5
	v_lshlrev_b64 v[34:35], 2, v[0:1]
	v_mov_b32_e32 v0, s11
	v_add_co_u32_e32 v32, vcc, s12, v34
	v_addc_co_u32_e32 v33, vcc, v0, v35, vcc
	s_cmpk_eq_i32 s8, 0x6f
	s_mov_b64 s[6:7], -1
	s_cbranch_scc1 .LBB37_40
; %bb.17:
	s_cmp_lt_i32 s10, 32
	s_cselect_b64 s[8:9], -1, 0
	s_cmp_gt_i32 s10, 31
	s_mov_b32 s6, 0
	s_cbranch_scc0 .LBB37_19
; %bb.18:
	global_load_dwordx4 v[4:7], v[32:33], off
	global_load_dwordx4 v[8:11], v[32:33], off offset:16
	global_load_dwordx4 v[12:15], v[32:33], off offset:32
	;; [unrolled: 1-line block ×7, first 2 shown]
	v_mov_b32_e32 v36, 0
	ds_read_b32 v37, v36
	ds_read_b64 v[90:91], v36 offset:128
	ds_read_b96 v[82:84], v36 offset:256
	ds_read_b128 v[38:41], v36 offset:384
	ds_read_b128 v[42:45], v36 offset:512
	ds_read_b32 v85, v36 offset:528
	ds_read_b128 v[46:49], v36 offset:640
	ds_read_b64 v[92:93], v36 offset:656
	ds_read_b128 v[50:53], v36 offset:768
	ds_read_b96 v[86:88], v36 offset:784
	ds_read_b128 v[54:57], v36 offset:896
	ds_read_b128 v[58:61], v36 offset:912
	;; [unrolled: 1-line block ×4, first 2 shown]
	ds_read_b32 v89, v36 offset:1056
	ds_read_b128 v[70:73], v36 offset:1152
	ds_read_b128 v[74:77], v36 offset:1168
	ds_read_b64 v[94:95], v36 offset:1184
	ds_read_b128 v[78:81], v36 offset:1280
	s_mov_b32 s6, 32
	s_waitcnt vmcnt(7)
	v_mul_f32_e32 v4, s16, v4
	s_waitcnt lgkmcnt(14)
	v_mul_f32_e32 v4, v37, v4
	v_mul_f32_e32 v37, v4, v90
	;; [unrolled: 1-line block ×3, first 2 shown]
	v_fma_f32 v5, v5, s16, -v37
	v_mul_f32_e32 v38, v4, v38
	v_fma_f32 v6, v6, s16, -v82
	v_mul_f32_e32 v5, v91, v5
	v_mul_f32_e32 v42, v4, v42
	v_fma_f32 v7, v7, s16, -v38
	v_fma_f32 v6, -v5, v83, v6
	s_waitcnt lgkmcnt(12)
	v_mul_f32_e32 v46, v4, v46
	s_waitcnt vmcnt(6)
	v_fma_f32 v8, v8, s16, -v42
	v_fma_f32 v7, -v5, v39, v7
	v_mul_f32_e32 v6, v84, v6
	s_waitcnt lgkmcnt(10)
	v_mul_f32_e32 v50, v4, v50
	v_fma_f32 v9, v9, s16, -v46
	v_fma_f32 v8, -v5, v43, v8
	v_fma_f32 v7, -v6, v40, v7
	s_waitcnt lgkmcnt(8)
	v_mul_f32_e32 v54, v4, v54
	v_fma_f32 v10, v10, s16, -v50
	v_fma_f32 v9, -v5, v47, v9
	v_fma_f32 v8, -v6, v44, v8
	v_mul_f32_e32 v7, v41, v7
	s_waitcnt lgkmcnt(6)
	v_mul_f32_e32 v62, v4, v62
	s_waitcnt lgkmcnt(0)
	v_mul_f32_e32 v78, v4, v78
	v_fma_f32 v11, v11, s16, -v54
	v_fma_f32 v10, -v5, v51, v10
	v_fma_f32 v9, -v6, v48, v9
	;; [unrolled: 1-line block ×3, first 2 shown]
	ds_read_b128 v[38:41], v36 offset:1296
	ds_read_b96 v[42:44], v36 offset:1312
	v_mul_f32_e32 v70, v4, v70
	s_waitcnt vmcnt(5)
	v_fma_f32 v12, v12, s16, -v62
	v_fma_f32 v14, v14, s16, -v78
	v_fma_f32 v11, -v5, v55, v11
	v_fma_f32 v10, -v6, v52, v10
	;; [unrolled: 1-line block ×3, first 2 shown]
	v_mul_f32_e32 v8, v85, v8
	v_fma_f32 v13, v13, s16, -v70
	v_fma_f32 v12, -v5, v63, v12
	v_fma_f32 v14, -v5, v79, v14
	v_fma_f32 v11, -v6, v56, v11
	v_fma_f32 v10, -v7, v53, v10
	v_fma_f32 v9, -v8, v92, v9
	v_fma_f32 v13, -v5, v71, v13
	v_fma_f32 v12, -v6, v64, v12
	v_fma_f32 v14, -v6, v80, v14
	v_fma_f32 v11, -v7, v57, v11
	v_fma_f32 v10, -v8, v86, v10
	v_mul_f32_e32 v9, v93, v9
	v_fma_f32 v13, -v6, v72, v13
	v_fma_f32 v12, -v7, v65, v12
	;; [unrolled: 1-line block ×8, first 2 shown]
	v_mul_f32_e32 v10, v88, v10
	s_waitcnt lgkmcnt(1)
	v_fma_f32 v14, -v8, v38, v14
	v_fma_f32 v13, -v8, v74, v13
	;; [unrolled: 1-line block ×7, first 2 shown]
	v_mul_f32_e32 v11, v61, v11
	v_fma_f32 v14, -v10, v40, v14
	v_fma_f32 v13, -v10, v76, v13
	v_fma_f32 v12, -v11, v69, v12
	v_fma_f32 v14, -v11, v41, v14
	ds_read_b128 v[38:41], v36 offset:1408
	v_fma_f32 v13, -v11, v77, v13
	v_mul_f32_e32 v12, v89, v12
	v_fma_f32 v13, -v12, v94, v13
	v_mul_f32_e32 v13, v95, v13
	s_waitcnt lgkmcnt(1)
	v_fma_f32 v14, -v12, v42, v14
	v_fma_f32 v14, -v13, v43, v14
	v_mul_f32_e32 v14, v44, v14
	ds_read_b128 v[42:45], v36 offset:1424
	s_waitcnt lgkmcnt(1)
	v_mul_f32_e32 v37, v4, v38
	v_fma_f32 v15, v15, s16, -v37
	v_fma_f32 v15, -v5, v39, v15
	v_fma_f32 v15, -v6, v40, v15
	;; [unrolled: 1-line block ×3, first 2 shown]
	s_waitcnt lgkmcnt(0)
	v_fma_f32 v15, -v8, v42, v15
	ds_read_b128 v[38:41], v36 offset:1440
	v_fma_f32 v15, -v9, v43, v15
	v_fma_f32 v15, -v10, v44, v15
	;; [unrolled: 1-line block ×3, first 2 shown]
	ds_read_b128 v[42:45], v36 offset:1536
	s_waitcnt lgkmcnt(1)
	v_fma_f32 v15, -v12, v38, v15
	v_fma_f32 v15, -v13, v39, v15
	;; [unrolled: 1-line block ×3, first 2 shown]
	v_mul_f32_e32 v15, v41, v15
	s_waitcnt lgkmcnt(0)
	v_mul_f32_e32 v37, v4, v42
	ds_read_b128 v[38:41], v36 offset:1552
	s_waitcnt vmcnt(4)
	v_fma_f32 v16, v16, s16, -v37
	v_fma_f32 v16, -v5, v43, v16
	v_fma_f32 v16, -v6, v44, v16
	;; [unrolled: 1-line block ×3, first 2 shown]
	ds_read_b128 v[42:45], v36 offset:1568
	s_waitcnt lgkmcnt(1)
	v_fma_f32 v16, -v8, v38, v16
	v_fma_f32 v16, -v9, v39, v16
	global_store_dwordx4 v[32:33], v[4:7], off
	global_store_dwordx4 v[32:33], v[8:11], off offset:16
	global_store_dwordx4 v[32:33], v[12:15], off offset:32
	v_fma_f32 v16, -v10, v40, v16
	v_fma_f32 v16, -v11, v41, v16
	ds_read_b32 v37, v36 offset:1584
	ds_read_b128 v[38:41], v36 offset:1664
	s_waitcnt lgkmcnt(2)
	v_fma_f32 v16, -v12, v42, v16
	v_fma_f32 v16, -v13, v43, v16
	v_fma_f32 v16, -v14, v44, v16
	v_fma_f32 v16, -v15, v45, v16
	s_waitcnt lgkmcnt(1)
	v_mul_f32_e32 v16, v37, v16
	s_waitcnt lgkmcnt(0)
	v_mul_f32_e32 v37, v4, v38
	ds_read_b128 v[42:45], v36 offset:1680
	v_fma_f32 v17, v17, s16, -v37
	v_fma_f32 v17, -v5, v39, v17
	v_fma_f32 v17, -v6, v40, v17
	;; [unrolled: 1-line block ×3, first 2 shown]
	ds_read_b128 v[38:41], v36 offset:1696
	s_waitcnt lgkmcnt(1)
	v_fma_f32 v17, -v8, v42, v17
	v_fma_f32 v17, -v9, v43, v17
	;; [unrolled: 1-line block ×4, first 2 shown]
	ds_read_b64 v[46:47], v36 offset:1712
	ds_read_b128 v[42:45], v36 offset:1792
	s_waitcnt lgkmcnt(2)
	v_fma_f32 v17, -v12, v38, v17
	v_fma_f32 v17, -v13, v39, v17
	;; [unrolled: 1-line block ×4, first 2 shown]
	s_waitcnt lgkmcnt(0)
	v_mul_f32_e32 v37, v4, v42
	ds_read_b128 v[38:41], v36 offset:1808
	v_fma_f32 v18, v18, s16, -v37
	v_fma_f32 v18, -v5, v43, v18
	v_fma_f32 v18, -v6, v44, v18
	;; [unrolled: 1-line block ×3, first 2 shown]
	ds_read_b128 v[42:45], v36 offset:1824
	s_waitcnt lgkmcnt(1)
	v_fma_f32 v18, -v8, v38, v18
	v_fma_f32 v18, -v9, v39, v18
	;; [unrolled: 1-line block ×4, first 2 shown]
	v_mul_f32_e32 v17, v47, v17
	v_fma_f32 v18, -v11, v41, v18
	ds_read_b96 v[46:48], v36 offset:1840
	ds_read_b128 v[38:41], v36 offset:1920
	s_waitcnt lgkmcnt(2)
	v_fma_f32 v18, -v12, v42, v18
	v_fma_f32 v18, -v13, v43, v18
	;; [unrolled: 1-line block ×4, first 2 shown]
	s_waitcnt lgkmcnt(0)
	v_mul_f32_e32 v37, v4, v38
	ds_read_b128 v[42:45], v36 offset:1936
	v_fma_f32 v19, v19, s16, -v37
	v_fma_f32 v19, -v5, v39, v19
	v_fma_f32 v19, -v6, v40, v19
	;; [unrolled: 1-line block ×3, first 2 shown]
	ds_read_b128 v[38:41], v36 offset:1952
	s_waitcnt lgkmcnt(1)
	v_fma_f32 v19, -v8, v42, v19
	v_fma_f32 v19, -v9, v43, v19
	;; [unrolled: 1-line block ×4, first 2 shown]
	ds_read_b128 v[42:45], v36 offset:1968
	s_waitcnt lgkmcnt(1)
	v_fma_f32 v19, -v12, v38, v19
	v_fma_f32 v19, -v13, v39, v19
	;; [unrolled: 1-line block ×5, first 2 shown]
	ds_read_b128 v[38:41], v36 offset:2048
	v_fma_f32 v18, -v17, v47, v18
	s_waitcnt lgkmcnt(1)
	v_fma_f32 v19, -v16, v42, v19
	v_mul_f32_e32 v18, v48, v18
	v_fma_f32 v19, -v17, v43, v19
	v_fma_f32 v19, -v18, v44, v19
	v_mul_f32_e32 v19, v45, v19
	global_store_dwordx4 v[32:33], v[16:19], off offset:48
	s_waitcnt lgkmcnt(0)
	v_mul_f32_e32 v37, v4, v38
	ds_read_b128 v[42:45], v36 offset:2064
	ds_read_b128 v[46:49], v36 offset:2080
	s_waitcnt vmcnt(4)
	v_fma_f32 v24, v24, s16, -v37
	v_fma_f32 v24, -v5, v39, v24
	v_fma_f32 v24, -v6, v40, v24
	;; [unrolled: 1-line block ×3, first 2 shown]
	s_waitcnt lgkmcnt(1)
	v_fma_f32 v24, -v8, v42, v24
	v_fma_f32 v24, -v9, v43, v24
	;; [unrolled: 1-line block ×4, first 2 shown]
	ds_read_b128 v[38:41], v36 offset:2096
	ds_read_b32 v37, v36 offset:2112
	s_waitcnt lgkmcnt(2)
	v_fma_f32 v24, -v12, v46, v24
	v_fma_f32 v24, -v13, v47, v24
	;; [unrolled: 1-line block ×4, first 2 shown]
	ds_read_b128 v[42:45], v36 offset:2176
	s_waitcnt lgkmcnt(2)
	v_fma_f32 v24, -v16, v38, v24
	v_fma_f32 v24, -v17, v39, v24
	;; [unrolled: 1-line block ×4, first 2 shown]
	ds_read_b128 v[38:41], v36 offset:2192
	s_waitcnt lgkmcnt(2)
	v_mul_f32_e32 v24, v37, v24
	s_waitcnt lgkmcnt(1)
	v_mul_f32_e32 v37, v4, v42
	v_fma_f32 v25, v25, s16, -v37
	v_fma_f32 v25, -v5, v43, v25
	v_fma_f32 v25, -v6, v44, v25
	;; [unrolled: 1-line block ×3, first 2 shown]
	ds_read_b128 v[42:45], v36 offset:2208
	s_waitcnt lgkmcnt(1)
	v_fma_f32 v25, -v8, v38, v25
	v_fma_f32 v25, -v9, v39, v25
	;; [unrolled: 1-line block ×4, first 2 shown]
	ds_read_b128 v[38:41], v36 offset:2224
	s_waitcnt lgkmcnt(1)
	v_fma_f32 v25, -v12, v42, v25
	v_fma_f32 v25, -v13, v43, v25
	;; [unrolled: 1-line block ×4, first 2 shown]
	ds_read_b64 v[46:47], v36 offset:2240
	ds_read_b128 v[42:45], v36 offset:2304
	s_waitcnt lgkmcnt(2)
	v_fma_f32 v25, -v16, v38, v25
	v_fma_f32 v25, -v17, v39, v25
	;; [unrolled: 1-line block ×4, first 2 shown]
	s_waitcnt lgkmcnt(0)
	v_mul_f32_e32 v37, v4, v42
	ds_read_b128 v[38:41], v36 offset:2320
	v_fma_f32 v26, v26, s16, -v37
	v_fma_f32 v26, -v5, v43, v26
	v_fma_f32 v26, -v6, v44, v26
	;; [unrolled: 1-line block ×3, first 2 shown]
	ds_read_b128 v[42:45], v36 offset:2336
	s_waitcnt lgkmcnt(1)
	v_fma_f32 v26, -v8, v38, v26
	v_fma_f32 v26, -v9, v39, v26
	;; [unrolled: 1-line block ×4, first 2 shown]
	ds_read_b128 v[38:41], v36 offset:2352
	s_waitcnt lgkmcnt(1)
	v_fma_f32 v26, -v12, v42, v26
	v_fma_f32 v26, -v13, v43, v26
	v_fma_f32 v26, -v14, v44, v26
	ds_read_b96 v[42:44], v36 offset:2368
	v_fma_f32 v26, -v15, v45, v26
	s_waitcnt lgkmcnt(1)
	v_fma_f32 v26, -v16, v38, v26
	v_fma_f32 v26, -v17, v39, v26
	;; [unrolled: 1-line block ×4, first 2 shown]
	ds_read_b128 v[38:41], v36 offset:2432
	v_fma_f32 v25, -v24, v46, v25
	v_mul_f32_e32 v25, v47, v25
	s_waitcnt lgkmcnt(1)
	v_fma_f32 v26, -v24, v42, v26
	v_fma_f32 v26, -v25, v43, v26
	v_mul_f32_e32 v26, v44, v26
	ds_read_b128 v[42:45], v36 offset:2448
	s_waitcnt lgkmcnt(1)
	v_mul_f32_e32 v37, v4, v38
	v_fma_f32 v27, v27, s16, -v37
	v_fma_f32 v27, -v5, v39, v27
	v_fma_f32 v27, -v6, v40, v27
	v_fma_f32 v27, -v7, v41, v27
	ds_read_b128 v[38:41], v36 offset:2464
	s_waitcnt lgkmcnt(1)
	v_fma_f32 v27, -v8, v42, v27
	v_fma_f32 v27, -v9, v43, v27
	v_fma_f32 v27, -v10, v44, v27
	v_fma_f32 v27, -v11, v45, v27
	ds_read_b128 v[42:45], v36 offset:2480
	s_waitcnt lgkmcnt(1)
	v_fma_f32 v27, -v12, v38, v27
	;; [unrolled: 6-line block ×4, first 2 shown]
	v_fma_f32 v27, -v25, v39, v27
	v_fma_f32 v27, -v26, v40, v27
	v_mul_f32_e32 v27, v41, v27
	global_store_dwordx4 v[32:33], v[24:27], off offset:64
	s_waitcnt lgkmcnt(0)
	v_mul_f32_e32 v37, v4, v42
	ds_read_b128 v[38:41], v36 offset:2576
	ds_read_b128 v[46:49], v36 offset:2592
	v_fma_f32 v28, v28, s16, -v37
	v_fma_f32 v28, -v5, v43, v28
	v_fma_f32 v28, -v6, v44, v28
	;; [unrolled: 1-line block ×3, first 2 shown]
	s_waitcnt lgkmcnt(1)
	v_fma_f32 v28, -v8, v38, v28
	v_fma_f32 v28, -v9, v39, v28
	;; [unrolled: 1-line block ×4, first 2 shown]
	ds_read_b128 v[38:41], v36 offset:2608
	ds_read_b128 v[42:45], v36 offset:2624
	s_waitcnt lgkmcnt(2)
	v_fma_f32 v28, -v12, v46, v28
	v_fma_f32 v28, -v13, v47, v28
	;; [unrolled: 1-line block ×4, first 2 shown]
	s_waitcnt lgkmcnt(1)
	v_fma_f32 v28, -v16, v38, v28
	v_fma_f32 v28, -v17, v39, v28
	;; [unrolled: 1-line block ×4, first 2 shown]
	ds_read_b32 v37, v36 offset:2640
	ds_read_b128 v[38:41], v36 offset:2688
	s_waitcnt lgkmcnt(2)
	v_fma_f32 v28, -v24, v42, v28
	v_fma_f32 v28, -v25, v43, v28
	;; [unrolled: 1-line block ×4, first 2 shown]
	s_waitcnt lgkmcnt(1)
	v_mul_f32_e32 v28, v37, v28
	s_waitcnt lgkmcnt(0)
	v_mul_f32_e32 v37, v4, v38
	ds_read_b128 v[42:45], v36 offset:2704
	v_fma_f32 v29, v29, s16, -v37
	v_fma_f32 v29, -v5, v39, v29
	v_fma_f32 v29, -v6, v40, v29
	v_fma_f32 v29, -v7, v41, v29
	ds_read_b128 v[38:41], v36 offset:2720
	s_waitcnt lgkmcnt(1)
	v_fma_f32 v29, -v8, v42, v29
	v_fma_f32 v29, -v9, v43, v29
	v_fma_f32 v29, -v10, v44, v29
	v_fma_f32 v29, -v11, v45, v29
	ds_read_b128 v[42:45], v36 offset:2736
	s_waitcnt lgkmcnt(1)
	v_fma_f32 v29, -v12, v38, v29
	;; [unrolled: 6-line block ×3, first 2 shown]
	v_fma_f32 v29, -v17, v43, v29
	v_fma_f32 v29, -v18, v44, v29
	;; [unrolled: 1-line block ×3, first 2 shown]
	ds_read_b64 v[46:47], v36 offset:2768
	ds_read_b128 v[42:45], v36 offset:2816
	s_waitcnt lgkmcnt(2)
	v_fma_f32 v29, -v24, v38, v29
	v_fma_f32 v29, -v25, v39, v29
	v_fma_f32 v29, -v26, v40, v29
	v_fma_f32 v29, -v27, v41, v29
	s_waitcnt lgkmcnt(0)
	v_mul_f32_e32 v37, v4, v42
	ds_read_b128 v[38:41], v36 offset:2832
	v_fma_f32 v30, v30, s16, -v37
	v_fma_f32 v30, -v5, v43, v30
	v_fma_f32 v30, -v6, v44, v30
	v_fma_f32 v30, -v7, v45, v30
	ds_read_b128 v[42:45], v36 offset:2848
	s_waitcnt lgkmcnt(1)
	v_fma_f32 v30, -v8, v38, v30
	v_fma_f32 v30, -v9, v39, v30
	v_fma_f32 v30, -v10, v40, v30
	v_fma_f32 v30, -v11, v41, v30
	ds_read_b128 v[38:41], v36 offset:2864
	s_waitcnt lgkmcnt(1)
	v_fma_f32 v30, -v12, v42, v30
	;; [unrolled: 6-line block ×3, first 2 shown]
	v_fma_f32 v30, -v17, v39, v30
	v_fma_f32 v29, -v28, v46, v29
	;; [unrolled: 1-line block ×3, first 2 shown]
	v_mul_f32_e32 v29, v47, v29
	v_fma_f32 v30, -v19, v41, v30
	ds_read_b96 v[46:48], v36 offset:2896
	ds_read_b128 v[38:41], v36 offset:2944
	s_waitcnt lgkmcnt(2)
	v_fma_f32 v30, -v24, v42, v30
	v_fma_f32 v30, -v25, v43, v30
	;; [unrolled: 1-line block ×4, first 2 shown]
	s_waitcnt lgkmcnt(0)
	v_mul_f32_e32 v37, v4, v38
	ds_read_b128 v[42:45], v36 offset:2960
	v_fma_f32 v31, v31, s16, -v37
	v_fma_f32 v31, -v5, v39, v31
	v_fma_f32 v31, -v6, v40, v31
	v_fma_f32 v31, -v7, v41, v31
	ds_read_b128 v[38:41], v36 offset:2976
	s_waitcnt lgkmcnt(1)
	v_fma_f32 v31, -v8, v42, v31
	v_fma_f32 v31, -v9, v43, v31
	v_fma_f32 v31, -v10, v44, v31
	v_fma_f32 v31, -v11, v45, v31
	ds_read_b128 v[42:45], v36 offset:2992
	s_waitcnt lgkmcnt(1)
	v_fma_f32 v31, -v12, v38, v31
	;; [unrolled: 6-line block ×4, first 2 shown]
	v_fma_f32 v31, -v25, v39, v31
	v_fma_f32 v31, -v26, v40, v31
	;; [unrolled: 1-line block ×4, first 2 shown]
	ds_read_b128 v[38:41], v36 offset:3072
	v_fma_f32 v30, -v29, v47, v30
	s_waitcnt lgkmcnt(1)
	v_fma_f32 v31, -v28, v42, v31
	v_mul_f32_e32 v30, v48, v30
	v_fma_f32 v31, -v29, v43, v31
	v_fma_f32 v31, -v30, v44, v31
	v_mul_f32_e32 v31, v45, v31
	global_store_dwordx4 v[32:33], v[28:31], off offset:80
	s_waitcnt lgkmcnt(0)
	v_mul_f32_e32 v37, v4, v38
	ds_read_b128 v[42:45], v36 offset:3088
	ds_read_b128 v[46:49], v36 offset:3104
	v_fma_f32 v20, v20, s16, -v37
	v_fma_f32 v20, -v5, v39, v20
	v_fma_f32 v20, -v6, v40, v20
	;; [unrolled: 1-line block ×3, first 2 shown]
	s_waitcnt lgkmcnt(1)
	v_fma_f32 v20, -v8, v42, v20
	v_fma_f32 v20, -v9, v43, v20
	;; [unrolled: 1-line block ×4, first 2 shown]
	ds_read_b128 v[38:41], v36 offset:3120
	ds_read_b128 v[42:45], v36 offset:3136
	s_waitcnt lgkmcnt(2)
	v_fma_f32 v20, -v12, v46, v20
	v_fma_f32 v20, -v13, v47, v20
	;; [unrolled: 1-line block ×4, first 2 shown]
	s_waitcnt lgkmcnt(1)
	v_fma_f32 v20, -v16, v38, v20
	v_fma_f32 v20, -v17, v39, v20
	;; [unrolled: 1-line block ×4, first 2 shown]
	ds_read_b128 v[38:41], v36 offset:3152
	ds_read_b32 v37, v36 offset:3168
	s_waitcnt lgkmcnt(2)
	v_fma_f32 v20, -v24, v42, v20
	v_fma_f32 v20, -v25, v43, v20
	;; [unrolled: 1-line block ×4, first 2 shown]
	ds_read_b128 v[42:45], v36 offset:3200
	s_waitcnt lgkmcnt(2)
	v_fma_f32 v20, -v28, v38, v20
	v_fma_f32 v20, -v29, v39, v20
	;; [unrolled: 1-line block ×4, first 2 shown]
	ds_read_b128 v[38:41], v36 offset:3216
	s_waitcnt lgkmcnt(2)
	v_mul_f32_e32 v20, v37, v20
	s_waitcnt lgkmcnt(1)
	v_mul_f32_e32 v37, v4, v42
	v_fma_f32 v21, v21, s16, -v37
	v_fma_f32 v21, -v5, v43, v21
	v_fma_f32 v21, -v6, v44, v21
	v_fma_f32 v21, -v7, v45, v21
	ds_read_b128 v[42:45], v36 offset:3232
	s_waitcnt lgkmcnt(1)
	v_fma_f32 v21, -v8, v38, v21
	v_fma_f32 v21, -v9, v39, v21
	v_fma_f32 v21, -v10, v40, v21
	v_fma_f32 v21, -v11, v41, v21
	ds_read_b128 v[38:41], v36 offset:3248
	s_waitcnt lgkmcnt(1)
	v_fma_f32 v21, -v12, v42, v21
	;; [unrolled: 6-line block ×4, first 2 shown]
	v_fma_f32 v21, -v25, v43, v21
	v_fma_f32 v21, -v26, v44, v21
	;; [unrolled: 1-line block ×3, first 2 shown]
	ds_read_b64 v[46:47], v36 offset:3296
	ds_read_b128 v[42:45], v36 offset:3328
	s_waitcnt lgkmcnt(2)
	v_fma_f32 v21, -v28, v38, v21
	v_fma_f32 v21, -v29, v39, v21
	;; [unrolled: 1-line block ×4, first 2 shown]
	s_waitcnt lgkmcnt(0)
	v_mul_f32_e32 v37, v4, v42
	ds_read_b128 v[38:41], v36 offset:3344
	v_fma_f32 v22, v22, s16, -v37
	v_fma_f32 v22, -v5, v43, v22
	v_fma_f32 v22, -v6, v44, v22
	v_fma_f32 v22, -v7, v45, v22
	ds_read_b128 v[42:45], v36 offset:3360
	s_waitcnt lgkmcnt(1)
	v_fma_f32 v22, -v8, v38, v22
	v_fma_f32 v22, -v9, v39, v22
	v_fma_f32 v22, -v10, v40, v22
	v_fma_f32 v22, -v11, v41, v22
	ds_read_b128 v[38:41], v36 offset:3376
	s_waitcnt lgkmcnt(1)
	v_fma_f32 v22, -v12, v42, v22
	;; [unrolled: 6-line block ×4, first 2 shown]
	v_fma_f32 v22, -v25, v43, v22
	v_fma_f32 v22, -v26, v44, v22
	ds_read_b96 v[42:44], v36 offset:3424
	v_fma_f32 v22, -v27, v45, v22
	s_waitcnt lgkmcnt(1)
	v_fma_f32 v22, -v28, v38, v22
	v_fma_f32 v22, -v29, v39, v22
	;; [unrolled: 1-line block ×4, first 2 shown]
	ds_read_b128 v[38:41], v36 offset:3456
	v_fma_f32 v21, -v20, v46, v21
	v_mul_f32_e32 v21, v47, v21
	s_waitcnt lgkmcnt(1)
	v_fma_f32 v22, -v20, v42, v22
	v_fma_f32 v22, -v21, v43, v22
	v_mul_f32_e32 v22, v44, v22
	ds_read_b128 v[42:45], v36 offset:3472
	s_waitcnt lgkmcnt(1)
	v_mul_f32_e32 v37, v4, v38
	v_fma_f32 v23, v23, s16, -v37
	v_fma_f32 v23, -v5, v39, v23
	v_fma_f32 v23, -v6, v40, v23
	v_fma_f32 v23, -v7, v41, v23
	ds_read_b128 v[38:41], v36 offset:3488
	s_waitcnt lgkmcnt(1)
	v_fma_f32 v23, -v8, v42, v23
	v_fma_f32 v23, -v9, v43, v23
	v_fma_f32 v23, -v10, v44, v23
	v_fma_f32 v23, -v11, v45, v23
	ds_read_b128 v[42:45], v36 offset:3504
	s_waitcnt lgkmcnt(1)
	v_fma_f32 v23, -v12, v38, v23
	;; [unrolled: 6-line block ×6, first 2 shown]
	v_fma_f32 v23, -v21, v39, v23
	v_fma_f32 v23, -v22, v40, v23
	v_mul_f32_e32 v23, v41, v23
	global_store_dwordx4 v[32:33], v[20:23], off offset:96
	s_waitcnt lgkmcnt(0)
	v_mul_f32_e32 v37, v4, v42
	ds_read_b128 v[38:41], v36 offset:3600
	ds_read_b128 v[46:49], v36 offset:3616
	v_fma_f32 v0, v0, s16, -v37
	v_fma_f32 v0, -v5, v43, v0
	v_fma_f32 v0, -v6, v44, v0
	;; [unrolled: 1-line block ×3, first 2 shown]
	s_waitcnt lgkmcnt(1)
	v_fma_f32 v0, -v8, v38, v0
	v_fma_f32 v0, -v9, v39, v0
	;; [unrolled: 1-line block ×4, first 2 shown]
	ds_read_b128 v[38:41], v36 offset:3632
	ds_read_b128 v[42:45], v36 offset:3648
	s_waitcnt lgkmcnt(2)
	v_fma_f32 v0, -v12, v46, v0
	v_fma_f32 v0, -v13, v47, v0
	;; [unrolled: 1-line block ×4, first 2 shown]
	s_waitcnt lgkmcnt(1)
	v_fma_f32 v0, -v16, v38, v0
	v_fma_f32 v0, -v17, v39, v0
	;; [unrolled: 1-line block ×4, first 2 shown]
	ds_read_b128 v[38:41], v36 offset:3664
	s_waitcnt lgkmcnt(1)
	v_fma_f32 v0, -v24, v42, v0
	v_fma_f32 v0, -v25, v43, v0
	;; [unrolled: 1-line block ×4, first 2 shown]
	ds_read_b128 v[42:45], v36 offset:3680
	s_waitcnt lgkmcnt(1)
	v_fma_f32 v0, -v28, v38, v0
	v_fma_f32 v0, -v29, v39, v0
	;; [unrolled: 1-line block ×4, first 2 shown]
	ds_read_b32 v37, v36 offset:3696
	ds_read_b128 v[38:41], v36 offset:3712
	s_waitcnt lgkmcnt(2)
	v_fma_f32 v0, -v20, v42, v0
	v_fma_f32 v0, -v21, v43, v0
	v_fma_f32 v0, -v22, v44, v0
	v_fma_f32 v0, -v23, v45, v0
	s_waitcnt lgkmcnt(1)
	v_mul_f32_e32 v0, v37, v0
	s_waitcnt lgkmcnt(0)
	v_mul_f32_e32 v37, v4, v38
	ds_read_b128 v[42:45], v36 offset:3728
	v_fma_f32 v1, v1, s16, -v37
	v_fma_f32 v1, -v5, v39, v1
	v_fma_f32 v1, -v6, v40, v1
	v_fma_f32 v1, -v7, v41, v1
	ds_read_b128 v[38:41], v36 offset:3744
	s_waitcnt lgkmcnt(1)
	v_fma_f32 v1, -v8, v42, v1
	v_fma_f32 v1, -v9, v43, v1
	v_fma_f32 v1, -v10, v44, v1
	v_fma_f32 v1, -v11, v45, v1
	ds_read_b128 v[42:45], v36 offset:3760
	s_waitcnt lgkmcnt(1)
	v_fma_f32 v1, -v12, v38, v1
	;; [unrolled: 6-line block ×5, first 2 shown]
	v_fma_f32 v1, -v29, v43, v1
	v_fma_f32 v1, -v30, v44, v1
	;; [unrolled: 1-line block ×3, first 2 shown]
	ds_read_b64 v[46:47], v36 offset:3824
	ds_read_b128 v[42:45], v36 offset:3840
	s_waitcnt lgkmcnt(2)
	v_fma_f32 v1, -v20, v38, v1
	v_fma_f32 v1, -v21, v39, v1
	;; [unrolled: 1-line block ×4, first 2 shown]
	s_waitcnt lgkmcnt(0)
	v_mul_f32_e32 v37, v4, v42
	ds_read_b128 v[38:41], v36 offset:3856
	v_fma_f32 v2, v2, s16, -v37
	v_fma_f32 v2, -v5, v43, v2
	v_fma_f32 v2, -v6, v44, v2
	v_fma_f32 v2, -v7, v45, v2
	ds_read_b128 v[42:45], v36 offset:3872
	s_waitcnt lgkmcnt(1)
	v_fma_f32 v2, -v8, v38, v2
	v_fma_f32 v2, -v9, v39, v2
	v_fma_f32 v2, -v10, v40, v2
	v_fma_f32 v2, -v11, v41, v2
	ds_read_b128 v[38:41], v36 offset:3888
	s_waitcnt lgkmcnt(1)
	v_fma_f32 v2, -v12, v42, v2
	;; [unrolled: 6-line block ×5, first 2 shown]
	v_fma_f32 v2, -v29, v39, v2
	v_fma_f32 v1, -v0, v46, v1
	;; [unrolled: 1-line block ×3, first 2 shown]
	v_mul_f32_e32 v1, v47, v1
	v_fma_f32 v2, -v31, v41, v2
	ds_read_b96 v[46:48], v36 offset:3952
	ds_read_b128 v[38:41], v36 offset:3968
	s_waitcnt lgkmcnt(2)
	v_fma_f32 v2, -v20, v42, v2
	v_fma_f32 v2, -v21, v43, v2
	;; [unrolled: 1-line block ×4, first 2 shown]
	s_waitcnt lgkmcnt(0)
	v_mul_f32_e32 v4, v4, v38
	ds_read_b128 v[42:45], v36 offset:3984
	v_fma_f32 v3, v3, s16, -v4
	v_fma_f32 v3, -v5, v39, v3
	v_fma_f32 v3, -v6, v40, v3
	v_fma_f32 v3, -v7, v41, v3
	ds_read_b128 v[4:7], v36 offset:4000
	s_waitcnt lgkmcnt(1)
	v_fma_f32 v3, -v8, v42, v3
	v_fma_f32 v3, -v9, v43, v3
	v_fma_f32 v3, -v10, v44, v3
	v_fma_f32 v3, -v11, v45, v3
	ds_read_b128 v[8:11], v36 offset:4016
	s_waitcnt lgkmcnt(1)
	v_fma_f32 v3, -v12, v4, v3
	;; [unrolled: 6-line block ×6, first 2 shown]
	v_fma_f32 v3, -v21, v5, v3
	v_fma_f32 v3, -v22, v6, v3
	;; [unrolled: 1-line block ×5, first 2 shown]
	s_waitcnt lgkmcnt(0)
	v_fma_f32 v3, -v0, v8, v3
	v_mul_f32_e32 v2, v48, v2
	v_fma_f32 v3, -v1, v9, v3
	v_fma_f32 v3, -v2, v10, v3
	v_mul_f32_e32 v3, v11, v3
	global_store_dwordx4 v[32:33], v[0:3], off offset:112
.LBB37_19:
	s_cmp_lt_i32 s6, s18
	s_cbranch_scc0 .LBB37_39
; %bb.20:
	s_or_b32 s7, s6, 27
	s_cmp_ge_u32 s7, s18
	s_cbranch_scc1 .LBB37_28
; %bb.21:
	s_lshl_b32 s12, s6, 2
	v_add_co_u32_e32 v22, vcc, s12, v32
	v_addc_co_u32_e32 v23, vcc, 0, v33, vcc
	global_load_dwordx4 v[0:3], v[22:23], off
	global_load_dwordx4 v[4:7], v[22:23], off offset:16
	global_load_dwordx4 v[10:13], v[22:23], off offset:32
	;; [unrolled: 1-line block ×6, first 2 shown]
	s_andn2_b64 vcc, exec, s[8:9]
	s_waitcnt vmcnt(6)
	v_pk_mul_f32 v[0:1], v[0:1], s[16:17] op_sel_hi:[1,0]
	v_pk_mul_f32 v[40:41], v[2:3], s[16:17] op_sel_hi:[1,0]
	s_waitcnt vmcnt(5)
	v_pk_mul_f32 v[38:39], v[4:5], s[16:17] op_sel_hi:[1,0]
	v_pk_mul_f32 v[36:37], v[6:7], s[16:17] op_sel_hi:[1,0]
	;; [unrolled: 3-line block ×7, first 2 shown]
	s_cbranch_vccnz .LBB37_23
; %bb.22:
	s_lshl_b32 s11, s7, 5
	s_mov_b64 s[8:9], 0
	s_branch .LBB37_24
.LBB37_23:
	s_mov_b64 s[8:9], -1
                                        ; implicit-def: $sgpr11
.LBB37_24:
	s_andn2_b64 vcc, exec, s[8:9]
	s_cbranch_vccnz .LBB37_27
; %bb.25:
	s_lshl_b32 s11, s7, 5
	s_lshl_b32 s8, s6, 7
	s_mov_b32 s9, 0
	v_pk_mov_b32 v[2:3], v[32:33], v[32:33] op_sel:[0,1]
.LBB37_26:                              ; =>This Inner Loop Header: Depth=1
	global_load_dword v4, v[2:3], off
	v_mov_b32_e32 v5, s8
	v_add_u32_e32 v52, 0x400, v5
	v_add_u32_e32 v60, 0x800, v5
	ds_read2_b32 v[6:7], v5 offset1:32
	ds_read2_b32 v[8:9], v5 offset0:64 offset1:96
	ds_read2_b32 v[42:43], v5 offset0:128 offset1:160
	ds_read2_b32 v[44:45], v5 offset0:192 offset1:224
	v_add_u32_e32 v5, 0xc00, v5
	ds_read2_b32 v[46:47], v52 offset1:32
	ds_read2_b32 v[48:49], v52 offset0:64 offset1:96
	ds_read2_b32 v[50:51], v52 offset0:128 offset1:160
	;; [unrolled: 1-line block ×3, first 2 shown]
	ds_read2_b32 v[54:55], v60 offset1:32
	ds_read2_b32 v[56:57], v60 offset0:64 offset1:96
	ds_read2_b32 v[58:59], v60 offset0:128 offset1:160
	;; [unrolled: 1-line block ×3, first 2 shown]
	ds_read2_b32 v[62:63], v5 offset1:32
	ds_read2_b32 v[64:65], v5 offset0:64 offset1:96
	s_add_i32 s9, s9, 1
	s_add_i32 s8, s8, 4
	v_add_co_u32_e32 v2, vcc, 4, v2
	v_addc_co_u32_e32 v3, vcc, 0, v3, vcc
	s_cmp_lt_u32 s9, s6
	s_waitcnt vmcnt(0) lgkmcnt(13)
	v_pk_fma_f32 v[0:1], v[4:5], v[6:7], v[0:1] op_sel_hi:[0,1,1] neg_lo:[1,0,0] neg_hi:[1,0,0]
	s_waitcnt lgkmcnt(12)
	v_pk_fma_f32 v[40:41], v[4:5], v[8:9], v[40:41] op_sel_hi:[0,1,1] neg_lo:[1,0,0] neg_hi:[1,0,0]
	s_waitcnt lgkmcnt(11)
	;; [unrolled: 2-line block ×13, first 2 shown]
	v_pk_fma_f32 v[24:25], v[4:5], v[64:65], v[24:25] op_sel_hi:[0,1,1] neg_lo:[1,0,0] neg_hi:[1,0,0]
	s_cbranch_scc1 .LBB37_26
.LBB37_27:
	s_mul_i32 s8, s6, 0x84
	s_lshl_b32 s9, s6, 5
	v_mov_b32_e32 v45, s8
	s_add_i32 s9, s6, s9
	ds_read2_b32 v[8:9], v45 offset1:132
	s_lshl_b32 s9, s9, 2
	v_mov_b32_e32 v44, s9
	s_lshl_b32 s9, s6, 7
	s_or_b32 s9, s9, s12
	s_or_b32 s13, s9, 0x100
	ds_read2_b64 v[2:5], v44 offset0:16 offset1:82
	v_mov_b32_e32 v6, s13
	s_waitcnt lgkmcnt(1)
	v_mul_f32_e32 v0, v8, v0
	ds_read_b96 v[6:8], v6
	ds_read_b64 v[42:43], v44 offset:3296
	ds_read_b128 v[46:49], v44 offset:384
	s_waitcnt lgkmcnt(3)
	v_fma_f32 v1, -v0, v2, v1
	v_mul_f32_e32 v1, v3, v1
	s_or_b32 s13, s9, 0x200
	s_waitcnt lgkmcnt(2)
	v_fma_f32 v2, -v0, v6, v40
	v_fma_f32 v2, -v1, v7, v2
	s_waitcnt lgkmcnt(0)
	v_fma_f32 v3, -v0, v46, v41
	v_mul_f32_e32 v2, v8, v2
	v_fma_f32 v3, -v1, v47, v3
	v_fma_f32 v3, -v2, v48, v3
	v_mov_b32_e32 v6, s13
	v_mul_f32_e32 v3, v49, v3
	ds_read_b128 v[46:49], v6
	ds_read_b128 v[50:53], v44 offset:640
	s_or_b32 s13, s9, 0x300
	v_mov_b32_e32 v8, s13
	ds_read_b128 v[54:57], v8
	s_waitcnt lgkmcnt(2)
	v_fma_f32 v6, -v0, v46, v38
	v_fma_f32 v6, -v1, v47, v6
	s_waitcnt lgkmcnt(1)
	v_fma_f32 v7, -v0, v50, v39
	v_fma_f32 v6, -v2, v48, v6
	;; [unrolled: 1-line block ×5, first 2 shown]
	v_mul_f32_e32 v6, v9, v6
	v_fma_f32 v7, -v3, v53, v7
	v_fma_f32 v4, -v6, v4, v7
	v_mul_f32_e32 v7, v5, v4
	s_waitcnt lgkmcnt(0)
	v_fma_f32 v4, -v0, v54, v36
	v_fma_f32 v4, -v1, v55, v4
	global_store_dwordx4 v[22:23], v[0:3], off
	v_fma_f32 v4, -v2, v56, v4
	v_fma_f32 v36, -v3, v57, v4
	ds_read2_b32 v[4:5], v45 offset0:198 offset1:231
	ds_read_b64 v[8:9], v8 offset:16
	s_or_b32 s13, s9, 0x400
	v_mov_b32_e32 v53, s13
	ds_read_b128 v[38:41], v53
	ds_read_b128 v[46:49], v44 offset:896
	ds_read_b96 v[50:52], v44 offset:912
	s_waitcnt lgkmcnt(3)
	v_fma_f32 v8, -v6, v8, v36
	v_fma_f32 v8, -v7, v9, v8
	v_mul_f32_e32 v8, v4, v8
	s_waitcnt lgkmcnt(1)
	v_fma_f32 v4, -v0, v46, v37
	v_fma_f32 v4, -v1, v47, v4
	;; [unrolled: 1-line block ×3, first 2 shown]
	s_or_b32 s13, s9, 0x500
	v_fma_f32 v4, -v3, v49, v4
	v_mov_b32_e32 v54, s13
	ds_read_b128 v[46:49], v54
	s_waitcnt lgkmcnt(1)
	v_fma_f32 v4, -v6, v50, v4
	v_fma_f32 v4, -v7, v51, v4
	;; [unrolled: 1-line block ×3, first 2 shown]
	v_mul_f32_e32 v9, v5, v4
	v_fma_f32 v4, -v0, v38, v10
	v_fma_f32 v4, -v1, v39, v4
	ds_read_b128 v[36:39], v53 offset:16
	v_fma_f32 v4, -v2, v40, v4
	v_fma_f32 v4, -v3, v41, v4
	v_add_u32_e32 v55, 0x400, v45
	ds_read_b128 v[50:53], v44 offset:1168
	s_waitcnt lgkmcnt(1)
	v_fma_f32 v10, -v6, v36, v4
	v_fma_f32 v10, -v7, v37, v10
	ds_read2_b32 v[4:5], v55 offset0:8 offset1:41
	v_fma_f32 v10, -v8, v38, v10
	v_fma_f32 v10, -v9, v39, v10
	ds_read_b128 v[36:39], v44 offset:1152
	global_store_dwordx4 v[22:23], v[6:9], off offset:16
	s_waitcnt lgkmcnt(1)
	v_mul_f32_e32 v10, v4, v10
	v_add_u32_e32 v4, 0x400, v44
	ds_read2_b32 v[40:41], v4 offset0:40 offset1:172
	s_waitcnt lgkmcnt(1)
	v_fma_f32 v4, -v0, v36, v11
	v_fma_f32 v4, -v1, v37, v4
	;; [unrolled: 1-line block ×8, first 2 shown]
	s_waitcnt lgkmcnt(0)
	v_fma_f32 v4, -v10, v40, v4
	v_mul_f32_e32 v11, v5, v4
	ds_read_b128 v[36:39], v54 offset:16
	ds_read_b64 v[4:5], v54 offset:32
	v_fma_f32 v12, -v0, v46, v12
	v_fma_f32 v12, -v1, v47, v12
	;; [unrolled: 1-line block ×4, first 2 shown]
	s_waitcnt lgkmcnt(1)
	v_fma_f32 v12, -v6, v36, v12
	v_fma_f32 v12, -v7, v37, v12
	;; [unrolled: 1-line block ×3, first 2 shown]
	ds_read2_b32 v[52:53], v55 offset0:74 offset1:107
	v_fma_f32 v12, -v9, v39, v12
	ds_read_b128 v[36:39], v44 offset:1408
	ds_read_b128 v[46:49], v44 offset:1424
	s_waitcnt lgkmcnt(3)
	v_fma_f32 v4, -v10, v4, v12
	v_fma_f32 v4, -v11, v5, v4
	s_waitcnt lgkmcnt(2)
	v_mul_f32_e32 v12, v52, v4
	s_waitcnt lgkmcnt(1)
	v_fma_f32 v4, -v0, v36, v13
	v_fma_f32 v4, -v1, v37, v4
	;; [unrolled: 1-line block ×4, first 2 shown]
	ds_read_b96 v[50:52], v44 offset:1440
	ds_read_b128 v[36:39], v44 offset:1664
	s_waitcnt lgkmcnt(2)
	v_fma_f32 v4, -v6, v46, v4
	v_fma_f32 v4, -v7, v47, v4
	s_or_b32 s13, s9, 0x600
	v_fma_f32 v4, -v8, v48, v4
	v_mov_b32_e32 v5, s13
	v_fma_f32 v4, -v9, v49, v4
	ds_read_b128 v[46:49], v5
	s_waitcnt lgkmcnt(2)
	v_fma_f32 v4, -v10, v50, v4
	v_fma_f32 v4, -v11, v51, v4
	;; [unrolled: 1-line block ×3, first 2 shown]
	v_mul_f32_e32 v13, v53, v4
	ds_read_b128 v[50:53], v5 offset:16
	s_waitcnt lgkmcnt(1)
	v_fma_f32 v4, -v0, v46, v14
	v_fma_f32 v4, -v1, v47, v4
	;; [unrolled: 1-line block ×4, first 2 shown]
	s_waitcnt lgkmcnt(0)
	v_fma_f32 v4, -v6, v50, v4
	v_fma_f32 v4, -v7, v51, v4
	global_store_dwordx4 v[22:23], v[10:13], off offset:32
	v_fma_f32 v4, -v8, v52, v4
	v_fma_f32 v14, -v9, v53, v4
	ds_read_b128 v[46:49], v5 offset:32
	ds_read2_b32 v[4:5], v55 offset0:140 offset1:173
	s_or_b32 s13, s9, 0x700
	v_mov_b32_e32 v40, s13
	ds_read_b128 v[50:53], v40
	s_waitcnt lgkmcnt(2)
	v_fma_f32 v14, -v10, v46, v14
	v_fma_f32 v14, -v11, v47, v14
	;; [unrolled: 1-line block ×4, first 2 shown]
	s_waitcnt lgkmcnt(1)
	v_mul_f32_e32 v14, v4, v14
	ds_read_b128 v[46:49], v44 offset:1680
	ds_read_b128 v[54:57], v44 offset:1696
	v_fma_f32 v4, -v0, v36, v15
	v_fma_f32 v4, -v1, v37, v4
	;; [unrolled: 1-line block ×4, first 2 shown]
	s_waitcnt lgkmcnt(1)
	v_fma_f32 v4, -v6, v46, v4
	v_fma_f32 v4, -v7, v47, v4
	;; [unrolled: 1-line block ×4, first 2 shown]
	s_waitcnt lgkmcnt(0)
	v_fma_f32 v4, -v10, v54, v4
	v_fma_f32 v4, -v11, v55, v4
	;; [unrolled: 1-line block ×5, first 2 shown]
	v_mul_f32_e32 v15, v5, v4
	ds_read_b128 v[36:39], v40 offset:16
	ds_read_b128 v[46:49], v40 offset:32
	v_fma_f32 v4, -v0, v50, v16
	v_fma_f32 v4, -v1, v51, v4
	;; [unrolled: 1-line block ×4, first 2 shown]
	s_waitcnt lgkmcnt(1)
	v_fma_f32 v4, -v6, v36, v4
	v_fma_f32 v4, -v7, v37, v4
	;; [unrolled: 1-line block ×4, first 2 shown]
	s_waitcnt lgkmcnt(0)
	v_fma_f32 v4, -v10, v46, v4
	v_fma_f32 v4, -v11, v47, v4
	s_or_b32 s13, s6, 16
	v_fma_f32 v4, -v12, v48, v4
	s_lshl_b32 s14, s13, 7
	v_fma_f32 v16, -v13, v49, v4
	ds_read_b64 v[4:5], v40 offset:48
	s_or_b32 s14, s14, s12
	v_mov_b32_e32 v40, s14
	ds_read_b32 v41, v45 offset:1848
	ds_read_b128 v[36:39], v40
	ds_read_b128 v[46:49], v44 offset:1920
	s_waitcnt lgkmcnt(3)
	v_fma_f32 v4, -v14, v4, v16
	v_fma_f32 v4, -v15, v5, v4
	ds_read_b128 v[50:53], v44 offset:1936
	s_waitcnt lgkmcnt(3)
	v_mul_f32_e32 v16, v41, v4
	s_waitcnt lgkmcnt(1)
	v_fma_f32 v4, -v0, v46, v17
	v_fma_f32 v4, -v1, v47, v4
	;; [unrolled: 1-line block ×4, first 2 shown]
	ds_read_b128 v[46:49], v44 offset:1952
	s_waitcnt lgkmcnt(1)
	v_fma_f32 v4, -v6, v50, v4
	v_fma_f32 v4, -v7, v51, v4
	v_fma_f32 v4, -v8, v52, v4
	v_fma_f32 v4, -v9, v53, v4
	ds_read_b128 v[50:53], v44 offset:1968
	s_waitcnt lgkmcnt(1)
	v_fma_f32 v4, -v10, v46, v4
	v_fma_f32 v4, -v11, v47, v4
	;; [unrolled: 1-line block ×4, first 2 shown]
	s_waitcnt lgkmcnt(0)
	v_fma_f32 v4, -v14, v50, v4
	v_fma_f32 v4, -v15, v51, v4
	;; [unrolled: 1-line block ×3, first 2 shown]
	v_mul_f32_e32 v17, v53, v4
	global_store_dwordx4 v[22:23], v[14:17], off offset:48
	ds_read_b128 v[46:49], v40 offset:16
	ds_read_b128 v[50:53], v40 offset:32
	v_fma_f32 v4, -v0, v36, v18
	v_fma_f32 v4, -v1, v37, v4
	;; [unrolled: 1-line block ×4, first 2 shown]
	s_waitcnt lgkmcnt(1)
	v_fma_f32 v4, -v6, v46, v4
	v_fma_f32 v4, -v7, v47, v4
	;; [unrolled: 1-line block ×4, first 2 shown]
	ds_read_b128 v[36:39], v40 offset:48
	s_waitcnt lgkmcnt(1)
	v_fma_f32 v4, -v10, v50, v4
	v_fma_f32 v4, -v11, v51, v4
	;; [unrolled: 1-line block ×3, first 2 shown]
	s_mulk_i32 s13, 0x84
	v_fma_f32 v4, -v13, v53, v4
	v_mov_b32_e32 v5, s13
	ds_read_b32 v5, v5
	s_waitcnt lgkmcnt(1)
	v_fma_f32 v4, -v14, v36, v4
	v_fma_f32 v4, -v15, v37, v4
	;; [unrolled: 1-line block ×4, first 2 shown]
	ds_read_b128 v[36:39], v44 offset:2176
	s_waitcnt lgkmcnt(1)
	v_mul_f32_e32 v18, v5, v4
	ds_read_b128 v[46:49], v44 offset:2192
	ds_read_b128 v[50:53], v44 offset:2208
	;; [unrolled: 1-line block ×3, first 2 shown]
	v_add_u32_e32 v5, 0x800, v44
	s_or_b32 s13, s9, 0x900
	s_waitcnt lgkmcnt(3)
	v_fma_f32 v4, -v0, v36, v19
	v_fma_f32 v4, -v1, v37, v4
	v_fma_f32 v4, -v2, v38, v4
	v_fma_f32 v4, -v3, v39, v4
	s_waitcnt lgkmcnt(2)
	v_fma_f32 v4, -v6, v46, v4
	v_fma_f32 v4, -v7, v47, v4
	v_fma_f32 v4, -v8, v48, v4
	v_fma_f32 v4, -v9, v49, v4
	;; [unrolled: 5-line block ×3, first 2 shown]
	ds_read2_b64 v[36:39], v5 offset0:24 offset1:90
	v_mov_b32_e32 v5, s13
	s_waitcnt lgkmcnt(1)
	v_fma_f32 v4, -v14, v54, v4
	ds_read_b128 v[46:49], v5
	v_fma_f32 v4, -v15, v55, v4
	v_fma_f32 v4, -v16, v56, v4
	;; [unrolled: 1-line block ×3, first 2 shown]
	s_waitcnt lgkmcnt(1)
	v_fma_f32 v4, -v18, v36, v4
	v_mul_f32_e32 v19, v37, v4
	s_waitcnt lgkmcnt(0)
	v_fma_f32 v4, -v0, v46, v20
	ds_read_b128 v[50:53], v5 offset:16
	ds_read_b128 v[54:57], v5 offset:32
	ds_read_b128 v[58:61], v5 offset:48
	v_fma_f32 v4, -v1, v47, v4
	v_fma_f32 v4, -v2, v48, v4
	;; [unrolled: 1-line block ×3, first 2 shown]
	s_waitcnt lgkmcnt(2)
	v_fma_f32 v4, -v6, v50, v4
	v_fma_f32 v4, -v7, v51, v4
	;; [unrolled: 1-line block ×4, first 2 shown]
	s_waitcnt lgkmcnt(1)
	v_fma_f32 v4, -v10, v54, v4
	v_fma_f32 v4, -v11, v55, v4
	;; [unrolled: 1-line block ×3, first 2 shown]
	s_or_b32 s13, s6, 20
	v_fma_f32 v4, -v13, v57, v4
	s_lshl_b32 s14, s13, 7
	ds_read_b96 v[54:56], v5 offset:64
	s_waitcnt lgkmcnt(1)
	v_fma_f32 v4, -v14, v58, v4
	s_or_b32 s14, s14, s12
	v_fma_f32 v4, -v15, v59, v4
	v_mov_b32_e32 v5, s14
	v_fma_f32 v4, -v16, v60, v4
	ds_read_b128 v[46:49], v5
	ds_read_b128 v[50:53], v44 offset:2432
	v_fma_f32 v4, -v17, v61, v4
	s_waitcnt lgkmcnt(2)
	v_fma_f32 v4, -v18, v54, v4
	v_fma_f32 v4, -v19, v55, v4
	v_mul_f32_e32 v20, v56, v4
	ds_read_b128 v[54:57], v44 offset:2448
	s_waitcnt lgkmcnt(1)
	v_fma_f32 v4, -v0, v50, v21
	v_fma_f32 v4, -v1, v51, v4
	v_fma_f32 v4, -v2, v52, v4
	v_fma_f32 v4, -v3, v53, v4
	ds_read_b128 v[50:53], v44 offset:2464
	s_waitcnt lgkmcnt(1)
	v_fma_f32 v4, -v6, v54, v4
	v_fma_f32 v4, -v7, v55, v4
	v_fma_f32 v4, -v8, v56, v4
	v_fma_f32 v4, -v9, v57, v4
	;; [unrolled: 6-line block ×4, first 2 shown]
	s_waitcnt lgkmcnt(0)
	v_fma_f32 v4, -v18, v50, v4
	v_fma_f32 v4, -v19, v51, v4
	;; [unrolled: 1-line block ×3, first 2 shown]
	v_mul_f32_e32 v21, v53, v4
	global_store_dwordx4 v[22:23], v[18:21], off offset:64
	ds_read_b128 v[54:57], v44 offset:2688
	ds_read_b128 v[50:53], v5 offset:16
	;; [unrolled: 1-line block ×3, first 2 shown]
	v_fma_f32 v4, -v0, v46, v30
	v_fma_f32 v4, -v1, v47, v4
	v_fma_f32 v4, -v2, v48, v4
	v_fma_f32 v4, -v3, v49, v4
	s_waitcnt lgkmcnt(1)
	v_fma_f32 v4, -v6, v50, v4
	v_fma_f32 v4, -v7, v51, v4
	;; [unrolled: 1-line block ×4, first 2 shown]
	ds_read_b128 v[46:49], v5 offset:48
	ds_read_b128 v[50:53], v5 offset:64
	s_waitcnt lgkmcnt(2)
	v_fma_f32 v4, -v10, v58, v4
	v_fma_f32 v4, -v11, v59, v4
	;; [unrolled: 1-line block ×4, first 2 shown]
	s_waitcnt lgkmcnt(1)
	v_fma_f32 v4, -v14, v46, v4
	v_fma_f32 v4, -v15, v47, v4
	s_mulk_i32 s13, 0x84
	v_fma_f32 v4, -v16, v48, v4
	v_mov_b32_e32 v5, s13
	v_fma_f32 v4, -v17, v49, v4
	ds_read_b32 v5, v5
	s_waitcnt lgkmcnt(1)
	v_fma_f32 v4, -v18, v50, v4
	v_fma_f32 v4, -v19, v51, v4
	;; [unrolled: 1-line block ×3, first 2 shown]
	s_or_b32 s13, s9, 0xb00
	v_fma_f32 v4, -v21, v53, v4
	v_mov_b32_e32 v30, s13
	ds_read_b128 v[46:49], v30
	s_waitcnt lgkmcnt(1)
	v_mul_f32_e32 v36, v5, v4
	ds_read_b128 v[50:53], v44 offset:2704
	ds_read_b128 v[58:61], v44 offset:2720
	v_fma_f32 v4, -v0, v54, v31
	v_fma_f32 v4, -v1, v55, v4
	;; [unrolled: 1-line block ×4, first 2 shown]
	s_waitcnt lgkmcnt(1)
	v_fma_f32 v4, -v6, v50, v4
	v_fma_f32 v4, -v7, v51, v4
	;; [unrolled: 1-line block ×4, first 2 shown]
	ds_read_b128 v[50:53], v44 offset:2736
	ds_read_b128 v[54:57], v44 offset:2752
	s_waitcnt lgkmcnt(2)
	v_fma_f32 v4, -v10, v58, v4
	v_fma_f32 v4, -v11, v59, v4
	v_fma_f32 v4, -v12, v60, v4
	v_fma_f32 v4, -v13, v61, v4
	s_waitcnt lgkmcnt(1)
	v_fma_f32 v4, -v14, v50, v4
	v_fma_f32 v4, -v15, v51, v4
	v_fma_f32 v4, -v16, v52, v4
	v_fma_f32 v4, -v17, v53, v4
	;; [unrolled: 5-line block ×3, first 2 shown]
	v_fma_f32 v4, -v36, v38, v4
	v_mul_f32_e32 v37, v39, v4
	ds_read_b128 v[38:41], v30 offset:16
	ds_read_b128 v[50:53], v30 offset:32
	v_fma_f32 v4, -v0, v46, v28
	v_fma_f32 v4, -v1, v47, v4
	;; [unrolled: 1-line block ×4, first 2 shown]
	s_waitcnt lgkmcnt(1)
	v_fma_f32 v4, -v6, v38, v4
	v_fma_f32 v4, -v7, v39, v4
	;; [unrolled: 1-line block ×4, first 2 shown]
	ds_read_b128 v[38:41], v30 offset:48
	ds_read_b128 v[46:49], v30 offset:64
	s_waitcnt lgkmcnt(2)
	v_fma_f32 v4, -v10, v50, v4
	v_fma_f32 v4, -v11, v51, v4
	;; [unrolled: 1-line block ×4, first 2 shown]
	s_waitcnt lgkmcnt(1)
	v_fma_f32 v4, -v14, v38, v4
	v_fma_f32 v4, -v15, v39, v4
	;; [unrolled: 1-line block ×4, first 2 shown]
	s_or_b32 s13, s6, 24
	s_waitcnt lgkmcnt(0)
	v_fma_f32 v4, -v18, v46, v4
	s_lshl_b32 s14, s13, 7
	v_fma_f32 v4, -v19, v47, v4
	ds_read_b96 v[38:40], v30 offset:80
	s_or_b32 s12, s14, s12
	v_fma_f32 v4, -v20, v48, v4
	v_mov_b32_e32 v5, s12
	v_fma_f32 v4, -v21, v49, v4
	ds_read_b128 v[46:49], v5
	ds_read_b128 v[50:53], v44 offset:2944
	s_waitcnt lgkmcnt(2)
	v_fma_f32 v4, -v36, v38, v4
	v_fma_f32 v4, -v37, v39, v4
	ds_read_b128 v[54:57], v44 offset:2960
	v_mul_f32_e32 v38, v40, v4
	s_waitcnt lgkmcnt(1)
	v_fma_f32 v4, -v0, v50, v29
	ds_read_b128 v[28:31], v44 offset:2976
	v_fma_f32 v4, -v1, v51, v4
	v_fma_f32 v4, -v2, v52, v4
	;; [unrolled: 1-line block ×3, first 2 shown]
	s_waitcnt lgkmcnt(1)
	v_fma_f32 v4, -v6, v54, v4
	v_fma_f32 v4, -v7, v55, v4
	v_fma_f32 v4, -v8, v56, v4
	v_fma_f32 v4, -v9, v57, v4
	ds_read_b128 v[50:53], v44 offset:2992
	s_waitcnt lgkmcnt(1)
	v_fma_f32 v4, -v10, v28, v4
	v_fma_f32 v4, -v11, v29, v4
	v_fma_f32 v4, -v12, v30, v4
	v_fma_f32 v4, -v13, v31, v4
	ds_read_b128 v[28:31], v44 offset:3008
	;; [unrolled: 6-line block ×3, first 2 shown]
	s_waitcnt lgkmcnt(1)
	v_fma_f32 v4, -v18, v28, v4
	v_fma_f32 v4, -v19, v29, v4
	;; [unrolled: 1-line block ×4, first 2 shown]
	s_waitcnt lgkmcnt(0)
	v_fma_f32 v4, -v36, v50, v4
	v_fma_f32 v4, -v37, v51, v4
	;; [unrolled: 1-line block ×3, first 2 shown]
	v_mul_f32_e32 v39, v53, v4
	global_store_dwordx4 v[22:23], v[36:39], off offset:80
	ds_read_b128 v[28:31], v5 offset:16
	ds_read_b128 v[50:53], v5 offset:32
	v_fma_f32 v4, -v0, v46, v26
	v_fma_f32 v4, -v1, v47, v4
	;; [unrolled: 1-line block ×4, first 2 shown]
	s_waitcnt lgkmcnt(1)
	v_fma_f32 v4, -v6, v28, v4
	v_fma_f32 v4, -v7, v29, v4
	;; [unrolled: 1-line block ×4, first 2 shown]
	ds_read_b128 v[28:31], v5 offset:48
	ds_read_b128 v[46:49], v5 offset:64
	s_waitcnt lgkmcnt(2)
	v_fma_f32 v4, -v10, v50, v4
	v_fma_f32 v4, -v11, v51, v4
	v_fma_f32 v4, -v12, v52, v4
	v_fma_f32 v4, -v13, v53, v4
	s_waitcnt lgkmcnt(1)
	v_fma_f32 v4, -v14, v28, v4
	v_fma_f32 v4, -v15, v29, v4
	;; [unrolled: 1-line block ×4, first 2 shown]
	ds_read_b128 v[28:31], v5 offset:80
	s_waitcnt lgkmcnt(1)
	v_fma_f32 v4, -v18, v46, v4
	v_fma_f32 v4, -v19, v47, v4
	v_fma_f32 v4, -v20, v48, v4
	v_fma_f32 v4, -v21, v49, v4
	s_waitcnt lgkmcnt(0)
	v_fma_f32 v4, -v36, v28, v4
	s_mul_i32 s12, s13, 0x84
	v_fma_f32 v4, -v37, v29, v4
	v_mov_b32_e32 v5, s12
	v_fma_f32 v4, -v38, v30, v4
	ds_read_b32 v5, v5
	v_fma_f32 v4, -v39, v31, v4
	ds_read_b128 v[28:31], v44 offset:3200
	ds_read_b128 v[46:49], v44 offset:3216
	;; [unrolled: 1-line block ×4, first 2 shown]
	s_or_b32 s9, s9, 0xd00
	s_waitcnt lgkmcnt(4)
	v_mul_f32_e32 v26, v5, v4
	v_mov_b32_e32 v5, s9
	s_waitcnt lgkmcnt(3)
	v_fma_f32 v4, -v0, v28, v27
	v_fma_f32 v4, -v1, v29, v4
	v_fma_f32 v4, -v2, v30, v4
	v_fma_f32 v4, -v3, v31, v4
	s_waitcnt lgkmcnt(2)
	v_fma_f32 v4, -v6, v46, v4
	v_fma_f32 v4, -v7, v47, v4
	v_fma_f32 v4, -v8, v48, v4
	v_fma_f32 v4, -v9, v49, v4
	;; [unrolled: 5-line block ×3, first 2 shown]
	ds_read_b128 v[28:31], v44 offset:3264
	s_waitcnt lgkmcnt(1)
	v_fma_f32 v4, -v14, v54, v4
	v_fma_f32 v4, -v15, v55, v4
	;; [unrolled: 1-line block ×4, first 2 shown]
	ds_read_b128 v[44:47], v44 offset:3280
	s_waitcnt lgkmcnt(1)
	v_fma_f32 v4, -v18, v28, v4
	v_fma_f32 v4, -v19, v29, v4
	;; [unrolled: 1-line block ×4, first 2 shown]
	ds_read_b128 v[28:31], v5
	s_waitcnt lgkmcnt(1)
	v_fma_f32 v4, -v36, v44, v4
	v_fma_f32 v4, -v37, v45, v4
	;; [unrolled: 1-line block ×5, first 2 shown]
	v_mul_f32_e32 v27, v43, v4
	s_waitcnt lgkmcnt(0)
	v_fma_f32 v4, -v0, v28, v24
	ds_read_b128 v[40:43], v5 offset:16
	ds_read_b128 v[44:47], v5 offset:32
	;; [unrolled: 1-line block ×3, first 2 shown]
	v_fma_f32 v4, -v1, v29, v4
	v_fma_f32 v4, -v2, v30, v4
	;; [unrolled: 1-line block ×3, first 2 shown]
	s_waitcnt lgkmcnt(2)
	v_fma_f32 v4, -v6, v40, v4
	v_fma_f32 v4, -v7, v41, v4
	;; [unrolled: 1-line block ×4, first 2 shown]
	s_waitcnt lgkmcnt(1)
	v_fma_f32 v4, -v10, v44, v4
	v_fma_f32 v4, -v11, v45, v4
	;; [unrolled: 1-line block ×4, first 2 shown]
	ds_read_b128 v[28:31], v5 offset:64
	ds_read_b128 v[40:43], v5 offset:80
	s_waitcnt lgkmcnt(2)
	v_fma_f32 v4, -v14, v48, v4
	v_fma_f32 v4, -v15, v49, v4
	;; [unrolled: 1-line block ×4, first 2 shown]
	s_waitcnt lgkmcnt(1)
	v_fma_f32 v4, -v18, v28, v4
	v_fma_f32 v4, -v19, v29, v4
	;; [unrolled: 1-line block ×4, first 2 shown]
	s_or_b32 s8, s6, 28
	s_waitcnt lgkmcnt(0)
	v_fma_f32 v4, -v36, v40, v4
	s_add_i32 s6, s11, s6
	v_fma_f32 v4, -v37, v41, v4
	s_lshl_b32 s6, s6, 2
	v_fma_f32 v4, -v38, v42, v4
	v_mov_b32_e32 v24, s6
	v_fma_f32 v4, -v39, v43, v4
	ds_read_b96 v[28:30], v5 offset:96
	ds_read_b128 v[40:43], v24
	ds_read_b128 v[44:47], v24 offset:16
	ds_read_b128 v[48:51], v24 offset:32
	s_mul_i32 s6, s7, 0x84
	s_waitcnt lgkmcnt(3)
	v_fma_f32 v4, -v26, v28, v4
	s_waitcnt lgkmcnt(2)
	v_fma_f32 v0, -v0, v40, v25
	v_fma_f32 v0, -v1, v41, v0
	;; [unrolled: 1-line block ×4, first 2 shown]
	s_waitcnt lgkmcnt(1)
	v_fma_f32 v0, -v6, v44, v0
	v_fma_f32 v0, -v7, v45, v0
	;; [unrolled: 1-line block ×5, first 2 shown]
	v_mul_f32_e32 v28, v30, v4
	s_waitcnt lgkmcnt(0)
	v_fma_f32 v4, -v10, v48, v0
	ds_read_b128 v[0:3], v24 offset:48
	v_fma_f32 v4, -v11, v49, v4
	v_fma_f32 v4, -v12, v50, v4
	;; [unrolled: 1-line block ×3, first 2 shown]
	ds_read_b128 v[4:7], v24 offset:64
	s_waitcnt lgkmcnt(1)
	v_fma_f32 v0, -v14, v0, v8
	v_fma_f32 v0, -v15, v1, v0
	;; [unrolled: 1-line block ×4, first 2 shown]
	s_waitcnt lgkmcnt(0)
	v_fma_f32 v4, -v18, v4, v0
	ds_read_b128 v[0:3], v24 offset:80
	v_fma_f32 v4, -v19, v5, v4
	v_fma_f32 v4, -v20, v6, v4
	;; [unrolled: 1-line block ×3, first 2 shown]
	ds_read_b96 v[4:6], v24 offset:96
	s_waitcnt lgkmcnt(1)
	v_fma_f32 v0, -v36, v0, v7
	v_fma_f32 v0, -v37, v1, v0
	v_mov_b32_e32 v1, s6
	ds_read_b32 v1, v1
	v_fma_f32 v0, -v38, v2, v0
	v_fma_f32 v0, -v39, v3, v0
	s_waitcnt lgkmcnt(1)
	v_fma_f32 v0, -v26, v4, v0
	v_fma_f32 v0, -v27, v5, v0
	;; [unrolled: 1-line block ×3, first 2 shown]
	s_waitcnt lgkmcnt(0)
	v_mul_f32_e32 v29, v1, v0
	s_mov_b32 s6, s8
	global_store_dwordx4 v[22:23], v[26:29], off offset:96
.LBB37_28:
	s_cmp_ge_i32 s6, s18
	s_cbranch_scc1 .LBB37_39
; %bb.29:
	s_add_i32 s11, s6, -1
	s_lshl_b32 s12, s6, 7
	s_add_u32 s7, s2, s4
	s_addc_u32 s8, s3, s5
	s_add_u32 s7, s7, s0
	s_addc_u32 s8, s8, s1
	v_mov_b32_e32 v0, s8
	v_add_co_u32_e32 v6, vcc, s7, v34
	v_addc_co_u32_e32 v7, vcc, v0, v35, vcc
	v_add_co_u32_e32 v0, vcc, 28, v6
	v_addc_co_u32_e32 v1, vcc, 0, v7, vcc
	s_mov_b32 s9, 0
	s_mov_b32 s14, s6
	s_mov_b32 s13, 0
	s_branch .LBB37_31
.LBB37_30:                              ;   in Loop: Header=BB37_31 Depth=1
	s_mul_i32 s7, s6, 0x84
	v_mov_b32_e32 v4, s7
	ds_read_b32 v4, v4
	s_add_i32 s6, s6, 1
	s_add_i32 s13, s13, 1
	s_addk_i32 s12, 0x80
	v_add_u16_e64 v5, s14, 1
	s_waitcnt lgkmcnt(0)
	v_mul_f32_e32 v4, v4, v8
	s_cmp_ge_i32 s6, s18
	v_readfirstlane_b32 s14, v5
	global_store_dword v[2:3], v4, off
	s_cbranch_scc1 .LBB37_39
.LBB37_31:                              ; =>This Loop Header: Depth=1
                                        ;     Child Loop BB37_34 Depth 2
                                        ;     Child Loop BB37_38 Depth 2
	s_ashr_i32 s7, s6, 31
	s_lshl_b64 s[20:21], s[6:7], 2
	v_mov_b32_e32 v3, s21
	v_add_co_u32_e32 v2, vcc, s20, v32
	v_addc_co_u32_e32 v3, vcc, v33, v3, vcc
	global_load_dword v4, v[2:3], off
	s_cmp_eq_u32 s6, 0
	s_waitcnt vmcnt(0)
	v_mul_f32_e32 v8, s16, v4
	s_cbranch_scc1 .LBB37_30
; %bb.32:                               ;   in Loop: Header=BB37_31 Depth=1
	s_add_i32 s7, s11, s13
	s_cmp_lt_u32 s7, 7
	s_cbranch_scc1 .LBB37_36
; %bb.33:                               ;   in Loop: Header=BB37_31 Depth=1
	s_and_b32 s8, s6, -8
	s_mov_b32 s7, 0
	v_pk_mov_b32 v[4:5], v[0:1], v[0:1] op_sel:[0,1]
	s_mov_b32 s15, s12
.LBB37_34:                              ;   Parent Loop BB37_31 Depth=1
                                        ; =>  This Inner Loop Header: Depth=2
	global_load_dwordx4 v[10:13], v[4:5], off offset:-28
	global_load_dwordx4 v[14:17], v[4:5], off offset:-12
	v_mov_b32_e32 v9, s15
	ds_read_b128 v[18:21], v9
	ds_read_b128 v[22:25], v9 offset:16
	s_add_i32 s7, s7, 8
	s_add_i32 s15, s15, 32
	v_add_co_u32_e32 v4, vcc, 32, v4
	v_addc_co_u32_e32 v5, vcc, 0, v5, vcc
	s_cmp_lg_u32 s8, s7
	s_waitcnt vmcnt(1) lgkmcnt(1)
	v_fma_f32 v8, -v10, v18, v8
	v_fma_f32 v8, -v11, v19, v8
	;; [unrolled: 1-line block ×4, first 2 shown]
	s_waitcnt vmcnt(0) lgkmcnt(0)
	v_fma_f32 v8, -v14, v22, v8
	v_fma_f32 v8, -v15, v23, v8
	;; [unrolled: 1-line block ×4, first 2 shown]
	s_cbranch_scc1 .LBB37_34
; %bb.35:                               ;   in Loop: Header=BB37_31 Depth=1
	s_and_b32 s7, s6, 7
	s_cmp_eq_u32 s7, 0
	s_cbranch_scc0 .LBB37_37
	s_branch .LBB37_30
.LBB37_36:                              ;   in Loop: Header=BB37_31 Depth=1
	s_mov_b32 s8, 0
	s_and_b32 s7, s6, 7
	s_cmp_eq_u32 s7, 0
	s_cbranch_scc1 .LBB37_30
.LBB37_37:                              ;   in Loop: Header=BB37_31 Depth=1
	s_lshl_b64 s[20:21], s[8:9], 2
	v_mov_b32_e32 v5, s21
	v_add_co_u32_e32 v4, vcc, s20, v6
	s_and_b32 s7, s14, 7
	s_lshl_b32 s15, s8, 2
	v_addc_co_u32_e32 v5, vcc, v7, v5, vcc
.LBB37_38:                              ;   Parent Loop BB37_31 Depth=1
                                        ; =>  This Inner Loop Header: Depth=2
	global_load_dword v9, v[4:5], off
	s_add_i32 s8, s12, s15
	v_mov_b32_e32 v10, s8
	ds_read_b32 v10, v10
	s_add_i32 s15, s15, 4
	v_add_co_u32_e32 v4, vcc, 4, v4
	s_add_i32 s7, s7, -1
	v_addc_co_u32_e32 v5, vcc, 0, v5, vcc
	s_cmp_lg_u32 s7, 0
	s_waitcnt vmcnt(0) lgkmcnt(0)
	v_fma_f32 v8, -v9, v10, v8
	s_cbranch_scc1 .LBB37_38
	s_branch .LBB37_30
.LBB37_39:
	s_mov_b64 s[6:7], 0
.LBB37_40:
	s_and_b64 vcc, exec, s[6:7]
	s_cbranch_vccz .LBB37_66
; %bb.41:
	s_add_i32 s6, s18, -1
	s_cmp_gt_i32 s10, 31
	s_mov_b32 s8, s6
	s_cbranch_scc0 .LBB37_43
; %bb.42:
	s_ashr_i32 s19, s18, 31
	s_lshl_b64 s[8:9], s[18:19], 2
	v_mov_b32_e32 v0, s9
	v_add_co_u32_e32 v36, vcc, s8, v32
	v_addc_co_u32_e32 v37, vcc, v33, v0, vcc
	global_load_dword v7, v[36:37], off offset:-4
	s_mov_b32 s19, 0
	s_lshl_b64 s[8:9], s[18:19], 2
	v_mov_b32_e32 v0, s9
	v_add_co_u32_e32 v38, vcc, s8, v32
	v_addc_co_u32_e32 v39, vcc, v33, v0, vcc
	global_load_dwordx3 v[4:6], v[38:39], off offset:-16
	global_load_dwordx4 v[8:11], v[38:39], off offset:-32
	global_load_dwordx4 v[12:15], v[38:39], off offset:-48
	s_mul_i32 s15, s6, 0x84
	s_add_i32 s9, s18, -2
	s_lshl_b32 s8, s6, 5
	s_add_i32 s14, s18, -4
	s_lshl_b32 s7, s18, 5
	s_add_i32 s17, s18, -6
	s_add_i32 s19, s9, s8
	s_add_i32 s20, s15, 0xffffff7c
	;; [unrolled: 1-line block ×3, first 2 shown]
	s_lshl_b32 s11, s9, 5
	s_add_i32 s9, s7, 0xffffffa0
	s_add_i32 s22, s15, 0xfffffe74
	;; [unrolled: 1-line block ×3, first 2 shown]
	s_lshl_b32 s13, s14, 5
	s_lshl_b32 s19, s19, 2
	v_mov_b32_e32 v40, s20
	s_lshl_b32 s20, s21, 2
	s_add_i32 s21, s14, s11
	s_add_i32 s14, s14, s9
	v_mov_b32_e32 v46, s22
	s_lshl_b32 s22, s23, 2
	s_add_i32 s23, s17, s11
	v_mov_b32_e32 v41, s19
	v_mov_b32_e32 v42, s20
	s_lshl_b32 s19, s21, 2
	s_lshl_b32 s14, s14, 2
	;; [unrolled: 1-line block ×3, first 2 shown]
	v_mov_b32_e32 v47, s22
	v_mov_b32_e32 v43, s19
	;; [unrolled: 1-line block ×4, first 2 shown]
	global_load_dwordx4 v[0:3], v[38:39], off offset:-128
	global_load_dwordx4 v[20:23], v[38:39], off offset:-112
	;; [unrolled: 1-line block ×5, first 2 shown]
	ds_read2_b32 v[38:39], v41 offset1:1
	ds_read_b32 v53, v40
	ds_read2_b32 v[40:41], v42 offset1:1
	ds_read2_b32 v[42:43], v43 offset1:1
	;; [unrolled: 1-line block ×3, first 2 shown]
	ds_read_b32 v54, v46
	ds_read2_b32 v[46:47], v47 offset1:1
	ds_read2_b32 v[48:49], v48 offset1:1
	s_add_i32 s12, s7, 0xffffff60
	s_add_i32 s25, s17, s9
	;; [unrolled: 1-line block ×4, first 2 shown]
	s_lshl_b32 s21, s25, 2
	s_lshl_b32 s22, s26, 2
	;; [unrolled: 1-line block ×3, first 2 shown]
	v_mov_b32_e32 v50, s21
	v_mov_b32_e32 v51, s22
	v_mov_b32_e32 v52, s23
	s_add_i32 s19, s18, -8
	s_add_i32 s14, s19, s8
	s_add_i32 s24, s15, 0xfffffd6c
	s_lshl_b32 s14, s14, 2
	s_add_i32 s21, s18, -10
	s_add_i32 s23, s18, -12
	;; [unrolled: 1-line block ×4, first 2 shown]
	s_sub_i32 s29, s18, 18
	s_sub_i32 s31, s18, 20
	;; [unrolled: 1-line block ×6, first 2 shown]
	s_waitcnt vmcnt(8)
	v_mul_f32_e32 v7, s16, v7
	s_waitcnt lgkmcnt(7)
	v_mul_f32_e32 v7, v39, v7
	v_mul_f32_e32 v38, v7, v38
	s_waitcnt lgkmcnt(5)
	v_mul_f32_e32 v39, v7, v41
	;; [unrolled: 3-line block ×3, first 2 shown]
	s_waitcnt vmcnt(7)
	v_fma_f32 v6, v6, s16, -v38
	v_fma_f32 v5, v5, s16, -v39
	v_mul_f32_e32 v6, v53, v6
	v_fma_f32 v4, v4, s16, -v40
	v_fma_f32 v5, -v6, v43, v5
	v_fma_f32 v4, -v6, v42, v4
	v_mul_f32_e32 v5, v45, v5
	v_fma_f32 v4, -v5, v44, v4
	v_mul_f32_e32 v4, v54, v4
	global_store_dwordx4 v[36:37], v[4:7], off offset:-16
	s_waitcnt vmcnt(7)
	v_fma_f32 v11, v11, s16, -v41
	ds_read2_b32 v[38:39], v50 offset1:1
	ds_read2_b32 v[40:41], v51 offset1:1
	;; [unrolled: 1-line block ×3, first 2 shown]
	s_waitcnt lgkmcnt(3)
	v_fma_f32 v11, -v6, v49, v11
	v_mov_b32_e32 v44, s24
	s_waitcnt lgkmcnt(2)
	v_fma_f32 v11, -v5, v39, v11
	v_mul_f32_e32 v39, v7, v46
	v_fma_f32 v10, v10, s16, -v39
	v_fma_f32 v10, -v6, v48, v10
	v_fma_f32 v10, -v5, v38, v10
	v_mov_b32_e32 v38, s14
	s_add_i32 s14, s19, s11
	ds_read_b32 v44, v44
	ds_read2_b32 v[38:39], v38 offset1:1
	s_lshl_b32 s14, s14, 2
	s_waitcnt lgkmcnt(3)
	v_fma_f32 v11, -v4, v41, v11
	v_fma_f32 v10, -v4, v40, v10
	v_mov_b32_e32 v40, s14
	s_add_i32 s14, s19, s9
	s_waitcnt lgkmcnt(2)
	v_mul_f32_e32 v11, v43, v11
	s_lshl_b32 s14, s14, 2
	v_fma_f32 v10, -v11, v42, v10
	v_mov_b32_e32 v42, s14
	s_add_i32 s14, s19, s13
	s_lshl_b32 s14, s14, 2
	s_waitcnt lgkmcnt(1)
	v_mul_f32_e32 v10, v44, v10
	v_mov_b32_e32 v44, s14
	s_add_i32 s14, s19, s12
	s_waitcnt lgkmcnt(0)
	v_mul_f32_e32 v39, v7, v39
	s_lshl_b32 s14, s14, 2
	ds_read2_b32 v[40:41], v40 offset1:1
	ds_read2_b32 v[42:43], v42 offset1:1
	;; [unrolled: 1-line block ×3, first 2 shown]
	v_fma_f32 v9, v9, s16, -v39
	v_mov_b32_e32 v39, s14
	s_lshl_b32 s14, s17, 5
	s_add_i32 s17, s19, s14
	s_lshl_b32 s17, s17, 2
	s_waitcnt lgkmcnt(2)
	v_fma_f32 v9, -v6, v41, v9
	v_mov_b32_e32 v41, s17
	s_add_i32 s17, s15, 0xfffffce8
	ds_read2_b32 v[46:47], v39 offset1:1
	ds_read2_b32 v[48:49], v41 offset1:1
	v_mov_b32_e32 v39, s17
	ds_read_b32 v39, v39
	s_add_i32 s17, s7, 0xffffff20
	s_waitcnt lgkmcnt(4)
	v_fma_f32 v9, -v5, v43, v9
	s_add_i32 s20, s19, s17
	s_waitcnt lgkmcnt(3)
	v_fma_f32 v9, -v4, v45, v9
	v_mul_f32_e32 v38, v7, v38
	s_lshl_b32 s20, s20, 2
	s_waitcnt lgkmcnt(2)
	v_fma_f32 v9, -v11, v47, v9
	v_fma_f32 v8, v8, s16, -v38
	v_mov_b32_e32 v38, s20
	s_waitcnt lgkmcnt(1)
	v_fma_f32 v9, -v10, v49, v9
	v_fma_f32 v8, -v6, v40, v8
	ds_read_b32 v38, v38
	s_add_i32 s20, s15, 0xfffffc64
	s_waitcnt lgkmcnt(1)
	v_mul_f32_e32 v9, v39, v9
	v_fma_f32 v8, -v5, v42, v8
	v_mov_b32_e32 v39, s20
	ds_read_b32 v39, v39
	v_fma_f32 v8, -v4, v44, v8
	v_fma_f32 v8, -v11, v46, v8
	s_add_i32 s20, s21, s8
	v_fma_f32 v8, -v10, v48, v8
	s_lshl_b32 s20, s20, 2
	s_waitcnt lgkmcnt(1)
	v_fma_f32 v8, -v9, v38, v8
	v_mov_b32_e32 v38, s20
	s_add_i32 s20, s21, s11
	s_lshl_b32 s20, s20, 2
	s_waitcnt lgkmcnt(0)
	v_mul_f32_e32 v8, v39, v8
	v_mov_b32_e32 v40, s20
	s_add_i32 s20, s21, s9
	ds_read2_b32 v[38:39], v38 offset1:1
	s_lshl_b32 s20, s20, 2
	v_mov_b32_e32 v42, s20
	s_add_i32 s20, s21, s13
	s_lshl_b32 s20, s20, 2
	global_store_dwordx4 v[36:37], v[8:11], off offset:-32
	v_mov_b32_e32 v44, s20
	s_add_i32 s20, s21, s12
	ds_read2_b32 v[40:41], v40 offset1:1
	ds_read2_b32 v[42:43], v42 offset1:1
	;; [unrolled: 1-line block ×3, first 2 shown]
	s_waitcnt lgkmcnt(3)
	v_mul_f32_e32 v39, v7, v39
	s_lshl_b32 s20, s20, 2
	s_waitcnt vmcnt(7)
	v_fma_f32 v15, v15, s16, -v39
	v_mov_b32_e32 v39, s20
	s_add_i32 s20, s21, s14
	s_lshl_b32 s20, s20, 2
	s_waitcnt lgkmcnt(2)
	v_fma_f32 v15, -v6, v41, v15
	v_mov_b32_e32 v41, s20
	s_add_i32 s20, s21, s17
	s_lshl_b32 s20, s20, 2
	s_lshl_b32 s19, s19, 5
	s_waitcnt lgkmcnt(1)
	v_fma_f32 v15, -v5, v43, v15
	v_mov_b32_e32 v43, s20
	s_add_i32 s20, s21, s19
	s_lshl_b32 s20, s20, 2
	s_waitcnt lgkmcnt(0)
	v_fma_f32 v15, -v4, v45, v15
	v_mov_b32_e32 v45, s20
	s_add_i32 s20, s15, 0xfffffbe0
	ds_read2_b32 v[46:47], v39 offset1:1
	ds_read2_b32 v[48:49], v41 offset1:1
	;; [unrolled: 1-line block ×4, first 2 shown]
	v_mov_b32_e32 v39, s20
	ds_read_b32 v39, v39
	v_mul_f32_e32 v38, v7, v38
	s_add_i32 s20, s7, 0xfffffee0
	s_waitcnt lgkmcnt(4)
	v_fma_f32 v15, -v11, v47, v15
	v_fma_f32 v14, v14, s16, -v38
	s_add_i32 s22, s21, s20
	s_waitcnt lgkmcnt(3)
	v_fma_f32 v15, -v10, v49, v15
	v_fma_f32 v14, -v6, v40, v14
	s_lshl_b32 s22, s22, 2
	s_waitcnt lgkmcnt(2)
	v_fma_f32 v15, -v9, v51, v15
	v_fma_f32 v14, -v5, v42, v14
	v_mov_b32_e32 v38, s22
	s_waitcnt lgkmcnt(1)
	v_fma_f32 v15, -v8, v53, v15
	v_fma_f32 v14, -v4, v44, v14
	ds_read_b32 v38, v38
	s_add_i32 s22, s15, 0xfffffb5c
	s_waitcnt lgkmcnt(1)
	v_mul_f32_e32 v15, v39, v15
	v_fma_f32 v14, -v11, v46, v14
	v_mov_b32_e32 v39, s22
	ds_read_b32 v39, v39
	v_fma_f32 v14, -v10, v48, v14
	v_fma_f32 v14, -v9, v50, v14
	s_add_i32 s22, s23, s8
	v_fma_f32 v14, -v8, v52, v14
	s_lshl_b32 s22, s22, 2
	s_waitcnt lgkmcnt(1)
	v_fma_f32 v14, -v15, v38, v14
	v_mov_b32_e32 v38, s22
	s_add_i32 s22, s23, s11
	s_lshl_b32 s22, s22, 2
	s_waitcnt lgkmcnt(0)
	v_mul_f32_e32 v14, v39, v14
	v_mov_b32_e32 v40, s22
	s_add_i32 s22, s23, s9
	ds_read2_b32 v[38:39], v38 offset1:1
	s_lshl_b32 s22, s22, 2
	v_mov_b32_e32 v42, s22
	s_add_i32 s22, s23, s13
	s_lshl_b32 s22, s22, 2
	v_mov_b32_e32 v44, s22
	s_add_i32 s22, s23, s12
	ds_read2_b32 v[40:41], v40 offset1:1
	ds_read2_b32 v[42:43], v42 offset1:1
	;; [unrolled: 1-line block ×3, first 2 shown]
	s_waitcnt lgkmcnt(3)
	v_mul_f32_e32 v39, v7, v39
	s_lshl_b32 s22, s22, 2
	v_fma_f32 v13, v13, s16, -v39
	v_mov_b32_e32 v39, s22
	s_add_i32 s22, s23, s14
	s_lshl_b32 s22, s22, 2
	s_waitcnt lgkmcnt(2)
	v_fma_f32 v13, -v6, v41, v13
	v_mov_b32_e32 v41, s22
	s_add_i32 s22, s23, s17
	s_lshl_b32 s22, s22, 2
	s_waitcnt lgkmcnt(1)
	v_fma_f32 v13, -v5, v43, v13
	v_mov_b32_e32 v43, s22
	s_add_i32 s22, s23, s19
	s_lshl_b32 s22, s22, 2
	ds_read2_b32 v[46:47], v39 offset1:1
	ds_read2_b32 v[48:49], v41 offset1:1
	v_mov_b32_e32 v39, s22
	s_add_i32 s22, s23, s20
	s_lshl_b32 s22, s22, 2
	s_lshl_b32 s21, s21, 5
	ds_read2_b32 v[50:51], v43 offset1:1
	ds_read2_b32 v[52:53], v39 offset1:1
	v_mov_b32_e32 v39, s22
	s_add_i32 s22, s23, s21
	s_waitcnt lgkmcnt(4)
	v_fma_f32 v13, -v4, v45, v13
	s_lshl_b32 s22, s22, 2
	s_addk_i32 s15, 0xfad8
	s_waitcnt lgkmcnt(3)
	v_fma_f32 v13, -v11, v47, v13
	v_mov_b32_e32 v41, s22
	ds_read2_b32 v[54:55], v39 offset1:1
	ds_read2_b32 v[56:57], v41 offset1:1
	v_mov_b32_e32 v39, s15
	s_waitcnt lgkmcnt(4)
	v_fma_f32 v13, -v10, v49, v13
	ds_read_b32 v39, v39
	s_add_i32 s22, s7, 0xfffffea0
	s_waitcnt lgkmcnt(4)
	v_fma_f32 v13, -v9, v51, v13
	s_add_i32 s15, s23, s22
	s_waitcnt lgkmcnt(3)
	v_fma_f32 v13, -v8, v53, v13
	v_mul_f32_e32 v38, v7, v38
	s_lshl_b32 s15, s15, 2
	s_waitcnt lgkmcnt(2)
	v_fma_f32 v13, -v15, v55, v13
	v_fma_f32 v12, v12, s16, -v38
	v_mov_b32_e32 v38, s15
	s_mul_i32 s15, s18, 0x84
	s_waitcnt lgkmcnt(1)
	v_fma_f32 v13, -v14, v57, v13
	s_add_i32 s24, s15, 0xfffff9d0
	s_waitcnt lgkmcnt(0)
	v_mul_f32_e32 v13, v39, v13
	v_mov_b32_e32 v39, s24
	s_add_i32 s24, s25, s8
	s_lshl_b32 s24, s24, 2
	v_fma_f32 v12, -v6, v40, v12
	v_mov_b32_e32 v40, s24
	s_add_i32 s24, s25, s11
	s_lshl_b32 s24, s24, 2
	v_mov_b32_e32 v41, s24
	v_fma_f32 v12, -v5, v42, v12
	ds_read_b32 v42, v38
	ds_read_b32 v43, v39
	ds_read2_b32 v[38:39], v40 offset1:1
	ds_read2_b32 v[40:41], v41 offset1:1
	v_fma_f32 v12, -v4, v44, v12
	v_fma_f32 v12, -v11, v46, v12
	;; [unrolled: 1-line block ×3, first 2 shown]
	s_add_i32 s24, s25, s9
	v_fma_f32 v12, -v9, v50, v12
	s_waitcnt lgkmcnt(1)
	v_mul_f32_e32 v39, v7, v39
	s_lshl_b32 s24, s24, 2
	v_fma_f32 v12, -v8, v52, v12
	s_waitcnt vmcnt(3)
	v_fma_f32 v19, v19, s16, -v39
	v_mov_b32_e32 v39, s24
	s_add_i32 s24, s25, s13
	v_fma_f32 v12, -v15, v54, v12
	s_lshl_b32 s24, s24, 2
	v_fma_f32 v12, -v14, v56, v12
	s_waitcnt lgkmcnt(0)
	v_fma_f32 v19, -v6, v41, v19
	v_mov_b32_e32 v41, s24
	s_add_i32 s24, s25, s12
	v_fma_f32 v12, -v13, v42, v12
	s_lshl_b32 s24, s24, 2
	v_mul_f32_e32 v12, v43, v12
	v_mov_b32_e32 v46, s24
	s_add_i32 s24, s25, s14
	global_store_dwordx4 v[36:37], v[12:15], off offset:-48
	s_lshl_b32 s24, s24, 2
	ds_read2_b32 v[42:43], v39 offset1:1
	ds_read2_b32 v[44:45], v41 offset1:1
	;; [unrolled: 1-line block ×3, first 2 shown]
	v_mov_b32_e32 v39, s24
	s_add_i32 s24, s25, s17
	s_lshl_b32 s24, s24, 2
	ds_read2_b32 v[48:49], v39 offset1:1
	v_mov_b32_e32 v39, s24
	s_add_i32 s24, s25, s19
	s_lshl_b32 s24, s24, 2
	v_mov_b32_e32 v41, s24
	s_add_i32 s24, s25, s20
	s_lshl_b32 s24, s24, 2
	s_waitcnt lgkmcnt(3)
	v_fma_f32 v19, -v5, v43, v19
	v_mov_b32_e32 v43, s24
	s_add_i32 s24, s25, s21
	s_lshl_b32 s24, s24, 2
	s_waitcnt lgkmcnt(2)
	v_fma_f32 v19, -v4, v45, v19
	v_mov_b32_e32 v45, s24
	s_add_i32 s24, s25, s22
	s_lshl_b32 s24, s24, 2
	v_mul_f32_e32 v38, v7, v38
	ds_read2_b32 v[50:51], v39 offset1:1
	ds_read2_b32 v[52:53], v41 offset1:1
	;; [unrolled: 1-line block ×4, first 2 shown]
	v_mov_b32_e32 v39, s24
	s_lshl_b32 s24, s23, 5
	v_fma_f32 v18, v18, s16, -v38
	s_add_i32 s23, s25, s24
	v_fma_f32 v18, -v6, v40, v18
	s_lshl_b32 s23, s23, 2
	v_fma_f32 v18, -v5, v42, v18
	s_waitcnt lgkmcnt(5)
	v_fma_f32 v19, -v11, v47, v19
	v_mov_b32_e32 v41, s23
	s_add_i32 s23, s7, 0xfffffe60
	v_fma_f32 v18, -v4, v44, v18
	s_waitcnt lgkmcnt(4)
	v_fma_f32 v19, -v10, v49, v19
	s_add_i32 s26, s25, s23
	v_fma_f32 v18, -v11, v46, v18
	s_waitcnt lgkmcnt(3)
	v_fma_f32 v19, -v9, v51, v19
	s_lshl_b32 s26, s26, 2
	v_fma_f32 v18, -v10, v48, v18
	s_waitcnt lgkmcnt(2)
	v_fma_f32 v19, -v8, v53, v19
	v_mov_b32_e32 v43, s26
	s_add_i32 s26, s15, 0xfffff8c8
	ds_read2_b32 v[58:59], v39 offset1:1
	ds_read2_b32 v[60:61], v41 offset1:1
	;; [unrolled: 1-line block ×3, first 2 shown]
	v_fma_f32 v18, -v9, v50, v18
	s_waitcnt lgkmcnt(4)
	v_fma_f32 v19, -v15, v55, v19
	v_mov_b32_e32 v39, s26
	v_fma_f32 v18, -v8, v52, v18
	s_waitcnt lgkmcnt(3)
	v_fma_f32 v19, -v14, v57, v19
	ds_read_b32 v39, v39
	v_fma_f32 v18, -v15, v54, v18
	s_waitcnt lgkmcnt(3)
	v_fma_f32 v19, -v13, v59, v19
	v_fma_f32 v18, -v14, v56, v18
	s_add_i32 s26, s27, s8
	s_waitcnt lgkmcnt(2)
	v_fma_f32 v19, -v12, v61, v19
	v_fma_f32 v18, -v13, v58, v18
	s_lshl_b32 s26, s26, 2
	s_waitcnt lgkmcnt(1)
	v_mul_f32_e32 v19, v63, v19
	v_fma_f32 v18, -v12, v60, v18
	v_mov_b32_e32 v38, s26
	s_add_i32 s26, s27, s11
	v_fma_f32 v18, -v19, v62, v18
	s_lshl_b32 s26, s26, 2
	s_waitcnt lgkmcnt(0)
	v_mul_f32_e32 v18, v39, v18
	v_mov_b32_e32 v40, s26
	s_add_i32 s26, s27, s9
	ds_read2_b32 v[38:39], v38 offset1:1
	s_lshl_b32 s26, s26, 2
	v_mov_b32_e32 v42, s26
	s_add_i32 s26, s27, s13
	s_lshl_b32 s26, s26, 2
	v_mov_b32_e32 v44, s26
	s_add_i32 s26, s27, s12
	ds_read2_b32 v[40:41], v40 offset1:1
	ds_read2_b32 v[42:43], v42 offset1:1
	;; [unrolled: 1-line block ×3, first 2 shown]
	s_waitcnt lgkmcnt(3)
	v_mul_f32_e32 v39, v7, v39
	s_lshl_b32 s26, s26, 2
	v_fma_f32 v17, v17, s16, -v39
	v_mov_b32_e32 v39, s26
	s_add_i32 s26, s27, s14
	s_lshl_b32 s26, s26, 2
	s_waitcnt lgkmcnt(2)
	v_fma_f32 v17, -v6, v41, v17
	v_mov_b32_e32 v41, s26
	s_add_i32 s26, s27, s17
	s_lshl_b32 s26, s26, 2
	s_waitcnt lgkmcnt(1)
	v_fma_f32 v17, -v5, v43, v17
	v_mov_b32_e32 v43, s26
	s_add_i32 s26, s27, s19
	s_lshl_b32 s26, s26, 2
	ds_read2_b32 v[46:47], v39 offset1:1
	ds_read2_b32 v[48:49], v41 offset1:1
	;; [unrolled: 1-line block ×3, first 2 shown]
	v_mov_b32_e32 v39, s26
	s_add_i32 s26, s27, s20
	s_lshl_b32 s26, s26, 2
	ds_read2_b32 v[52:53], v39 offset1:1
	v_mov_b32_e32 v39, s26
	s_add_i32 s26, s27, s21
	s_lshl_b32 s26, s26, 2
	v_mov_b32_e32 v41, s26
	s_add_i32 s26, s27, s22
	s_lshl_b32 s26, s26, 2
	v_mov_b32_e32 v43, s26
	s_add_i32 s26, s27, s24
	v_mul_f32_e32 v38, v7, v38
	s_lshl_b32 s26, s26, 2
	v_fma_f32 v16, v16, s16, -v38
	s_waitcnt lgkmcnt(4)
	v_fma_f32 v17, -v4, v45, v17
	v_mov_b32_e32 v45, s26
	s_add_i32 s26, s27, s23
	v_fma_f32 v16, -v6, v40, v16
	s_lshl_b32 s26, s26, 2
	s_lshl_b32 s25, s25, 5
	v_fma_f32 v16, -v5, v42, v16
	s_waitcnt lgkmcnt(3)
	v_fma_f32 v17, -v11, v47, v17
	ds_read2_b32 v[54:55], v39 offset1:1
	ds_read2_b32 v[56:57], v41 offset1:1
	;; [unrolled: 1-line block ×4, first 2 shown]
	v_mov_b32_e32 v39, s26
	s_add_i32 s26, s27, s25
	v_fma_f32 v16, -v4, v44, v16
	s_waitcnt lgkmcnt(6)
	v_fma_f32 v17, -v10, v49, v17
	s_lshl_b32 s26, s26, 2
	v_fma_f32 v16, -v11, v46, v16
	s_waitcnt lgkmcnt(5)
	v_fma_f32 v17, -v9, v51, v17
	v_mov_b32_e32 v41, s26
	s_add_i32 s26, s7, 0xfffffe20
	v_fma_f32 v16, -v10, v48, v16
	s_waitcnt lgkmcnt(4)
	v_fma_f32 v17, -v8, v53, v17
	s_add_i32 s28, s27, s26
	v_fma_f32 v16, -v9, v50, v16
	s_waitcnt lgkmcnt(3)
	v_fma_f32 v17, -v15, v55, v17
	s_lshl_b32 s28, s28, 2
	v_fma_f32 v16, -v8, v52, v16
	s_waitcnt lgkmcnt(2)
	v_fma_f32 v17, -v14, v57, v17
	v_mov_b32_e32 v43, s28
	s_add_i32 s28, s15, 0xfffff7c0
	ds_read2_b32 v[62:63], v39 offset1:1
	ds_read2_b32 v[64:65], v41 offset1:1
	;; [unrolled: 1-line block ×3, first 2 shown]
	v_fma_f32 v16, -v15, v54, v16
	s_waitcnt lgkmcnt(4)
	v_fma_f32 v17, -v13, v59, v17
	v_mov_b32_e32 v39, s28
	v_fma_f32 v16, -v14, v56, v16
	s_waitcnt lgkmcnt(3)
	v_fma_f32 v17, -v12, v61, v17
	ds_read_b32 v39, v39
	v_fma_f32 v16, -v13, v58, v16
	s_waitcnt lgkmcnt(3)
	v_fma_f32 v17, -v19, v63, v17
	v_fma_f32 v16, -v12, v60, v16
	s_add_i32 s28, s29, s8
	s_waitcnt lgkmcnt(2)
	v_fma_f32 v17, -v18, v65, v17
	v_fma_f32 v16, -v19, v62, v16
	s_lshl_b32 s28, s28, 2
	s_waitcnt lgkmcnt(1)
	v_mul_f32_e32 v17, v67, v17
	v_fma_f32 v16, -v18, v64, v16
	v_mov_b32_e32 v38, s28
	s_add_i32 s28, s29, s11
	v_fma_f32 v16, -v17, v66, v16
	s_lshl_b32 s28, s28, 2
	s_waitcnt lgkmcnt(0)
	v_mul_f32_e32 v16, v39, v16
	v_mov_b32_e32 v40, s28
	s_add_i32 s28, s29, s9
	ds_read2_b32 v[38:39], v38 offset1:1
	s_lshl_b32 s28, s28, 2
	v_mov_b32_e32 v42, s28
	s_add_i32 s28, s29, s13
	s_lshl_b32 s28, s28, 2
	global_store_dwordx4 v[36:37], v[16:19], off offset:-64
	v_mov_b32_e32 v44, s28
	s_add_i32 s28, s29, s12
	ds_read2_b32 v[40:41], v40 offset1:1
	ds_read2_b32 v[42:43], v42 offset1:1
	;; [unrolled: 1-line block ×3, first 2 shown]
	s_waitcnt lgkmcnt(3)
	v_mul_f32_e32 v39, v7, v39
	s_lshl_b32 s28, s28, 2
	s_waitcnt vmcnt(4)
	v_fma_f32 v27, v27, s16, -v39
	v_mov_b32_e32 v39, s28
	s_add_i32 s28, s29, s14
	s_lshl_b32 s28, s28, 2
	s_waitcnt lgkmcnt(2)
	v_fma_f32 v27, -v6, v41, v27
	v_mov_b32_e32 v41, s28
	s_add_i32 s28, s29, s17
	s_lshl_b32 s28, s28, 2
	s_waitcnt lgkmcnt(1)
	v_fma_f32 v27, -v5, v43, v27
	v_mov_b32_e32 v43, s28
	s_add_i32 s28, s29, s19
	s_lshl_b32 s28, s28, 2
	v_mov_b32_e32 v52, s28
	s_add_i32 s28, s29, s20
	s_lshl_b32 s28, s28, 2
	ds_read2_b32 v[46:47], v39 offset1:1
	ds_read2_b32 v[48:49], v41 offset1:1
	;; [unrolled: 1-line block ×4, first 2 shown]
	v_mov_b32_e32 v39, s28
	s_add_i32 s28, s29, s21
	s_lshl_b32 s28, s28, 2
	v_mov_b32_e32 v41, s28
	s_add_i32 s28, s29, s22
	s_lshl_b32 s28, s28, 2
	;; [unrolled: 3-line block ×3, first 2 shown]
	ds_read2_b32 v[54:55], v39 offset1:1
	ds_read2_b32 v[56:57], v41 offset1:1
	ds_read2_b32 v[58:59], v43 offset1:1
	v_mov_b32_e32 v39, s28
	s_add_i32 s28, s29, s23
	s_lshl_b32 s28, s28, 2
	ds_read2_b32 v[60:61], v39 offset1:1
	v_mov_b32_e32 v39, s28
	s_add_i32 s28, s29, s25
	s_lshl_b32 s28, s28, 2
	v_mov_b32_e32 v41, s28
	s_add_i32 s28, s29, s26
	s_lshl_b32 s28, s28, 2
	s_lshl_b32 s27, s27, 5
	v_mov_b32_e32 v43, s28
	s_add_i32 s28, s29, s27
	s_lshl_b32 s28, s28, 2
	s_waitcnt lgkmcnt(8)
	v_fma_f32 v27, -v4, v45, v27
	v_mov_b32_e32 v45, s28
	s_add_i32 s28, s7, 0xfffffde0
	v_mul_f32_e32 v38, v7, v38
	s_add_i32 s30, s29, s28
	v_fma_f32 v26, v26, s16, -v38
	s_lshl_b32 s30, s30, 2
	v_fma_f32 v26, -v6, v40, v26
	ds_read2_b32 v[62:63], v39 offset1:1
	ds_read2_b32 v[64:65], v41 offset1:1
	;; [unrolled: 1-line block ×4, first 2 shown]
	v_mov_b32_e32 v39, s30
	s_add_i32 s30, s15, 0xfffff6b8
	v_fma_f32 v26, -v5, v42, v26
	s_waitcnt lgkmcnt(11)
	v_fma_f32 v27, -v11, v47, v27
	v_mov_b32_e32 v41, s30
	s_add_i32 s30, s31, s8
	v_fma_f32 v26, -v4, v44, v26
	s_waitcnt lgkmcnt(10)
	v_fma_f32 v27, -v10, v49, v27
	s_lshl_b32 s30, s30, 2
	v_fma_f32 v26, -v11, v46, v26
	s_waitcnt lgkmcnt(9)
	v_fma_f32 v27, -v9, v51, v27
	v_mov_b32_e32 v43, s30
	s_add_i32 s30, s31, s11
	v_fma_f32 v26, -v10, v48, v26
	s_waitcnt lgkmcnt(8)
	v_fma_f32 v27, -v8, v53, v27
	s_lshl_b32 s30, s30, 2
	v_fma_f32 v26, -v9, v50, v26
	s_waitcnt lgkmcnt(7)
	v_fma_f32 v27, -v15, v55, v27
	ds_read2_b32 v[70:71], v39 offset1:1
	v_mov_b32_e32 v39, s30
	ds_read_b32 v41, v41
	ds_read2_b32 v[72:73], v43 offset1:1
	ds_read2_b32 v[74:75], v39 offset1:1
	v_fma_f32 v26, -v8, v52, v26
	s_waitcnt lgkmcnt(10)
	v_fma_f32 v27, -v14, v57, v27
	v_fma_f32 v26, -v15, v54, v26
	s_waitcnt lgkmcnt(9)
	v_fma_f32 v27, -v13, v59, v27
	;; [unrolled: 3-line block ×3, first 2 shown]
	v_fma_f32 v26, -v13, v58, v26
	s_add_i32 s30, s31, s9
	s_waitcnt lgkmcnt(7)
	v_fma_f32 v27, -v19, v63, v27
	v_fma_f32 v26, -v12, v60, v26
	s_waitcnt lgkmcnt(1)
	v_mul_f32_e32 v38, v7, v73
	s_lshl_b32 s30, s30, 2
	v_fma_f32 v27, -v18, v65, v27
	v_fma_f32 v26, -v19, v62, v26
	v_fma_f32 v25, v25, s16, -v38
	v_mov_b32_e32 v38, s30
	s_add_i32 s30, s31, s13
	v_fma_f32 v27, -v17, v67, v27
	v_fma_f32 v26, -v18, v64, v26
	s_lshl_b32 s30, s30, 2
	v_fma_f32 v27, -v16, v69, v27
	v_fma_f32 v26, -v17, v66, v26
	v_mov_b32_e32 v40, s30
	s_add_i32 s30, s31, s12
	v_mul_f32_e32 v27, v71, v27
	v_fma_f32 v26, -v16, v68, v26
	s_lshl_b32 s30, s30, 2
	v_fma_f32 v26, -v27, v70, v26
	v_mov_b32_e32 v42, s30
	s_add_i32 s30, s31, s14
	v_mul_f32_e32 v26, v41, v26
	s_lshl_b32 s30, s30, 2
	ds_read2_b32 v[38:39], v38 offset1:1
	ds_read2_b32 v[40:41], v40 offset1:1
	;; [unrolled: 1-line block ×3, first 2 shown]
	v_mov_b32_e32 v44, s30
	s_add_i32 s30, s31, s17
	s_waitcnt lgkmcnt(3)
	v_fma_f32 v25, -v6, v75, v25
	s_lshl_b32 s30, s30, 2
	s_waitcnt lgkmcnt(2)
	v_fma_f32 v25, -v5, v39, v25
	v_mov_b32_e32 v39, s30
	s_add_i32 s30, s31, s19
	s_lshl_b32 s30, s30, 2
	s_waitcnt lgkmcnt(1)
	v_fma_f32 v25, -v4, v41, v25
	v_mov_b32_e32 v41, s30
	s_add_i32 s30, s31, s20
	;; [unrolled: 5-line block ×3, first 2 shown]
	s_lshl_b32 s30, s30, 2
	v_mov_b32_e32 v52, s30
	s_add_i32 s30, s31, s22
	s_lshl_b32 s30, s30, 2
	ds_read2_b32 v[44:45], v44 offset1:1
	ds_read2_b32 v[46:47], v39 offset1:1
	;; [unrolled: 1-line block ×5, first 2 shown]
	v_mov_b32_e32 v39, s30
	s_add_i32 s30, s31, s24
	s_lshl_b32 s30, s30, 2
	v_mov_b32_e32 v41, s30
	s_add_i32 s30, s31, s23
	s_lshl_b32 s30, s30, 2
	;; [unrolled: 3-line block ×3, first 2 shown]
	ds_read2_b32 v[54:55], v39 offset1:1
	ds_read2_b32 v[56:57], v41 offset1:1
	;; [unrolled: 1-line block ×3, first 2 shown]
	v_mov_b32_e32 v39, s30
	s_add_i32 s30, s31, s26
	s_lshl_b32 s30, s30, 2
	ds_read2_b32 v[60:61], v39 offset1:1
	v_mov_b32_e32 v39, s30
	s_add_i32 s30, s31, s27
	s_lshl_b32 s30, s30, 2
	v_mov_b32_e32 v41, s30
	s_add_i32 s30, s31, s28
	s_lshl_b32 s30, s30, 2
	s_lshl_b32 s29, s29, 5
	v_mov_b32_e32 v43, s30
	s_add_i32 s30, s31, s29
	s_lshl_b32 s30, s30, 2
	s_waitcnt lgkmcnt(8)
	v_fma_f32 v25, -v10, v45, v25
	v_mov_b32_e32 v45, s30
	s_add_i32 s30, s7, 0xfffffda0
	s_add_i32 s33, s31, s30
	s_lshl_b32 s33, s33, 2
	ds_read2_b32 v[62:63], v39 offset1:1
	ds_read2_b32 v[64:65], v41 offset1:1
	;; [unrolled: 1-line block ×4, first 2 shown]
	v_mov_b32_e32 v39, s33
	s_add_i32 s33, s15, 0xfffff5b0
	v_mov_b32_e32 v41, s33
	s_add_i32 s33, s34, s8
	s_lshl_b32 s33, s33, 2
	v_mov_b32_e32 v43, s33
	s_add_i32 s33, s34, s11
	s_lshl_b32 s33, s33, 2
	ds_read2_b32 v[70:71], v39 offset1:1
	v_mov_b32_e32 v39, s33
	ds_read_b32 v41, v41
	ds_read2_b32 v[76:77], v43 offset1:1
	ds_read2_b32 v[78:79], v39 offset1:1
	v_mul_f32_e32 v39, v7, v72
	v_fma_f32 v24, v24, s16, -v39
	v_fma_f32 v24, -v6, v74, v24
	v_fma_f32 v24, -v5, v38, v24
	;; [unrolled: 1-line block ×4, first 2 shown]
	s_waitcnt lgkmcnt(14)
	v_fma_f32 v25, -v9, v47, v25
	v_fma_f32 v24, -v10, v44, v24
	;; [unrolled: 1-line block ×4, first 2 shown]
	s_waitcnt lgkmcnt(13)
	v_fma_f32 v25, -v15, v51, v25
	v_fma_f32 v24, -v8, v48, v24
	s_waitcnt lgkmcnt(12)
	v_fma_f32 v25, -v14, v53, v25
	v_fma_f32 v24, -v15, v50, v24
	;; [unrolled: 3-line block ×8, first 2 shown]
	s_add_i32 s33, s34, s9
	s_waitcnt lgkmcnt(5)
	v_fma_f32 v25, -v27, v67, v25
	v_fma_f32 v24, -v16, v64, v24
	s_waitcnt lgkmcnt(1)
	v_mul_f32_e32 v38, v7, v77
	s_lshl_b32 s33, s33, 2
	v_fma_f32 v25, -v26, v69, v25
	v_fma_f32 v24, -v27, v66, v24
	v_fma_f32 v31, v31, s16, -v38
	v_mov_b32_e32 v38, s33
	s_add_i32 s33, s34, s13
	v_mul_f32_e32 v25, v71, v25
	v_fma_f32 v24, -v26, v68, v24
	s_lshl_b32 s33, s33, 2
	v_fma_f32 v24, -v25, v70, v24
	v_mov_b32_e32 v40, s33
	s_add_i32 s33, s34, s12
	v_mul_f32_e32 v24, v41, v24
	s_lshl_b32 s33, s33, 2
	global_store_dwordx4 v[36:37], v[24:27], off offset:-80
	v_mov_b32_e32 v42, s33
	s_add_i32 s33, s34, s14
	s_lshl_b32 s33, s33, 2
	ds_read2_b32 v[38:39], v38 offset1:1
	ds_read2_b32 v[40:41], v40 offset1:1
	;; [unrolled: 1-line block ×3, first 2 shown]
	v_mov_b32_e32 v44, s33
	s_add_i32 s33, s34, s17
	s_waitcnt lgkmcnt(3)
	v_fma_f32 v31, -v6, v79, v31
	s_lshl_b32 s33, s33, 2
	s_waitcnt lgkmcnt(2)
	v_fma_f32 v31, -v5, v39, v31
	v_mov_b32_e32 v39, s33
	s_add_i32 s33, s34, s19
	s_lshl_b32 s33, s33, 2
	s_waitcnt lgkmcnt(1)
	v_fma_f32 v31, -v4, v41, v31
	v_mov_b32_e32 v41, s33
	s_add_i32 s33, s34, s20
	;; [unrolled: 5-line block ×3, first 2 shown]
	s_lshl_b32 s33, s33, 2
	v_mov_b32_e32 v52, s33
	s_add_i32 s33, s34, s22
	s_lshl_b32 s33, s33, 2
	ds_read2_b32 v[44:45], v44 offset1:1
	ds_read2_b32 v[46:47], v39 offset1:1
	;; [unrolled: 1-line block ×5, first 2 shown]
	v_mov_b32_e32 v39, s33
	s_add_i32 s33, s34, s24
	s_lshl_b32 s33, s33, 2
	v_mov_b32_e32 v41, s33
	s_add_i32 s33, s34, s23
	s_lshl_b32 s33, s33, 2
	;; [unrolled: 3-line block ×3, first 2 shown]
	ds_read2_b32 v[54:55], v39 offset1:1
	ds_read2_b32 v[56:57], v41 offset1:1
	;; [unrolled: 1-line block ×3, first 2 shown]
	v_mov_b32_e32 v39, s33
	s_add_i32 s33, s34, s26
	s_lshl_b32 s33, s33, 2
	ds_read2_b32 v[60:61], v39 offset1:1
	v_mov_b32_e32 v39, s33
	s_add_i32 s33, s34, s27
	s_lshl_b32 s33, s33, 2
	v_mov_b32_e32 v41, s33
	s_add_i32 s33, s34, s28
	s_lshl_b32 s33, s33, 2
	;; [unrolled: 3-line block ×3, first 2 shown]
	s_waitcnt lgkmcnt(8)
	v_fma_f32 v31, -v10, v45, v31
	v_mov_b32_e32 v45, s33
	s_add_i32 s33, s34, s30
	s_lshl_b32 s33, s33, 2
	ds_read2_b32 v[62:63], v39 offset1:1
	ds_read2_b32 v[64:65], v41 offset1:1
	;; [unrolled: 1-line block ×4, first 2 shown]
	v_mov_b32_e32 v39, s33
	s_lshl_b32 s33, s31, 5
	s_add_i32 s31, s34, s33
	s_lshl_b32 s31, s31, 2
	v_mov_b32_e32 v41, s31
	s_add_i32 s31, s7, 0xfffffd60
	s_add_i32 s35, s34, s31
	s_lshl_b32 s35, s35, 2
	v_mov_b32_e32 v43, s35
	ds_read2_b32 v[70:71], v39 offset1:1
	ds_read2_b32 v[72:73], v41 offset1:1
	;; [unrolled: 1-line block ×3, first 2 shown]
	v_mul_f32_e32 v41, v7, v76
	v_fma_f32 v30, v30, s16, -v41
	v_fma_f32 v30, -v6, v78, v30
	v_fma_f32 v30, -v5, v38, v30
	;; [unrolled: 1-line block ×4, first 2 shown]
	s_waitcnt lgkmcnt(14)
	v_fma_f32 v31, -v9, v47, v31
	v_fma_f32 v30, -v10, v44, v30
	s_waitcnt lgkmcnt(13)
	v_fma_f32 v31, -v8, v49, v31
	v_fma_f32 v30, -v9, v46, v30
	s_waitcnt lgkmcnt(12)
	v_fma_f32 v31, -v15, v51, v31
	v_fma_f32 v30, -v8, v48, v30
	s_waitcnt lgkmcnt(11)
	v_fma_f32 v31, -v14, v53, v31
	v_fma_f32 v30, -v15, v50, v30
	s_waitcnt lgkmcnt(10)
	v_fma_f32 v31, -v13, v55, v31
	v_fma_f32 v30, -v14, v52, v30
	s_waitcnt lgkmcnt(9)
	v_fma_f32 v31, -v12, v57, v31
	v_fma_f32 v30, -v13, v54, v30
	s_waitcnt lgkmcnt(8)
	v_fma_f32 v31, -v19, v59, v31
	v_fma_f32 v30, -v12, v56, v30
	s_waitcnt lgkmcnt(7)
	v_fma_f32 v31, -v18, v61, v31
	v_fma_f32 v30, -v19, v58, v30
	s_waitcnt lgkmcnt(6)
	v_fma_f32 v31, -v17, v63, v31
	v_fma_f32 v30, -v18, v60, v30
	s_waitcnt lgkmcnt(5)
	v_fma_f32 v31, -v16, v65, v31
	s_add_i32 s35, s15, 0xfffff4a8
	v_fma_f32 v30, -v17, v62, v30
	s_waitcnt lgkmcnt(4)
	v_fma_f32 v31, -v27, v67, v31
	v_mov_b32_e32 v39, s35
	v_fma_f32 v30, -v16, v64, v30
	s_waitcnt lgkmcnt(3)
	v_fma_f32 v31, -v26, v69, v31
	ds_read_b32 v39, v39
	v_fma_f32 v30, -v27, v66, v30
	s_waitcnt lgkmcnt(3)
	v_fma_f32 v31, -v25, v71, v31
	v_fma_f32 v30, -v26, v68, v30
	s_add_i32 s35, s36, s8
	s_waitcnt lgkmcnt(2)
	v_fma_f32 v31, -v24, v73, v31
	v_fma_f32 v30, -v25, v70, v30
	s_lshl_b32 s35, s35, 2
	s_waitcnt lgkmcnt(1)
	v_mul_f32_e32 v31, v75, v31
	v_fma_f32 v30, -v24, v72, v30
	v_mov_b32_e32 v38, s35
	s_add_i32 s35, s36, s11
	v_fma_f32 v30, -v31, v74, v30
	s_lshl_b32 s35, s35, 2
	s_waitcnt lgkmcnt(0)
	v_mul_f32_e32 v30, v39, v30
	v_mov_b32_e32 v40, s35
	s_add_i32 s35, s36, s9
	ds_read2_b32 v[38:39], v38 offset1:1
	s_lshl_b32 s35, s35, 2
	v_mov_b32_e32 v42, s35
	s_add_i32 s35, s36, s13
	s_lshl_b32 s35, s35, 2
	v_mov_b32_e32 v44, s35
	s_add_i32 s35, s36, s12
	ds_read2_b32 v[40:41], v40 offset1:1
	ds_read2_b32 v[42:43], v42 offset1:1
	;; [unrolled: 1-line block ×3, first 2 shown]
	s_waitcnt lgkmcnt(3)
	v_mul_f32_e32 v39, v7, v39
	s_lshl_b32 s35, s35, 2
	v_fma_f32 v29, v29, s16, -v39
	v_mov_b32_e32 v39, s35
	s_add_i32 s35, s36, s14
	s_lshl_b32 s35, s35, 2
	s_waitcnt lgkmcnt(2)
	v_fma_f32 v29, -v6, v41, v29
	v_mov_b32_e32 v41, s35
	s_add_i32 s35, s36, s17
	s_lshl_b32 s35, s35, 2
	s_waitcnt lgkmcnt(1)
	v_fma_f32 v29, -v5, v43, v29
	v_mov_b32_e32 v43, s35
	s_add_i32 s35, s36, s19
	s_lshl_b32 s35, s35, 2
	ds_read2_b32 v[46:47], v39 offset1:1
	ds_read2_b32 v[48:49], v41 offset1:1
	;; [unrolled: 1-line block ×3, first 2 shown]
	v_mov_b32_e32 v39, s35
	s_add_i32 s35, s36, s20
	s_lshl_b32 s35, s35, 2
	ds_read2_b32 v[52:53], v39 offset1:1
	v_mov_b32_e32 v39, s35
	s_add_i32 s35, s36, s21
	s_lshl_b32 s35, s35, 2
	v_mov_b32_e32 v41, s35
	s_add_i32 s35, s36, s22
	s_lshl_b32 s35, s35, 2
	;; [unrolled: 3-line block ×3, first 2 shown]
	s_waitcnt lgkmcnt(4)
	v_fma_f32 v29, -v4, v45, v29
	v_mov_b32_e32 v45, s35
	s_add_i32 s35, s36, s23
	s_lshl_b32 s35, s35, 2
	ds_read2_b32 v[54:55], v39 offset1:1
	ds_read2_b32 v[56:57], v41 offset1:1
	;; [unrolled: 1-line block ×4, first 2 shown]
	v_mov_b32_e32 v39, s35
	s_add_i32 s35, s36, s25
	s_lshl_b32 s35, s35, 2
	v_mov_b32_e32 v41, s35
	s_add_i32 s35, s36, s26
	s_lshl_b32 s35, s35, 2
	v_mov_b32_e32 v43, s35
	s_add_i32 s35, s36, s27
	v_mul_f32_e32 v38, v7, v38
	s_lshl_b32 s35, s35, 2
	v_fma_f32 v28, v28, s16, -v38
	ds_read2_b32 v[62:63], v39 offset1:1
	ds_read2_b32 v[64:65], v41 offset1:1
	;; [unrolled: 1-line block ×3, first 2 shown]
	v_mov_b32_e32 v39, s35
	s_add_i32 s35, s36, s28
	v_fma_f32 v28, -v6, v40, v28
	s_lshl_b32 s35, s35, 2
	v_fma_f32 v28, -v5, v42, v28
	s_waitcnt lgkmcnt(10)
	v_fma_f32 v29, -v11, v47, v29
	ds_read2_b32 v[68:69], v39 offset1:1
	v_mov_b32_e32 v39, s35
	s_add_i32 s35, s36, s29
	v_fma_f32 v28, -v4, v44, v28
	s_waitcnt lgkmcnt(10)
	v_fma_f32 v29, -v10, v49, v29
	s_lshl_b32 s35, s35, 2
	v_fma_f32 v28, -v11, v46, v28
	s_waitcnt lgkmcnt(9)
	v_fma_f32 v29, -v9, v51, v29
	v_mov_b32_e32 v41, s35
	s_add_i32 s35, s36, s30
	v_fma_f32 v28, -v10, v48, v28
	s_waitcnt lgkmcnt(8)
	v_fma_f32 v29, -v8, v53, v29
	s_lshl_b32 s35, s35, 2
	v_fma_f32 v28, -v9, v50, v28
	s_waitcnt lgkmcnt(7)
	v_fma_f32 v29, -v15, v55, v29
	;; [unrolled: 9-line block ×3, first 2 shown]
	v_mov_b32_e32 v45, s35
	s_add_i32 s35, s36, s31
	v_fma_f32 v28, -v14, v56, v28
	s_waitcnt lgkmcnt(4)
	v_fma_f32 v29, -v12, v61, v29
	s_lshl_b32 s35, s35, 2
	s_lshl_b32 s34, s34, 5
	v_fma_f32 v28, -v13, v58, v28
	s_waitcnt lgkmcnt(3)
	v_fma_f32 v29, -v19, v63, v29
	ds_read2_b32 v[70:71], v39 offset1:1
	ds_read2_b32 v[72:73], v41 offset1:1
	;; [unrolled: 1-line block ×4, first 2 shown]
	v_mov_b32_e32 v39, s35
	s_add_i32 s35, s36, s34
	v_fma_f32 v28, -v12, v60, v28
	s_waitcnt lgkmcnt(6)
	v_fma_f32 v29, -v18, v65, v29
	s_lshl_b32 s35, s35, 2
	v_fma_f32 v28, -v19, v62, v28
	s_waitcnt lgkmcnt(5)
	v_fma_f32 v29, -v17, v67, v29
	v_mov_b32_e32 v41, s35
	s_add_i32 s35, s7, 0xfffffd20
	v_fma_f32 v28, -v18, v64, v28
	s_waitcnt lgkmcnt(4)
	v_fma_f32 v29, -v16, v69, v29
	s_add_i32 s37, s36, s35
	v_fma_f32 v28, -v17, v66, v28
	s_waitcnt lgkmcnt(3)
	v_fma_f32 v29, -v27, v71, v29
	s_lshl_b32 s37, s37, 2
	v_fma_f32 v28, -v16, v68, v28
	s_waitcnt lgkmcnt(2)
	v_fma_f32 v29, -v26, v73, v29
	v_mov_b32_e32 v43, s37
	s_add_i32 s37, s15, 0xfffff3a0
	ds_read2_b32 v[78:79], v39 offset1:1
	ds_read2_b32 v[80:81], v41 offset1:1
	;; [unrolled: 1-line block ×3, first 2 shown]
	v_fma_f32 v28, -v27, v70, v28
	s_waitcnt lgkmcnt(4)
	v_fma_f32 v29, -v25, v75, v29
	v_mov_b32_e32 v39, s37
	v_fma_f32 v28, -v26, v72, v28
	s_waitcnt lgkmcnt(3)
	v_fma_f32 v29, -v24, v77, v29
	ds_read_b32 v39, v39
	v_fma_f32 v28, -v25, v74, v28
	s_waitcnt lgkmcnt(3)
	v_fma_f32 v29, -v31, v79, v29
	v_fma_f32 v28, -v24, v76, v28
	s_add_i32 s37, s38, s8
	s_waitcnt lgkmcnt(2)
	v_fma_f32 v29, -v30, v81, v29
	v_fma_f32 v28, -v31, v78, v28
	s_lshl_b32 s37, s37, 2
	s_waitcnt lgkmcnt(1)
	v_mul_f32_e32 v29, v83, v29
	v_fma_f32 v28, -v30, v80, v28
	v_mov_b32_e32 v38, s37
	s_add_i32 s37, s38, s11
	v_fma_f32 v28, -v29, v82, v28
	s_lshl_b32 s37, s37, 2
	s_waitcnt lgkmcnt(0)
	v_mul_f32_e32 v28, v39, v28
	v_mov_b32_e32 v40, s37
	s_add_i32 s37, s38, s9
	ds_read2_b32 v[38:39], v38 offset1:1
	s_lshl_b32 s37, s37, 2
	v_mov_b32_e32 v42, s37
	s_add_i32 s37, s38, s13
	s_lshl_b32 s37, s37, 2
	global_store_dwordx4 v[36:37], v[28:31], off offset:-96
	v_mov_b32_e32 v44, s37
	s_add_i32 s37, s38, s12
	ds_read2_b32 v[40:41], v40 offset1:1
	ds_read2_b32 v[42:43], v42 offset1:1
	ds_read2_b32 v[44:45], v44 offset1:1
	s_waitcnt lgkmcnt(3)
	v_mul_f32_e32 v39, v7, v39
	s_lshl_b32 s37, s37, 2
	v_fma_f32 v23, v23, s16, -v39
	v_mov_b32_e32 v39, s37
	s_add_i32 s37, s38, s14
	s_lshl_b32 s37, s37, 2
	s_waitcnt lgkmcnt(2)
	v_fma_f32 v23, -v6, v41, v23
	v_mov_b32_e32 v41, s37
	s_add_i32 s37, s38, s17
	s_lshl_b32 s37, s37, 2
	s_waitcnt lgkmcnt(1)
	v_fma_f32 v23, -v5, v43, v23
	v_mov_b32_e32 v43, s37
	s_add_i32 s37, s38, s19
	s_lshl_b32 s37, s37, 2
	v_mov_b32_e32 v52, s37
	s_add_i32 s37, s38, s20
	s_lshl_b32 s37, s37, 2
	ds_read2_b32 v[46:47], v39 offset1:1
	ds_read2_b32 v[48:49], v41 offset1:1
	;; [unrolled: 1-line block ×4, first 2 shown]
	v_mov_b32_e32 v39, s37
	s_add_i32 s37, s38, s21
	s_lshl_b32 s37, s37, 2
	v_mov_b32_e32 v41, s37
	s_add_i32 s37, s38, s22
	s_lshl_b32 s37, s37, 2
	;; [unrolled: 3-line block ×3, first 2 shown]
	ds_read2_b32 v[54:55], v39 offset1:1
	ds_read2_b32 v[56:57], v41 offset1:1
	;; [unrolled: 1-line block ×3, first 2 shown]
	v_mov_b32_e32 v39, s37
	s_add_i32 s37, s38, s23
	s_lshl_b32 s37, s37, 2
	ds_read2_b32 v[60:61], v39 offset1:1
	v_mov_b32_e32 v39, s37
	s_add_i32 s37, s38, s25
	s_lshl_b32 s37, s37, 2
	v_mov_b32_e32 v41, s37
	s_add_i32 s37, s38, s26
	s_lshl_b32 s37, s37, 2
	;; [unrolled: 3-line block ×3, first 2 shown]
	s_waitcnt lgkmcnt(8)
	v_fma_f32 v23, -v4, v45, v23
	v_mov_b32_e32 v45, s37
	s_add_i32 s37, s38, s28
	s_lshl_b32 s37, s37, 2
	ds_read2_b32 v[62:63], v39 offset1:1
	ds_read2_b32 v[64:65], v41 offset1:1
	;; [unrolled: 1-line block ×4, first 2 shown]
	v_mov_b32_e32 v39, s37
	s_add_i32 s37, s38, s29
	s_lshl_b32 s37, s37, 2
	v_mov_b32_e32 v41, s37
	s_add_i32 s37, s38, s30
	s_lshl_b32 s37, s37, 2
	;; [unrolled: 3-line block ×3, first 2 shown]
	ds_read2_b32 v[70:71], v39 offset1:1
	ds_read2_b32 v[72:73], v41 offset1:1
	;; [unrolled: 1-line block ×3, first 2 shown]
	v_mov_b32_e32 v39, s37
	s_add_i32 s37, s38, s31
	v_mul_f32_e32 v38, v7, v38
	s_lshl_b32 s37, s37, 2
	v_fma_f32 v22, v22, s16, -v38
	ds_read2_b32 v[76:77], v39 offset1:1
	v_mov_b32_e32 v39, s37
	s_add_i32 s37, s38, s34
	v_fma_f32 v22, -v6, v40, v22
	s_lshl_b32 s37, s37, 2
	v_fma_f32 v22, -v5, v42, v22
	s_waitcnt lgkmcnt(14)
	v_fma_f32 v23, -v11, v47, v23
	v_mov_b32_e32 v41, s37
	s_add_i32 s37, s38, s35
	v_fma_f32 v22, -v4, v44, v22
	v_fma_f32 v23, -v10, v49, v23
	s_lshl_b32 s37, s37, 2
	s_lshl_b32 s36, s36, 5
	v_fma_f32 v22, -v11, v46, v22
	s_waitcnt lgkmcnt(13)
	v_fma_f32 v23, -v9, v51, v23
	v_mov_b32_e32 v43, s37
	s_add_i32 s37, s38, s36
	v_fma_f32 v22, -v10, v48, v22
	s_waitcnt lgkmcnt(12)
	v_fma_f32 v23, -v8, v53, v23
	s_lshl_b32 s37, s37, 2
	v_fma_f32 v22, -v9, v50, v22
	s_waitcnt lgkmcnt(11)
	v_fma_f32 v23, -v15, v55, v23
	v_mov_b32_e32 v45, s37
	s_add_i32 s37, s7, 0xfffffce0
	v_fma_f32 v22, -v8, v52, v22
	s_waitcnt lgkmcnt(10)
	v_fma_f32 v23, -v14, v57, v23
	s_add_i32 s39, s38, s37
	v_fma_f32 v22, -v15, v54, v22
	s_waitcnt lgkmcnt(9)
	v_fma_f32 v23, -v13, v59, v23
	s_lshl_b32 s39, s39, 2
	v_fma_f32 v22, -v14, v56, v22
	s_waitcnt lgkmcnt(8)
	v_fma_f32 v23, -v12, v61, v23
	ds_read2_b32 v[78:79], v39 offset1:1
	ds_read2_b32 v[80:81], v41 offset1:1
	;; [unrolled: 1-line block ×4, first 2 shown]
	v_mov_b32_e32 v39, s39
	s_add_i32 s39, s15, 0xfffff298
	v_fma_f32 v22, -v13, v58, v22
	s_waitcnt lgkmcnt(11)
	v_fma_f32 v23, -v19, v63, v23
	v_mov_b32_e32 v41, s39
	s_add_i32 s39, s41, s8
	v_fma_f32 v22, -v12, v60, v22
	s_waitcnt lgkmcnt(10)
	v_fma_f32 v23, -v18, v65, v23
	s_lshl_b32 s39, s39, 2
	v_fma_f32 v22, -v19, v62, v22
	s_waitcnt lgkmcnt(9)
	v_fma_f32 v23, -v17, v67, v23
	v_mov_b32_e32 v43, s39
	s_add_i32 s39, s41, s11
	v_fma_f32 v22, -v18, v64, v22
	s_waitcnt lgkmcnt(8)
	v_fma_f32 v23, -v16, v69, v23
	s_lshl_b32 s39, s39, 2
	v_fma_f32 v22, -v17, v66, v22
	s_waitcnt lgkmcnt(7)
	v_fma_f32 v23, -v27, v71, v23
	ds_read2_b32 v[86:87], v39 offset1:1
	v_mov_b32_e32 v39, s39
	ds_read_b32 v41, v41
	ds_read2_b32 v[88:89], v43 offset1:1
	ds_read2_b32 v[90:91], v39 offset1:1
	v_fma_f32 v22, -v16, v68, v22
	s_waitcnt lgkmcnt(10)
	v_fma_f32 v23, -v26, v73, v23
	v_fma_f32 v22, -v27, v70, v22
	s_waitcnt lgkmcnt(9)
	v_fma_f32 v23, -v25, v75, v23
	;; [unrolled: 3-line block ×3, first 2 shown]
	v_fma_f32 v22, -v25, v74, v22
	s_add_i32 s39, s41, s9
	s_waitcnt lgkmcnt(7)
	v_fma_f32 v23, -v31, v79, v23
	v_fma_f32 v22, -v24, v76, v22
	s_waitcnt lgkmcnt(1)
	v_mul_f32_e32 v38, v7, v89
	s_lshl_b32 s39, s39, 2
	v_fma_f32 v23, -v30, v81, v23
	v_fma_f32 v22, -v31, v78, v22
	v_fma_f32 v21, v21, s16, -v38
	v_mov_b32_e32 v38, s39
	s_add_i32 s39, s41, s13
	v_fma_f32 v23, -v29, v83, v23
	v_fma_f32 v22, -v30, v80, v22
	s_lshl_b32 s39, s39, 2
	v_fma_f32 v23, -v28, v85, v23
	v_fma_f32 v22, -v29, v82, v22
	v_mov_b32_e32 v40, s39
	s_add_i32 s39, s41, s12
	v_mul_f32_e32 v23, v87, v23
	v_fma_f32 v22, -v28, v84, v22
	s_lshl_b32 s39, s39, 2
	v_fma_f32 v22, -v23, v86, v22
	v_mov_b32_e32 v42, s39
	s_add_i32 s39, s41, s14
	v_mul_f32_e32 v22, v41, v22
	s_lshl_b32 s39, s39, 2
	ds_read2_b32 v[38:39], v38 offset1:1
	ds_read2_b32 v[40:41], v40 offset1:1
	;; [unrolled: 1-line block ×3, first 2 shown]
	v_mov_b32_e32 v44, s39
	s_add_i32 s39, s41, s17
	s_waitcnt lgkmcnt(3)
	v_fma_f32 v21, -v6, v91, v21
	s_lshl_b32 s39, s39, 2
	s_waitcnt lgkmcnt(2)
	v_fma_f32 v21, -v5, v39, v21
	v_mov_b32_e32 v39, s39
	s_add_i32 s39, s41, s19
	s_lshl_b32 s39, s39, 2
	s_waitcnt lgkmcnt(1)
	v_fma_f32 v21, -v4, v41, v21
	v_mov_b32_e32 v41, s39
	s_add_i32 s39, s41, s20
	;; [unrolled: 5-line block ×3, first 2 shown]
	s_lshl_b32 s39, s39, 2
	v_mov_b32_e32 v52, s39
	s_add_i32 s39, s41, s22
	s_lshl_b32 s39, s39, 2
	ds_read2_b32 v[44:45], v44 offset1:1
	ds_read2_b32 v[46:47], v39 offset1:1
	;; [unrolled: 1-line block ×5, first 2 shown]
	v_mov_b32_e32 v39, s39
	s_add_i32 s39, s41, s24
	s_lshl_b32 s39, s39, 2
	v_mov_b32_e32 v41, s39
	s_add_i32 s39, s41, s23
	s_lshl_b32 s39, s39, 2
	;; [unrolled: 3-line block ×3, first 2 shown]
	ds_read2_b32 v[54:55], v39 offset1:1
	ds_read2_b32 v[56:57], v41 offset1:1
	;; [unrolled: 1-line block ×3, first 2 shown]
	v_mov_b32_e32 v39, s39
	s_add_i32 s39, s41, s26
	s_lshl_b32 s39, s39, 2
	ds_read2_b32 v[60:61], v39 offset1:1
	v_mov_b32_e32 v39, s39
	s_add_i32 s39, s41, s27
	s_lshl_b32 s39, s39, 2
	v_mov_b32_e32 v41, s39
	s_add_i32 s39, s41, s28
	s_lshl_b32 s39, s39, 2
	;; [unrolled: 3-line block ×3, first 2 shown]
	s_waitcnt lgkmcnt(8)
	v_fma_f32 v21, -v10, v45, v21
	v_mov_b32_e32 v45, s39
	s_add_i32 s39, s41, s30
	s_lshl_b32 s39, s39, 2
	ds_read2_b32 v[62:63], v39 offset1:1
	ds_read2_b32 v[64:65], v41 offset1:1
	;; [unrolled: 1-line block ×4, first 2 shown]
	v_mov_b32_e32 v39, s39
	s_add_i32 s39, s41, s33
	s_lshl_b32 s39, s39, 2
	v_mov_b32_e32 v41, s39
	s_add_i32 s39, s41, s31
	s_lshl_b32 s39, s39, 2
	;; [unrolled: 3-line block ×3, first 2 shown]
	ds_read2_b32 v[70:71], v39 offset1:1
	ds_read2_b32 v[72:73], v41 offset1:1
	;; [unrolled: 1-line block ×3, first 2 shown]
	v_mov_b32_e32 v39, s39
	s_add_i32 s39, s41, s35
	s_lshl_b32 s39, s39, 2
	ds_read2_b32 v[76:77], v39 offset1:1
	v_mov_b32_e32 v39, s39
	s_add_i32 s39, s41, s36
	s_lshl_b32 s39, s39, 2
	v_mov_b32_e32 v41, s39
	s_add_i32 s39, s41, s37
	s_lshl_b32 s39, s39, 2
	s_lshl_b32 s38, s38, 5
	v_mov_b32_e32 v43, s39
	s_add_i32 s39, s41, s38
	s_lshl_b32 s39, s39, 2
	v_mov_b32_e32 v45, s39
	s_add_i32 s39, s7, 0xfffffca0
	s_add_i32 s40, s41, s39
	s_lshl_b32 s40, s40, 2
	ds_read2_b32 v[78:79], v39 offset1:1
	ds_read2_b32 v[80:81], v41 offset1:1
	;; [unrolled: 1-line block ×4, first 2 shown]
	v_mov_b32_e32 v39, s40
	s_add_i32 s40, s15, 0xfffff190
	v_mov_b32_e32 v41, s40
	s_sub_i32 s40, s18, 30
	s_add_i32 s42, s40, s8
	s_lshl_b32 s42, s42, 2
	v_mov_b32_e32 v43, s42
	s_add_i32 s42, s40, s11
	s_lshl_b32 s42, s42, 2
	ds_read2_b32 v[86:87], v39 offset1:1
	v_mov_b32_e32 v39, s42
	ds_read_b32 v41, v41
	ds_read2_b32 v[92:93], v43 offset1:1
	ds_read2_b32 v[94:95], v39 offset1:1
	v_mul_f32_e32 v39, v7, v88
	v_fma_f32 v20, v20, s16, -v39
	v_fma_f32 v20, -v6, v90, v20
	v_fma_f32 v20, -v5, v38, v20
	;; [unrolled: 1-line block ×4, first 2 shown]
	s_waitcnt lgkmcnt(14)
	v_fma_f32 v21, -v9, v47, v21
	v_fma_f32 v20, -v10, v44, v20
	;; [unrolled: 1-line block ×20, first 2 shown]
	s_waitcnt lgkmcnt(13)
	v_fma_f32 v21, -v27, v67, v21
	v_fma_f32 v20, -v16, v64, v20
	s_waitcnt lgkmcnt(12)
	v_fma_f32 v21, -v26, v69, v21
	v_fma_f32 v20, -v27, v66, v20
	;; [unrolled: 3-line block ×8, first 2 shown]
	s_add_i32 s42, s40, s9
	s_waitcnt lgkmcnt(5)
	v_fma_f32 v21, -v23, v83, v21
	v_fma_f32 v20, -v28, v80, v20
	s_waitcnt lgkmcnt(1)
	v_mul_f32_e32 v38, v7, v93
	s_lshl_b32 s42, s42, 2
	v_fma_f32 v21, -v22, v85, v21
	v_fma_f32 v20, -v23, v82, v20
	v_fma_f32 v3, v3, s16, -v38
	v_mov_b32_e32 v38, s42
	s_add_i32 s42, s40, s13
	v_mul_f32_e32 v21, v87, v21
	v_fma_f32 v20, -v22, v84, v20
	s_lshl_b32 s42, s42, 2
	v_fma_f32 v20, -v21, v86, v20
	v_mov_b32_e32 v40, s42
	s_add_i32 s42, s40, s12
	v_mul_f32_e32 v20, v41, v20
	s_lshl_b32 s42, s42, 2
	global_store_dwordx4 v[36:37], v[20:23], off offset:-112
	v_mov_b32_e32 v42, s42
	s_add_i32 s42, s40, s14
	s_lshl_b32 s42, s42, 2
	ds_read2_b32 v[38:39], v38 offset1:1
	ds_read2_b32 v[40:41], v40 offset1:1
	;; [unrolled: 1-line block ×3, first 2 shown]
	v_mov_b32_e32 v44, s42
	s_add_i32 s42, s40, s17
	s_waitcnt lgkmcnt(3)
	v_fma_f32 v3, -v6, v95, v3
	s_lshl_b32 s42, s42, 2
	s_waitcnt lgkmcnt(2)
	v_fma_f32 v3, -v5, v39, v3
	v_mov_b32_e32 v39, s42
	s_add_i32 s42, s40, s19
	s_lshl_b32 s42, s42, 2
	s_waitcnt lgkmcnt(1)
	v_fma_f32 v3, -v4, v41, v3
	v_mov_b32_e32 v41, s42
	s_add_i32 s42, s40, s20
	s_lshl_b32 s42, s42, 2
	s_waitcnt lgkmcnt(0)
	v_fma_f32 v3, -v11, v43, v3
	v_mov_b32_e32 v43, s42
	s_add_i32 s42, s40, s21
	s_lshl_b32 s42, s42, 2
	v_mov_b32_e32 v52, s42
	s_add_i32 s42, s40, s22
	s_lshl_b32 s42, s42, 2
	ds_read2_b32 v[44:45], v44 offset1:1
	ds_read2_b32 v[46:47], v39 offset1:1
	;; [unrolled: 1-line block ×5, first 2 shown]
	v_mov_b32_e32 v39, s42
	s_add_i32 s42, s40, s24
	s_lshl_b32 s42, s42, 2
	v_mov_b32_e32 v41, s42
	s_add_i32 s42, s40, s23
	s_lshl_b32 s42, s42, 2
	;; [unrolled: 3-line block ×3, first 2 shown]
	ds_read2_b32 v[54:55], v39 offset1:1
	ds_read2_b32 v[56:57], v41 offset1:1
	ds_read2_b32 v[58:59], v43 offset1:1
	v_mov_b32_e32 v39, s42
	s_add_i32 s42, s40, s26
	s_lshl_b32 s42, s42, 2
	ds_read2_b32 v[60:61], v39 offset1:1
	v_mov_b32_e32 v39, s42
	s_add_i32 s42, s40, s27
	s_lshl_b32 s42, s42, 2
	v_mov_b32_e32 v41, s42
	s_add_i32 s42, s40, s28
	s_lshl_b32 s42, s42, 2
	;; [unrolled: 3-line block ×3, first 2 shown]
	s_waitcnt lgkmcnt(8)
	v_fma_f32 v3, -v10, v45, v3
	v_mov_b32_e32 v45, s42
	s_add_i32 s42, s40, s30
	s_lshl_b32 s42, s42, 2
	ds_read2_b32 v[62:63], v39 offset1:1
	ds_read2_b32 v[64:65], v41 offset1:1
	;; [unrolled: 1-line block ×4, first 2 shown]
	v_mov_b32_e32 v39, s42
	s_add_i32 s42, s40, s33
	s_lshl_b32 s42, s42, 2
	v_mov_b32_e32 v41, s42
	s_add_i32 s42, s40, s31
	s_lshl_b32 s42, s42, 2
	;; [unrolled: 3-line block ×3, first 2 shown]
	ds_read2_b32 v[70:71], v39 offset1:1
	ds_read2_b32 v[72:73], v41 offset1:1
	;; [unrolled: 1-line block ×3, first 2 shown]
	v_mov_b32_e32 v39, s42
	s_add_i32 s42, s40, s35
	s_lshl_b32 s42, s42, 2
	ds_read2_b32 v[76:77], v39 offset1:1
	v_mov_b32_e32 v39, s42
	s_add_i32 s42, s40, s36
	s_lshl_b32 s42, s42, 2
	v_mov_b32_e32 v41, s42
	s_add_i32 s42, s40, s37
	s_lshl_b32 s42, s42, 2
	;; [unrolled: 3-line block ×4, first 2 shown]
	ds_read2_b32 v[78:79], v39 offset1:1
	ds_read2_b32 v[80:81], v41 offset1:1
	;; [unrolled: 1-line block ×4, first 2 shown]
	v_mov_b32_e32 v39, s42
	s_lshl_b32 s42, s41, 5
	s_add_i32 s41, s40, s42
	s_lshl_b32 s41, s41, 2
	v_mov_b32_e32 v41, s41
	s_add_i32 s41, s7, 0xfffffc60
	s_add_i32 s43, s40, s41
	s_lshl_b32 s43, s43, 2
	v_mov_b32_e32 v43, s43
	ds_read2_b32 v[86:87], v39 offset1:1
	ds_read2_b32 v[88:89], v41 offset1:1
	;; [unrolled: 1-line block ×3, first 2 shown]
	v_mul_f32_e32 v41, v7, v92
	v_fma_f32 v2, v2, s16, -v41
	v_fma_f32 v2, -v6, v94, v2
	v_fma_f32 v2, -v5, v38, v2
	;; [unrolled: 1-line block ×4, first 2 shown]
	s_waitcnt lgkmcnt(14)
	v_fma_f32 v3, -v9, v47, v3
	v_fma_f32 v2, -v10, v44, v2
	;; [unrolled: 1-line block ×18, first 2 shown]
	s_waitcnt lgkmcnt(13)
	v_fma_f32 v3, -v16, v65, v3
	v_fma_f32 v2, -v17, v62, v2
	s_waitcnt lgkmcnt(12)
	v_fma_f32 v3, -v27, v67, v3
	v_fma_f32 v2, -v16, v64, v2
	;; [unrolled: 3-line block ×8, first 2 shown]
	s_waitcnt lgkmcnt(5)
	v_fma_f32 v3, -v28, v81, v3
	s_add_i32 s43, s15, 0xfffff088
	v_fma_f32 v2, -v29, v78, v2
	s_waitcnt lgkmcnt(4)
	v_fma_f32 v3, -v23, v83, v3
	v_mov_b32_e32 v39, s43
	v_fma_f32 v2, -v28, v80, v2
	s_waitcnt lgkmcnt(3)
	v_fma_f32 v3, -v22, v85, v3
	ds_read_b32 v39, v39
	v_fma_f32 v2, -v23, v82, v2
	s_sub_i32 s43, s18, 32
	s_waitcnt lgkmcnt(3)
	v_fma_f32 v3, -v21, v87, v3
	v_fma_f32 v2, -v22, v84, v2
	s_add_i32 s8, s43, s8
	s_waitcnt lgkmcnt(2)
	v_fma_f32 v3, -v20, v89, v3
	v_fma_f32 v2, -v21, v86, v2
	s_lshl_b32 s8, s8, 2
	s_waitcnt lgkmcnt(1)
	v_mul_f32_e32 v3, v91, v3
	v_fma_f32 v2, -v20, v88, v2
	v_mov_b32_e32 v38, s8
	s_add_i32 s8, s43, s11
	v_fma_f32 v2, -v3, v90, v2
	s_lshl_b32 s8, s8, 2
	s_waitcnt lgkmcnt(0)
	v_mul_f32_e32 v2, v39, v2
	v_mov_b32_e32 v40, s8
	s_add_i32 s8, s43, s9
	ds_read2_b32 v[38:39], v38 offset1:1
	s_lshl_b32 s8, s8, 2
	v_mov_b32_e32 v42, s8
	s_add_i32 s8, s43, s13
	s_lshl_b32 s8, s8, 2
	v_mov_b32_e32 v44, s8
	s_add_i32 s8, s43, s12
	ds_read2_b32 v[40:41], v40 offset1:1
	ds_read2_b32 v[42:43], v42 offset1:1
	;; [unrolled: 1-line block ×3, first 2 shown]
	s_waitcnt lgkmcnt(3)
	v_mul_f32_e32 v39, v7, v39
	s_lshl_b32 s8, s8, 2
	v_fma_f32 v1, v1, s16, -v39
	v_mov_b32_e32 v39, s8
	s_add_i32 s8, s43, s14
	s_lshl_b32 s8, s8, 2
	s_waitcnt lgkmcnt(2)
	v_fma_f32 v1, -v6, v41, v1
	v_mov_b32_e32 v41, s8
	s_add_i32 s8, s43, s17
	s_lshl_b32 s8, s8, 2
	s_waitcnt lgkmcnt(1)
	v_fma_f32 v1, -v5, v43, v1
	v_mov_b32_e32 v43, s8
	s_add_i32 s8, s43, s19
	s_lshl_b32 s8, s8, 2
	ds_read2_b32 v[46:47], v39 offset1:1
	ds_read2_b32 v[48:49], v41 offset1:1
	;; [unrolled: 1-line block ×3, first 2 shown]
	v_mov_b32_e32 v39, s8
	s_add_i32 s8, s43, s20
	s_lshl_b32 s8, s8, 2
	ds_read2_b32 v[52:53], v39 offset1:1
	v_mov_b32_e32 v39, s8
	s_add_i32 s8, s43, s21
	s_lshl_b32 s8, s8, 2
	v_mov_b32_e32 v41, s8
	s_add_i32 s8, s43, s22
	s_lshl_b32 s8, s8, 2
	;; [unrolled: 3-line block ×3, first 2 shown]
	s_waitcnt lgkmcnt(4)
	v_fma_f32 v1, -v4, v45, v1
	v_mov_b32_e32 v45, s8
	s_add_i32 s8, s43, s23
	s_lshl_b32 s8, s8, 2
	ds_read2_b32 v[54:55], v39 offset1:1
	ds_read2_b32 v[56:57], v41 offset1:1
	;; [unrolled: 1-line block ×4, first 2 shown]
	v_mov_b32_e32 v39, s8
	s_add_i32 s8, s43, s25
	s_lshl_b32 s8, s8, 2
	v_mov_b32_e32 v41, s8
	s_add_i32 s8, s43, s26
	s_lshl_b32 s8, s8, 2
	;; [unrolled: 3-line block ×3, first 2 shown]
	ds_read2_b32 v[62:63], v39 offset1:1
	ds_read2_b32 v[64:65], v41 offset1:1
	;; [unrolled: 1-line block ×3, first 2 shown]
	v_mov_b32_e32 v39, s8
	s_add_i32 s8, s43, s28
	s_lshl_b32 s8, s8, 2
	ds_read2_b32 v[68:69], v39 offset1:1
	v_mov_b32_e32 v39, s8
	s_add_i32 s8, s43, s29
	s_lshl_b32 s8, s8, 2
	v_mov_b32_e32 v41, s8
	s_add_i32 s8, s43, s30
	v_mul_f32_e32 v7, v7, v38
	s_lshl_b32 s8, s8, 2
	v_fma_f32 v0, v0, s16, -v7
	v_mov_b32_e32 v43, s8
	s_add_i32 s8, s43, s33
	v_fma_f32 v0, -v6, v40, v0
	s_lshl_b32 s8, s8, 2
	v_fma_f32 v0, -v5, v42, v0
	s_waitcnt lgkmcnt(11)
	v_fma_f32 v1, -v11, v47, v1
	v_mov_b32_e32 v45, s8
	s_add_i32 s8, s43, s31
	v_fma_f32 v0, -v4, v44, v0
	s_waitcnt lgkmcnt(10)
	v_fma_f32 v1, -v10, v49, v1
	s_lshl_b32 s8, s8, 2
	v_fma_f32 v0, -v11, v46, v0
	s_waitcnt lgkmcnt(9)
	v_fma_f32 v1, -v9, v51, v1
	ds_read2_b32 v[70:71], v39 offset1:1
	ds_read2_b32 v[72:73], v41 offset1:1
	;; [unrolled: 1-line block ×4, first 2 shown]
	v_mov_b32_e32 v39, s8
	s_add_i32 s8, s43, s34
	v_fma_f32 v0, -v10, v48, v0
	s_waitcnt lgkmcnt(12)
	v_fma_f32 v1, -v8, v53, v1
	s_lshl_b32 s8, s8, 2
	v_fma_f32 v0, -v9, v50, v0
	s_waitcnt lgkmcnt(11)
	v_fma_f32 v1, -v15, v55, v1
	v_mov_b32_e32 v41, s8
	s_add_i32 s8, s43, s35
	v_fma_f32 v0, -v8, v52, v0
	s_waitcnt lgkmcnt(10)
	v_fma_f32 v1, -v14, v57, v1
	s_lshl_b32 s8, s8, 2
	v_fma_f32 v0, -v15, v54, v0
	s_waitcnt lgkmcnt(9)
	v_fma_f32 v1, -v13, v59, v1
	;; [unrolled: 9-line block ×3, first 2 shown]
	ds_read2_b32 v[78:79], v39 offset1:1
	ds_read2_b32 v[80:81], v41 offset1:1
	;; [unrolled: 1-line block ×3, first 2 shown]
	v_mov_b32_e32 v39, s8
	s_add_i32 s8, s43, s37
	v_fma_f32 v0, -v12, v60, v0
	s_waitcnt lgkmcnt(9)
	v_fma_f32 v1, -v18, v65, v1
	s_lshl_b32 s8, s8, 2
	v_fma_f32 v0, -v19, v62, v0
	s_waitcnt lgkmcnt(8)
	v_fma_f32 v1, -v17, v67, v1
	ds_read2_b32 v[84:85], v39 offset1:1
	v_mov_b32_e32 v39, s8
	s_add_i32 s8, s43, s38
	v_fma_f32 v0, -v18, v64, v0
	s_waitcnt lgkmcnt(8)
	v_fma_f32 v1, -v16, v69, v1
	s_lshl_b32 s8, s8, 2
	v_fma_f32 v0, -v17, v66, v0
	s_waitcnt lgkmcnt(7)
	v_fma_f32 v1, -v27, v71, v1
	v_mov_b32_e32 v41, s8
	s_add_i32 s8, s43, s39
	v_fma_f32 v0, -v16, v68, v0
	s_waitcnt lgkmcnt(6)
	v_fma_f32 v1, -v26, v73, v1
	s_lshl_b32 s8, s8, 2
	v_fma_f32 v0, -v27, v70, v0
	s_waitcnt lgkmcnt(5)
	v_fma_f32 v1, -v25, v75, v1
	;; [unrolled: 9-line block ×4, first 2 shown]
	ds_read2_b32 v[86:87], v39 offset1:1
	ds_read2_b32 v[88:89], v41 offset1:1
	;; [unrolled: 1-line block ×4, first 2 shown]
	v_mov_b32_e32 v39, s8
	s_lshl_b32 s8, s40, 5
	s_add_i32 s7, s7, s43
	v_fma_f32 v0, -v30, v80, v0
	s_waitcnt lgkmcnt(4)
	v_fma_f32 v1, -v28, v85, v1
	s_add_i32 s8, s43, s8
	s_lshl_b32 s7, s7, 2
	v_fma_f32 v0, -v29, v82, v0
	s_waitcnt lgkmcnt(3)
	v_fma_f32 v1, -v23, v87, v1
	s_lshl_b32 s8, s8, 2
	s_addk_i32 s7, 0xf080
	v_fma_f32 v0, -v28, v84, v0
	s_waitcnt lgkmcnt(2)
	v_fma_f32 v1, -v22, v89, v1
	v_mov_b32_e32 v41, s8
	v_mov_b32_e32 v43, s7
	s_add_i32 s7, s15, 0xffffef80
	ds_read2_b32 v[94:95], v39 offset1:1
	ds_read2_b32 v[96:97], v41 offset1:1
	;; [unrolled: 1-line block ×3, first 2 shown]
	v_fma_f32 v0, -v23, v86, v0
	s_waitcnt lgkmcnt(4)
	v_fma_f32 v1, -v21, v91, v1
	v_mov_b32_e32 v39, s7
	v_fma_f32 v0, -v22, v88, v0
	s_waitcnt lgkmcnt(3)
	v_fma_f32 v1, -v20, v93, v1
	ds_read_b32 v39, v39
	v_fma_f32 v0, -v21, v90, v0
	s_waitcnt lgkmcnt(3)
	v_fma_f32 v1, -v3, v95, v1
	v_fma_f32 v0, -v20, v92, v0
	s_waitcnt lgkmcnt(2)
	v_fma_f32 v1, -v2, v97, v1
	v_fma_f32 v0, -v3, v94, v0
	s_waitcnt lgkmcnt(1)
	v_mul_f32_e32 v1, v99, v1
	v_fma_f32 v0, -v2, v96, v0
	v_fma_f32 v0, -v1, v98, v0
	s_waitcnt lgkmcnt(0)
	v_mul_f32_e32 v0, v39, v0
	s_sub_i32 s8, s18, 33
	global_store_dwordx4 v[36:37], v[0:3], off offset:-128
.LBB37_43:
	s_cmp_gt_i32 s8, -1
	s_cbranch_scc0 .LBB37_66
; %bb.44:
	s_cmp_lt_u32 s8, 27
	s_cbranch_scc1 .LBB37_49
; %bb.45:
	s_mov_b32 s9, 0
	s_lshl_b64 s[12:13], s[8:9], 2
	v_mov_b32_e32 v0, s13
	v_add_co_u32_e32 v24, vcc, s12, v32
	v_addc_co_u32_e32 v25, vcc, v33, v0, vcc
	global_load_dwordx4 v[0:3], v[24:25], off offset:-12
	global_load_dwordx4 v[4:7], v[24:25], off offset:-28
	;; [unrolled: 1-line block ×7, first 2 shown]
	s_cmp_le_i32 s6, s8
	s_waitcnt vmcnt(6)
	v_pk_mul_f32 v[26:27], v[2:3], s[16:17] op_sel_hi:[1,0]
	v_pk_mul_f32 v[30:31], v[0:1], s[16:17] op_sel_hi:[1,0]
	s_waitcnt vmcnt(5)
	v_pk_mul_f32 v[2:3], v[6:7], s[16:17] op_sel_hi:[1,0]
	v_pk_mul_f32 v[0:1], v[4:5], s[16:17] op_sel_hi:[1,0]
	;; [unrolled: 3-line block ×7, first 2 shown]
	s_cbranch_scc1 .LBB37_48
; %bb.46:
	s_lshl_b32 s7, s18, 7
	s_lshl_b32 s9, s8, 2
	s_add_i32 s7, s7, s9
	s_add_i32 s9, s7, 0xffffff14
	s_ashr_i32 s7, s6, 31
	s_lshl_b64 s[12:13], s[6:7], 2
	s_add_u32 s7, s2, s12
	s_addc_u32 s11, s3, s13
	s_add_u32 s7, s7, s4
	s_addc_u32 s11, s11, s5
	;; [unrolled: 2-line block ×3, first 2 shown]
	v_mov_b32_e32 v29, s11
	v_add_co_u32_e32 v28, vcc, s7, v34
	v_addc_co_u32_e32 v29, vcc, v29, v35, vcc
	s_mov_b32 s7, s6
.LBB37_47:                              ; =>This Inner Loop Header: Depth=1
	global_load_dword v36, v[28:29], off
	v_mov_b32_e32 v37, s9
	ds_read2_b32 v[38:39], v37 offset0:26 offset1:27
	ds_read2_b32 v[40:41], v37 offset0:24 offset1:25
	;; [unrolled: 1-line block ×13, first 2 shown]
	ds_read2_b32 v[64:65], v37 offset1:1
	s_add_i32 s7, s7, -1
	s_addk_i32 s9, 0xff80
	v_add_co_u32_e32 v28, vcc, -4, v28
	v_addc_co_u32_e32 v29, vcc, -1, v29, vcc
	s_cmp_gt_i32 s7, s8
	s_waitcnt vmcnt(0) lgkmcnt(13)
	v_pk_fma_f32 v[26:27], v[36:37], v[38:39], v[26:27] op_sel_hi:[0,1,1] neg_lo:[1,0,0] neg_hi:[1,0,0]
	s_waitcnt lgkmcnt(12)
	v_pk_fma_f32 v[30:31], v[36:37], v[40:41], v[30:31] op_sel_hi:[0,1,1] neg_lo:[1,0,0] neg_hi:[1,0,0]
	s_waitcnt lgkmcnt(11)
	;; [unrolled: 2-line block ×13, first 2 shown]
	v_pk_fma_f32 v[20:21], v[36:37], v[64:65], v[20:21] op_sel_hi:[0,1,1] neg_lo:[1,0,0] neg_hi:[1,0,0]
	s_cbranch_scc1 .LBB37_47
.LBB37_48:
	s_add_i32 s9, s8, -1
	s_lshl_b32 s11, s8, 5
	s_add_i32 s7, s9, s11
	s_lshl_b32 s7, s7, 2
	v_mov_b32_e32 v28, s7
	s_mul_i32 s7, s8, 0x84
	s_add_i32 s12, s7, 0xffffff7c
	s_add_i32 s13, s8, -3
	v_mov_b32_e32 v36, s12
	s_add_i32 s12, s13, s11
	s_lshl_b32 s12, s12, 2
	v_mov_b32_e32 v37, s12
	s_lshl_b32 s12, s9, 5
	ds_read2_b32 v[28:29], v28 offset1:1
	s_add_i32 s9, s13, s12
	s_lshl_b32 s9, s9, 2
	v_mov_b32_e32 v38, s9
	ds_read_b32 v40, v36
	ds_read2_b32 v[36:37], v37 offset1:1
	ds_read2_b32 v[38:39], v38 offset1:1
	s_waitcnt lgkmcnt(3)
	v_mul_f32_e32 v27, v29, v27
	s_ashr_i32 s9, s8, 31
	global_store_dword v[24:25], v27, off
	v_fma_f32 v24, -v27, v28, v26
	s_lshl_b64 s[14:15], s[8:9], 2
	s_sub_i32 s9, s11, 64
	s_waitcnt lgkmcnt(2)
	v_mul_f32_e32 v26, v40, v24
	v_mov_b32_e32 v24, s15
	v_add_co_u32_e32 v28, vcc, s14, v32
	s_add_i32 s14, s13, s9
	v_addc_co_u32_e32 v29, vcc, v33, v24, vcc
	s_waitcnt lgkmcnt(1)
	v_fma_f32 v24, -v27, v37, v31
	s_lshl_b32 s14, s14, 2
	s_waitcnt lgkmcnt(0)
	v_fma_f32 v31, -v26, v39, v24
	v_mov_b32_e32 v24, s14
	s_add_i32 s14, s7, 0xfffffe74
	s_add_i32 s15, s8, -5
	v_mov_b32_e32 v37, s14
	s_add_i32 s14, s15, s11
	ds_read2_b32 v[24:25], v24 offset1:1
	s_lshl_b32 s14, s14, 2
	v_mov_b32_e32 v39, s14
	s_add_i32 s14, s15, s12
	s_lshl_b32 s14, s14, 2
	v_mov_b32_e32 v42, s14
	v_fma_f32 v30, -v27, v36, v30
	s_add_i32 s14, s15, s9
	s_waitcnt lgkmcnt(0)
	v_mul_f32_e32 v25, v25, v31
	v_fma_f32 v30, -v26, v38, v30
	s_lshl_b32 s14, s14, 2
	s_lshl_b32 s13, s13, 5
	v_fma_f32 v24, -v25, v24, v30
	v_mov_b32_e32 v30, s14
	s_add_i32 s14, s15, s13
	ds_read_b32 v37, v37
	ds_read2_b32 v[40:41], v39 offset1:1
	ds_read2_b32 v[42:43], v42 offset1:1
	s_lshl_b32 s14, s14, 2
	v_mov_b32_e32 v36, s14
	s_add_i32 s14, s11, 0xffffff80
	s_add_i32 s17, s15, s14
	s_waitcnt lgkmcnt(2)
	v_mul_f32_e32 v24, v37, v24
	s_lshl_b32 s17, s17, 2
	global_store_dwordx3 v[28:29], v[24:26], off offset:-12
	v_mov_b32_e32 v38, s17
	s_add_i32 s17, s7, 0xfffffd6c
	ds_read2_b32 v[30:31], v30 offset1:1
	ds_read2_b32 v[36:37], v36 offset1:1
	;; [unrolled: 1-line block ×3, first 2 shown]
	s_add_i32 s19, s8, -7
	s_waitcnt lgkmcnt(4)
	v_fma_f32 v3, -v27, v41, v3
	v_mov_b32_e32 v41, s17
	v_fma_f32 v2, -v27, v40, v2
	s_add_i32 s17, s19, s11
	s_waitcnt lgkmcnt(3)
	v_fma_f32 v2, -v26, v42, v2
	s_lshl_b32 s17, s17, 2
	v_fma_f32 v3, -v26, v43, v3
	s_waitcnt lgkmcnt(2)
	v_fma_f32 v2, -v25, v30, v2
	v_mov_b32_e32 v30, s17
	s_add_i32 s17, s19, s12
	v_fma_f32 v3, -v25, v31, v3
	s_lshl_b32 s17, s17, 2
	s_waitcnt lgkmcnt(1)
	v_fma_f32 v3, -v24, v37, v3
	v_fma_f32 v2, -v24, v36, v2
	v_mov_b32_e32 v36, s17
	s_add_i32 s17, s19, s9
	s_waitcnt lgkmcnt(0)
	v_mul_f32_e32 v3, v39, v3
	s_lshl_b32 s17, s17, 2
	ds_read_b32 v41, v41
	v_fma_f32 v2, -v3, v38, v2
	v_mov_b32_e32 v38, s17
	s_add_i32 s17, s19, s13
	ds_read2_b32 v[30:31], v30 offset1:1
	ds_read2_b32 v[36:37], v36 offset1:1
	s_lshl_b32 s17, s17, 2
	v_mov_b32_e32 v40, s17
	s_add_i32 s17, s19, s14
	s_lshl_b32 s17, s17, 2
	s_lshl_b32 s15, s15, 5
	s_waitcnt lgkmcnt(1)
	v_fma_f32 v1, -v27, v31, v1
	v_mov_b32_e32 v31, s17
	s_add_i32 s17, s19, s15
	s_lshl_b32 s17, s17, 2
	v_mul_f32_e32 v2, v41, v2
	ds_read2_b32 v[38:39], v38 offset1:1
	ds_read2_b32 v[40:41], v40 offset1:1
	s_waitcnt lgkmcnt(2)
	v_fma_f32 v1, -v26, v37, v1
	v_mov_b32_e32 v37, s17
	s_add_i32 s17, s7, 0xfffffce8
	ds_read2_b32 v[42:43], v31 offset1:1
	ds_read2_b32 v[44:45], v37 offset1:1
	v_mov_b32_e32 v31, s17
	s_add_i32 s17, s11, 0xffffff40
	s_add_i32 s20, s19, s17
	ds_read_b32 v31, v31
	s_lshl_b32 s20, s20, 2
	s_waitcnt lgkmcnt(4)
	v_fma_f32 v1, -v25, v39, v1
	v_fma_f32 v0, -v27, v30, v0
	v_mov_b32_e32 v30, s20
	s_waitcnt lgkmcnt(3)
	v_fma_f32 v1, -v24, v41, v1
	v_fma_f32 v0, -v26, v36, v0
	ds_read_b32 v30, v30
	s_waitcnt lgkmcnt(3)
	v_fma_f32 v1, -v3, v43, v1
	v_fma_f32 v0, -v25, v38, v0
	s_waitcnt lgkmcnt(2)
	v_fma_f32 v1, -v2, v45, v1
	s_add_i32 s20, s7, 0xfffffc64
	v_fma_f32 v0, -v24, v40, v0
	s_add_i32 s21, s8, -9
	s_waitcnt lgkmcnt(1)
	v_mul_f32_e32 v1, v31, v1
	v_mov_b32_e32 v31, s20
	v_fma_f32 v0, -v3, v42, v0
	s_add_i32 s20, s21, s11
	v_fma_f32 v0, -v2, v44, v0
	s_lshl_b32 s20, s20, 2
	s_waitcnt lgkmcnt(0)
	v_fma_f32 v0, -v1, v30, v0
	v_mov_b32_e32 v30, s20
	s_add_i32 s20, s21, s12
	s_lshl_b32 s20, s20, 2
	ds_read_b32 v31, v31
	v_mov_b32_e32 v36, s20
	s_add_i32 s20, s21, s9
	s_lshl_b32 s20, s20, 2
	v_mov_b32_e32 v38, s20
	s_add_i32 s20, s21, s13
	s_lshl_b32 s20, s20, 2
	v_mov_b32_e32 v40, s20
	s_waitcnt lgkmcnt(0)
	v_mul_f32_e32 v0, v31, v0
	ds_read2_b32 v[30:31], v30 offset1:1
	ds_read2_b32 v[36:37], v36 offset1:1
	;; [unrolled: 1-line block ×4, first 2 shown]
	s_add_i32 s20, s21, s14
	s_lshl_b32 s20, s20, 2
	s_waitcnt lgkmcnt(3)
	v_fma_f32 v7, -v27, v31, v7
	v_mov_b32_e32 v31, s20
	s_add_i32 s20, s21, s15
	s_lshl_b32 s20, s20, 2
	s_waitcnt lgkmcnt(2)
	v_fma_f32 v7, -v26, v37, v7
	v_mov_b32_e32 v37, s20
	s_add_i32 s20, s21, s17
	s_lshl_b32 s20, s20, 2
	s_lshl_b32 s19, s19, 5
	s_waitcnt lgkmcnt(1)
	v_fma_f32 v7, -v25, v39, v7
	v_mov_b32_e32 v39, s20
	s_add_i32 s20, s21, s19
	s_lshl_b32 s20, s20, 2
	global_store_dwordx4 v[28:29], v[0:3], off offset:-28
	s_waitcnt lgkmcnt(0)
	v_fma_f32 v7, -v24, v41, v7
	v_mov_b32_e32 v41, s20
	s_add_i32 s20, s7, 0xfffffbe0
	ds_read2_b32 v[42:43], v31 offset1:1
	ds_read2_b32 v[44:45], v37 offset1:1
	;; [unrolled: 1-line block ×4, first 2 shown]
	v_mov_b32_e32 v31, s20
	s_add_i32 s20, s11, 0xffffff00
	v_fma_f32 v6, -v27, v30, v6
	s_add_i32 s22, s21, s20
	v_fma_f32 v6, -v26, v36, v6
	s_lshl_b32 s22, s22, 2
	ds_read_b32 v31, v31
	v_fma_f32 v6, -v25, v38, v6
	v_mov_b32_e32 v30, s22
	s_waitcnt lgkmcnt(4)
	v_fma_f32 v7, -v3, v43, v7
	v_fma_f32 v6, -v24, v40, v6
	ds_read_b32 v30, v30
	s_waitcnt lgkmcnt(4)
	v_fma_f32 v7, -v2, v45, v7
	v_fma_f32 v6, -v3, v42, v6
	s_waitcnt lgkmcnt(3)
	v_fma_f32 v7, -v1, v47, v7
	v_fma_f32 v6, -v2, v44, v6
	;; [unrolled: 3-line block ×3, first 2 shown]
	s_waitcnt lgkmcnt(1)
	v_mul_f32_e32 v7, v31, v7
	v_fma_f32 v6, -v0, v48, v6
	s_add_i32 s22, s7, 0xfffffb5c
	s_add_i32 s23, s8, -11
	s_waitcnt lgkmcnt(0)
	v_fma_f32 v6, -v7, v30, v6
	v_mov_b32_e32 v30, s22
	s_add_i32 s22, s23, s11
	s_lshl_b32 s22, s22, 2
	ds_read_b32 v42, v30
	v_mov_b32_e32 v30, s22
	s_add_i32 s22, s23, s12
	s_lshl_b32 s22, s22, 2
	v_mov_b32_e32 v36, s22
	s_add_i32 s22, s23, s9
	s_lshl_b32 s22, s22, 2
	;; [unrolled: 3-line block ×3, first 2 shown]
	v_mov_b32_e32 v40, s22
	ds_read2_b32 v[30:31], v30 offset1:1
	ds_read2_b32 v[36:37], v36 offset1:1
	;; [unrolled: 1-line block ×4, first 2 shown]
	s_add_i32 s22, s23, s14
	s_lshl_b32 s22, s22, 2
	s_waitcnt lgkmcnt(3)
	v_fma_f32 v5, -v27, v31, v5
	v_mov_b32_e32 v31, s22
	s_add_i32 s22, s23, s15
	s_lshl_b32 s22, s22, 2
	s_waitcnt lgkmcnt(2)
	v_fma_f32 v5, -v26, v37, v5
	v_mov_b32_e32 v37, s22
	;; [unrolled: 5-line block ×3, first 2 shown]
	s_add_i32 s22, s23, s19
	s_lshl_b32 s22, s22, 2
	v_mul_f32_e32 v6, v42, v6
	ds_read2_b32 v[42:43], v31 offset1:1
	ds_read2_b32 v[44:45], v37 offset1:1
	v_mov_b32_e32 v31, s22
	s_add_i32 s22, s23, s20
	s_lshl_b32 s22, s22, 2
	s_lshl_b32 s21, s21, 5
	ds_read2_b32 v[46:47], v39 offset1:1
	ds_read2_b32 v[48:49], v31 offset1:1
	v_mov_b32_e32 v31, s22
	s_add_i32 s22, s23, s21
	s_lshl_b32 s22, s22, 2
	s_waitcnt lgkmcnt(4)
	v_fma_f32 v5, -v24, v41, v5
	v_mov_b32_e32 v37, s22
	s_add_i32 s22, s7, 0xfffffad8
	s_waitcnt lgkmcnt(3)
	v_fma_f32 v5, -v3, v43, v5
	ds_read2_b32 v[50:51], v31 offset1:1
	ds_read2_b32 v[52:53], v37 offset1:1
	v_mov_b32_e32 v31, s22
	s_waitcnt lgkmcnt(4)
	v_fma_f32 v5, -v2, v45, v5
	ds_read_b32 v31, v31
	s_waitcnt lgkmcnt(4)
	v_fma_f32 v5, -v1, v47, v5
	s_add_i32 s22, s11, 0xfffffec0
	s_waitcnt lgkmcnt(3)
	v_fma_f32 v5, -v0, v49, v5
	s_add_i32 s24, s23, s22
	s_waitcnt lgkmcnt(2)
	v_fma_f32 v5, -v7, v51, v5
	s_lshl_b32 s24, s24, 2
	s_waitcnt lgkmcnt(1)
	v_fma_f32 v5, -v6, v53, v5
	v_fma_f32 v4, -v27, v30, v4
	v_mov_b32_e32 v30, s24
	s_add_i32 s24, s7, 0xfffffa54
	s_add_i32 s25, s8, -13
	s_waitcnt lgkmcnt(0)
	v_mul_f32_e32 v5, v31, v5
	v_mov_b32_e32 v31, s24
	s_add_i32 s24, s25, s11
	s_lshl_b32 s24, s24, 2
	v_fma_f32 v4, -v26, v36, v4
	v_mov_b32_e32 v36, s24
	s_add_i32 s24, s25, s12
	s_lshl_b32 s24, s24, 2
	v_fma_f32 v4, -v25, v38, v4
	v_mov_b32_e32 v37, s24
	v_fma_f32 v4, -v24, v40, v4
	ds_read_b32 v38, v30
	ds_read_b32 v39, v31
	ds_read2_b32 v[30:31], v36 offset1:1
	ds_read2_b32 v[36:37], v37 offset1:1
	v_fma_f32 v4, -v3, v42, v4
	v_fma_f32 v4, -v2, v44, v4
	s_add_i32 s24, s25, s9
	v_fma_f32 v4, -v1, v46, v4
	s_lshl_b32 s24, s24, 2
	v_fma_f32 v4, -v0, v48, v4
	s_waitcnt lgkmcnt(1)
	v_fma_f32 v11, -v27, v31, v11
	v_mov_b32_e32 v31, s24
	s_add_i32 s24, s25, s13
	v_fma_f32 v4, -v7, v50, v4
	s_lshl_b32 s24, s24, 2
	v_fma_f32 v4, -v6, v52, v4
	s_waitcnt lgkmcnt(0)
	v_fma_f32 v11, -v26, v37, v11
	v_mov_b32_e32 v37, s24
	s_add_i32 s24, s25, s14
	v_fma_f32 v4, -v5, v38, v4
	s_lshl_b32 s24, s24, 2
	v_mul_f32_e32 v4, v39, v4
	v_mov_b32_e32 v42, s24
	s_add_i32 s24, s25, s15
	global_store_dwordx4 v[28:29], v[4:7], off offset:-44
	s_lshl_b32 s24, s24, 2
	ds_read2_b32 v[38:39], v31 offset1:1
	ds_read2_b32 v[40:41], v37 offset1:1
	;; [unrolled: 1-line block ×3, first 2 shown]
	v_mov_b32_e32 v31, s24
	s_add_i32 s24, s25, s17
	s_lshl_b32 s24, s24, 2
	ds_read2_b32 v[44:45], v31 offset1:1
	v_mov_b32_e32 v31, s24
	s_add_i32 s24, s25, s19
	s_lshl_b32 s24, s24, 2
	v_mov_b32_e32 v37, s24
	s_add_i32 s24, s25, s20
	s_lshl_b32 s24, s24, 2
	s_waitcnt lgkmcnt(3)
	v_fma_f32 v11, -v25, v39, v11
	v_mov_b32_e32 v39, s24
	s_add_i32 s24, s25, s21
	s_lshl_b32 s24, s24, 2
	s_waitcnt lgkmcnt(2)
	v_fma_f32 v11, -v24, v41, v11
	v_mov_b32_e32 v41, s24
	s_add_i32 s24, s25, s22
	s_lshl_b32 s24, s24, 2
	s_lshl_b32 s23, s23, 5
	ds_read2_b32 v[46:47], v31 offset1:1
	ds_read2_b32 v[48:49], v37 offset1:1
	;; [unrolled: 1-line block ×4, first 2 shown]
	v_mov_b32_e32 v31, s24
	s_add_i32 s24, s25, s23
	s_lshl_b32 s24, s24, 2
	v_mov_b32_e32 v37, s24
	s_add_i32 s24, s11, 0xfffffe80
	s_add_i32 s26, s25, s24
	s_lshl_b32 s26, s26, 2
	v_mov_b32_e32 v39, s26
	s_add_i32 s26, s7, 0xfffff94c
	s_add_i32 s27, s8, -15
	ds_read2_b32 v[54:55], v31 offset1:1
	ds_read2_b32 v[56:57], v37 offset1:1
	;; [unrolled: 1-line block ×3, first 2 shown]
	v_mov_b32_e32 v31, s26
	s_add_i32 s26, s27, s11
	s_lshl_b32 s26, s26, 2
	v_fma_f32 v10, -v27, v30, v10
	v_mov_b32_e32 v30, s26
	s_add_i32 s26, s27, s12
	s_lshl_b32 s26, s26, 2
	v_fma_f32 v10, -v26, v36, v10
	;; [unrolled: 4-line block ×3, first 2 shown]
	v_mov_b32_e32 v38, s26
	s_add_i32 s26, s27, s13
	s_waitcnt lgkmcnt(8)
	v_fma_f32 v11, -v3, v43, v11
	v_fma_f32 v10, -v24, v40, v10
	s_lshl_b32 s26, s26, 2
	s_waitcnt lgkmcnt(7)
	v_fma_f32 v11, -v2, v45, v11
	v_fma_f32 v10, -v3, v42, v10
	v_mov_b32_e32 v40, s26
	s_waitcnt lgkmcnt(6)
	v_fma_f32 v11, -v1, v47, v11
	ds_read_b32 v43, v31
	v_fma_f32 v10, -v2, v44, v10
	ds_read2_b32 v[30:31], v30 offset1:1
	ds_read2_b32 v[36:37], v36 offset1:1
	;; [unrolled: 1-line block ×4, first 2 shown]
	s_add_i32 s26, s27, s14
	s_waitcnt lgkmcnt(10)
	v_fma_f32 v11, -v0, v49, v11
	v_fma_f32 v10, -v1, v46, v10
	s_lshl_b32 s26, s26, 2
	s_waitcnt lgkmcnt(9)
	v_fma_f32 v11, -v7, v51, v11
	v_fma_f32 v10, -v0, v48, v10
	s_waitcnt lgkmcnt(3)
	v_fma_f32 v9, -v27, v31, v9
	v_mov_b32_e32 v31, s26
	s_add_i32 s26, s27, s15
	v_fma_f32 v11, -v6, v53, v11
	v_fma_f32 v10, -v7, v50, v10
	s_lshl_b32 s26, s26, 2
	v_fma_f32 v11, -v5, v55, v11
	v_fma_f32 v10, -v6, v52, v10
	s_waitcnt lgkmcnt(2)
	v_fma_f32 v9, -v26, v37, v9
	v_mov_b32_e32 v37, s26
	s_add_i32 s26, s27, s17
	v_fma_f32 v11, -v4, v57, v11
	v_fma_f32 v10, -v5, v54, v10
	s_lshl_b32 s26, s26, 2
	v_mul_f32_e32 v11, v59, v11
	v_fma_f32 v10, -v4, v56, v10
	s_waitcnt lgkmcnt(1)
	v_fma_f32 v9, -v25, v39, v9
	v_mov_b32_e32 v39, s26
	s_add_i32 s26, s27, s19
	v_fma_f32 v10, -v11, v58, v10
	s_lshl_b32 s26, s26, 2
	v_mul_f32_e32 v10, v43, v10
	ds_read2_b32 v[42:43], v31 offset1:1
	ds_read2_b32 v[44:45], v37 offset1:1
	;; [unrolled: 1-line block ×3, first 2 shown]
	v_mov_b32_e32 v31, s26
	s_add_i32 s26, s27, s20
	s_lshl_b32 s26, s26, 2
	ds_read2_b32 v[48:49], v31 offset1:1
	v_mov_b32_e32 v31, s26
	s_add_i32 s26, s27, s21
	s_lshl_b32 s26, s26, 2
	v_mov_b32_e32 v37, s26
	s_add_i32 s26, s27, s22
	s_lshl_b32 s26, s26, 2
	;; [unrolled: 3-line block ×3, first 2 shown]
	s_waitcnt lgkmcnt(4)
	v_fma_f32 v9, -v24, v41, v9
	v_mov_b32_e32 v41, s26
	s_add_i32 s26, s27, s24
	v_fma_f32 v8, -v27, v30, v8
	s_lshl_b32 s26, s26, 2
	v_fma_f32 v8, -v26, v36, v8
	ds_read2_b32 v[50:51], v31 offset1:1
	ds_read2_b32 v[52:53], v37 offset1:1
	;; [unrolled: 1-line block ×4, first 2 shown]
	v_mov_b32_e32 v31, s26
	s_lshl_b32 s26, s25, 5
	v_fma_f32 v8, -v25, v38, v8
	s_waitcnt lgkmcnt(7)
	v_fma_f32 v9, -v3, v43, v9
	s_add_i32 s25, s27, s26
	v_fma_f32 v8, -v24, v40, v8
	s_waitcnt lgkmcnt(6)
	v_fma_f32 v9, -v2, v45, v9
	s_lshl_b32 s25, s25, 2
	v_fma_f32 v8, -v3, v42, v8
	s_waitcnt lgkmcnt(5)
	v_fma_f32 v9, -v1, v47, v9
	v_mov_b32_e32 v37, s25
	s_add_i32 s25, s11, 0xfffffe40
	v_fma_f32 v8, -v2, v44, v8
	s_waitcnt lgkmcnt(4)
	v_fma_f32 v9, -v0, v49, v9
	s_add_i32 s28, s27, s25
	v_fma_f32 v8, -v1, v46, v8
	s_waitcnt lgkmcnt(3)
	v_fma_f32 v9, -v7, v51, v9
	s_lshl_b32 s28, s28, 2
	v_fma_f32 v8, -v0, v48, v8
	s_waitcnt lgkmcnt(2)
	v_fma_f32 v9, -v6, v53, v9
	v_mov_b32_e32 v39, s28
	s_add_i32 s28, s7, 0xfffff844
	ds_read2_b32 v[58:59], v31 offset1:1
	ds_read2_b32 v[60:61], v37 offset1:1
	;; [unrolled: 1-line block ×3, first 2 shown]
	v_fma_f32 v8, -v7, v50, v8
	s_waitcnt lgkmcnt(4)
	v_fma_f32 v9, -v5, v55, v9
	v_mov_b32_e32 v31, s28
	v_fma_f32 v8, -v6, v52, v8
	s_sub_i32 s29, s8, 17
	s_waitcnt lgkmcnt(3)
	v_fma_f32 v9, -v4, v57, v9
	ds_read_b32 v31, v31
	v_fma_f32 v8, -v5, v54, v8
	s_add_i32 s28, s29, s11
	s_waitcnt lgkmcnt(3)
	v_fma_f32 v9, -v11, v59, v9
	v_fma_f32 v8, -v4, v56, v8
	s_lshl_b32 s28, s28, 2
	s_waitcnt lgkmcnt(2)
	v_fma_f32 v9, -v10, v61, v9
	v_fma_f32 v8, -v11, v58, v8
	v_mov_b32_e32 v30, s28
	s_add_i32 s28, s29, s12
	s_waitcnt lgkmcnt(1)
	v_mul_f32_e32 v9, v63, v9
	v_fma_f32 v8, -v10, v60, v8
	s_lshl_b32 s28, s28, 2
	v_fma_f32 v8, -v9, v62, v8
	v_mov_b32_e32 v36, s28
	s_add_i32 s28, s29, s9
	s_waitcnt lgkmcnt(0)
	v_mul_f32_e32 v8, v31, v8
	s_lshl_b32 s28, s28, 2
	global_store_dwordx4 v[28:29], v[8:11], off offset:-60
	v_mov_b32_e32 v38, s28
	s_add_i32 s28, s29, s13
	s_lshl_b32 s28, s28, 2
	ds_read2_b32 v[30:31], v30 offset1:1
	ds_read2_b32 v[36:37], v36 offset1:1
	;; [unrolled: 1-line block ×3, first 2 shown]
	v_mov_b32_e32 v40, s28
	s_add_i32 s28, s29, s14
	s_lshl_b32 s28, s28, 2
	s_waitcnt lgkmcnt(2)
	v_fma_f32 v15, -v27, v31, v15
	v_mov_b32_e32 v31, s28
	s_add_i32 s28, s29, s15
	s_lshl_b32 s28, s28, 2
	s_waitcnt lgkmcnt(1)
	v_fma_f32 v15, -v26, v37, v15
	;; [unrolled: 5-line block ×3, first 2 shown]
	v_mov_b32_e32 v39, s28
	s_add_i32 s28, s29, s19
	s_lshl_b32 s28, s28, 2
	v_mov_b32_e32 v48, s28
	s_add_i32 s28, s29, s20
	s_lshl_b32 s28, s28, 2
	ds_read2_b32 v[40:41], v40 offset1:1
	ds_read2_b32 v[42:43], v31 offset1:1
	;; [unrolled: 1-line block ×5, first 2 shown]
	v_mov_b32_e32 v31, s28
	s_add_i32 s28, s29, s21
	s_lshl_b32 s28, s28, 2
	v_mov_b32_e32 v37, s28
	s_add_i32 s28, s29, s22
	s_lshl_b32 s28, s28, 2
	v_mov_b32_e32 v39, s28
	s_add_i32 s28, s29, s23
	s_lshl_b32 s28, s28, 2
	ds_read2_b32 v[50:51], v31 offset1:1
	ds_read2_b32 v[52:53], v37 offset1:1
	;; [unrolled: 1-line block ×3, first 2 shown]
	v_mov_b32_e32 v31, s28
	s_add_i32 s28, s29, s24
	s_lshl_b32 s28, s28, 2
	ds_read2_b32 v[56:57], v31 offset1:1
	v_mov_b32_e32 v31, s28
	s_add_i32 s28, s29, s26
	s_lshl_b32 s28, s28, 2
	v_mov_b32_e32 v37, s28
	s_add_i32 s28, s29, s25
	s_lshl_b32 s28, s28, 2
	s_lshl_b32 s27, s27, 5
	v_mov_b32_e32 v39, s28
	s_add_i32 s28, s29, s27
	v_fma_f32 v14, -v27, v30, v14
	s_lshl_b32 s28, s28, 2
	v_fma_f32 v14, -v26, v36, v14
	s_waitcnt lgkmcnt(8)
	v_fma_f32 v15, -v24, v41, v15
	v_mov_b32_e32 v41, s28
	s_add_i32 s28, s11, 0xfffffe00
	v_fma_f32 v14, -v25, v38, v14
	s_waitcnt lgkmcnt(7)
	v_fma_f32 v15, -v3, v43, v15
	s_add_i32 s30, s29, s28
	v_fma_f32 v14, -v24, v40, v14
	s_waitcnt lgkmcnt(6)
	v_fma_f32 v15, -v2, v45, v15
	s_lshl_b32 s30, s30, 2
	v_fma_f32 v14, -v3, v42, v14
	s_waitcnt lgkmcnt(5)
	v_fma_f32 v15, -v1, v47, v15
	ds_read2_b32 v[58:59], v31 offset1:1
	ds_read2_b32 v[60:61], v37 offset1:1
	;; [unrolled: 1-line block ×4, first 2 shown]
	v_mov_b32_e32 v31, s30
	s_add_i32 s30, s7, 0xfffff73c
	s_sub_i32 s31, s8, 19
	v_fma_f32 v14, -v2, v44, v14
	s_waitcnt lgkmcnt(8)
	v_fma_f32 v15, -v0, v49, v15
	v_mov_b32_e32 v37, s30
	s_add_i32 s30, s31, s11
	v_fma_f32 v14, -v1, v46, v14
	s_waitcnt lgkmcnt(7)
	v_fma_f32 v15, -v7, v51, v15
	s_lshl_b32 s30, s30, 2
	v_fma_f32 v14, -v0, v48, v14
	s_waitcnt lgkmcnt(6)
	v_fma_f32 v15, -v6, v53, v15
	v_mov_b32_e32 v39, s30
	s_add_i32 s30, s31, s12
	v_fma_f32 v14, -v7, v50, v14
	s_waitcnt lgkmcnt(5)
	v_fma_f32 v15, -v5, v55, v15
	s_lshl_b32 s30, s30, 2
	v_fma_f32 v14, -v6, v52, v14
	s_waitcnt lgkmcnt(4)
	v_fma_f32 v15, -v4, v57, v15
	ds_read2_b32 v[66:67], v31 offset1:1
	v_mov_b32_e32 v31, s30
	v_fma_f32 v14, -v5, v54, v14
	s_add_i32 s30, s31, s9
	s_waitcnt lgkmcnt(4)
	v_fma_f32 v15, -v11, v59, v15
	v_fma_f32 v14, -v4, v56, v14
	s_lshl_b32 s30, s30, 2
	s_waitcnt lgkmcnt(3)
	v_fma_f32 v15, -v10, v61, v15
	v_fma_f32 v14, -v11, v58, v14
	v_mov_b32_e32 v30, s30
	s_add_i32 s30, s31, s13
	s_waitcnt lgkmcnt(2)
	v_fma_f32 v15, -v9, v63, v15
	v_fma_f32 v14, -v10, v60, v14
	s_lshl_b32 s30, s30, 2
	s_waitcnt lgkmcnt(1)
	v_fma_f32 v15, -v8, v65, v15
	ds_read_b32 v37, v37
	ds_read2_b32 v[68:69], v39 offset1:1
	ds_read2_b32 v[70:71], v31 offset1:1
	v_fma_f32 v14, -v9, v62, v14
	v_mov_b32_e32 v36, s30
	s_add_i32 s30, s31, s14
	s_waitcnt lgkmcnt(3)
	v_mul_f32_e32 v15, v67, v15
	v_fma_f32 v14, -v8, v64, v14
	s_lshl_b32 s30, s30, 2
	v_fma_f32 v14, -v15, v66, v14
	v_mov_b32_e32 v38, s30
	s_add_i32 s30, s31, s15
	s_waitcnt lgkmcnt(2)
	v_mul_f32_e32 v14, v37, v14
	s_lshl_b32 s30, s30, 2
	ds_read2_b32 v[30:31], v30 offset1:1
	ds_read2_b32 v[36:37], v36 offset1:1
	;; [unrolled: 1-line block ×3, first 2 shown]
	s_waitcnt lgkmcnt(4)
	v_fma_f32 v13, -v27, v69, v13
	v_mov_b32_e32 v40, s30
	s_add_i32 s30, s31, s17
	s_waitcnt lgkmcnt(3)
	v_fma_f32 v13, -v26, v71, v13
	s_lshl_b32 s30, s30, 2
	s_waitcnt lgkmcnt(2)
	v_fma_f32 v13, -v25, v31, v13
	v_mov_b32_e32 v31, s30
	s_add_i32 s30, s31, s19
	s_lshl_b32 s30, s30, 2
	s_waitcnt lgkmcnt(1)
	v_fma_f32 v13, -v24, v37, v13
	v_mov_b32_e32 v37, s30
	s_add_i32 s30, s31, s20
	;; [unrolled: 5-line block ×3, first 2 shown]
	s_lshl_b32 s30, s30, 2
	v_mov_b32_e32 v48, s30
	s_add_i32 s30, s31, s22
	s_lshl_b32 s30, s30, 2
	ds_read2_b32 v[40:41], v40 offset1:1
	ds_read2_b32 v[42:43], v31 offset1:1
	;; [unrolled: 1-line block ×5, first 2 shown]
	v_mov_b32_e32 v31, s30
	s_add_i32 s30, s31, s23
	s_lshl_b32 s30, s30, 2
	v_mov_b32_e32 v37, s30
	s_add_i32 s30, s31, s24
	s_lshl_b32 s30, s30, 2
	;; [unrolled: 3-line block ×3, first 2 shown]
	ds_read2_b32 v[50:51], v31 offset1:1
	ds_read2_b32 v[52:53], v37 offset1:1
	;; [unrolled: 1-line block ×3, first 2 shown]
	v_mov_b32_e32 v31, s30
	s_add_i32 s30, s31, s25
	s_lshl_b32 s30, s30, 2
	ds_read2_b32 v[56:57], v31 offset1:1
	v_mov_b32_e32 v31, s30
	s_add_i32 s30, s31, s27
	v_fma_f32 v12, -v27, v68, v12
	s_lshl_b32 s30, s30, 2
	v_fma_f32 v12, -v26, v70, v12
	v_mov_b32_e32 v37, s30
	s_add_i32 s30, s31, s28
	v_fma_f32 v12, -v25, v30, v12
	s_lshl_b32 s30, s30, 2
	s_lshl_b32 s29, s29, 5
	v_fma_f32 v12, -v24, v36, v12
	s_waitcnt lgkmcnt(8)
	v_fma_f32 v13, -v2, v41, v13
	v_mov_b32_e32 v39, s30
	s_add_i32 s30, s31, s29
	v_fma_f32 v12, -v3, v38, v12
	s_waitcnt lgkmcnt(7)
	v_fma_f32 v13, -v1, v43, v13
	s_lshl_b32 s30, s30, 2
	v_fma_f32 v12, -v2, v40, v12
	s_waitcnt lgkmcnt(6)
	v_fma_f32 v13, -v0, v45, v13
	v_mov_b32_e32 v41, s30
	s_add_i32 s30, s11, 0xfffffdc0
	v_fma_f32 v12, -v1, v42, v12
	s_waitcnt lgkmcnt(5)
	v_fma_f32 v13, -v7, v47, v13
	s_add_i32 s33, s31, s30
	v_fma_f32 v12, -v0, v44, v12
	s_waitcnt lgkmcnt(4)
	v_fma_f32 v13, -v6, v49, v13
	s_lshl_b32 s33, s33, 2
	v_fma_f32 v12, -v7, v46, v12
	s_waitcnt lgkmcnt(3)
	v_fma_f32 v13, -v5, v51, v13
	ds_read2_b32 v[58:59], v31 offset1:1
	ds_read2_b32 v[60:61], v37 offset1:1
	;; [unrolled: 1-line block ×4, first 2 shown]
	v_mov_b32_e32 v31, s33
	s_add_i32 s33, s7, 0xfffff634
	s_sub_i32 s34, s8, 21
	v_fma_f32 v12, -v6, v48, v12
	s_waitcnt lgkmcnt(6)
	v_fma_f32 v13, -v4, v53, v13
	v_mov_b32_e32 v37, s33
	s_add_i32 s33, s34, s11
	v_fma_f32 v12, -v5, v50, v12
	s_waitcnt lgkmcnt(5)
	v_fma_f32 v13, -v11, v55, v13
	s_lshl_b32 s33, s33, 2
	v_fma_f32 v12, -v4, v52, v12
	s_waitcnt lgkmcnt(4)
	v_fma_f32 v13, -v10, v57, v13
	v_mov_b32_e32 v39, s33
	s_add_i32 s33, s34, s12
	ds_read2_b32 v[66:67], v31 offset1:1
	v_fma_f32 v12, -v11, v54, v12
	s_waitcnt lgkmcnt(4)
	v_fma_f32 v13, -v9, v59, v13
	s_lshl_b32 s33, s33, 2
	v_fma_f32 v12, -v10, v56, v12
	s_waitcnt lgkmcnt(3)
	v_fma_f32 v13, -v8, v61, v13
	v_mov_b32_e32 v31, s33
	v_fma_f32 v12, -v9, v58, v12
	s_add_i32 s33, s34, s9
	s_waitcnt lgkmcnt(2)
	v_fma_f32 v13, -v15, v63, v13
	v_fma_f32 v12, -v8, v60, v12
	s_lshl_b32 s33, s33, 2
	s_waitcnt lgkmcnt(1)
	v_fma_f32 v13, -v14, v65, v13
	ds_read_b32 v37, v37
	ds_read2_b32 v[72:73], v39 offset1:1
	ds_read2_b32 v[74:75], v31 offset1:1
	v_fma_f32 v12, -v15, v62, v12
	v_mov_b32_e32 v30, s33
	s_add_i32 s33, s34, s13
	s_waitcnt lgkmcnt(3)
	v_mul_f32_e32 v13, v67, v13
	v_fma_f32 v12, -v14, v64, v12
	s_lshl_b32 s33, s33, 2
	v_fma_f32 v12, -v13, v66, v12
	v_mov_b32_e32 v36, s33
	s_add_i32 s33, s34, s14
	s_waitcnt lgkmcnt(2)
	v_mul_f32_e32 v12, v37, v12
	s_lshl_b32 s33, s33, 2
	global_store_dwordx4 v[28:29], v[12:15], off offset:-76
	v_mov_b32_e32 v38, s33
	s_add_i32 s33, s34, s15
	s_lshl_b32 s33, s33, 2
	ds_read2_b32 v[30:31], v30 offset1:1
	ds_read2_b32 v[36:37], v36 offset1:1
	;; [unrolled: 1-line block ×3, first 2 shown]
	s_waitcnt lgkmcnt(4)
	v_fma_f32 v19, -v27, v73, v19
	v_mov_b32_e32 v40, s33
	s_add_i32 s33, s34, s17
	s_waitcnt lgkmcnt(3)
	v_fma_f32 v19, -v26, v75, v19
	s_lshl_b32 s33, s33, 2
	s_waitcnt lgkmcnt(2)
	v_fma_f32 v19, -v25, v31, v19
	v_mov_b32_e32 v31, s33
	s_add_i32 s33, s34, s19
	s_lshl_b32 s33, s33, 2
	s_waitcnt lgkmcnt(1)
	v_fma_f32 v19, -v24, v37, v19
	v_mov_b32_e32 v37, s33
	s_add_i32 s33, s34, s20
	;; [unrolled: 5-line block ×3, first 2 shown]
	s_lshl_b32 s33, s33, 2
	v_mov_b32_e32 v48, s33
	s_add_i32 s33, s34, s22
	s_lshl_b32 s33, s33, 2
	ds_read2_b32 v[40:41], v40 offset1:1
	ds_read2_b32 v[42:43], v31 offset1:1
	;; [unrolled: 1-line block ×5, first 2 shown]
	v_mov_b32_e32 v31, s33
	s_add_i32 s33, s34, s23
	s_lshl_b32 s33, s33, 2
	v_mov_b32_e32 v37, s33
	s_add_i32 s33, s34, s24
	s_lshl_b32 s33, s33, 2
	;; [unrolled: 3-line block ×3, first 2 shown]
	ds_read2_b32 v[50:51], v31 offset1:1
	ds_read2_b32 v[52:53], v37 offset1:1
	;; [unrolled: 1-line block ×3, first 2 shown]
	v_mov_b32_e32 v31, s33
	s_add_i32 s33, s34, s25
	s_lshl_b32 s33, s33, 2
	ds_read2_b32 v[56:57], v31 offset1:1
	v_mov_b32_e32 v31, s33
	s_add_i32 s33, s34, s27
	s_lshl_b32 s33, s33, 2
	v_mov_b32_e32 v37, s33
	s_add_i32 s33, s34, s28
	s_lshl_b32 s33, s33, 2
	;; [unrolled: 3-line block ×3, first 2 shown]
	s_waitcnt lgkmcnt(8)
	v_fma_f32 v19, -v2, v41, v19
	v_mov_b32_e32 v41, s33
	s_add_i32 s33, s34, s30
	s_lshl_b32 s33, s33, 2
	s_lshl_b32 s31, s31, 5
	ds_read2_b32 v[58:59], v31 offset1:1
	ds_read2_b32 v[60:61], v37 offset1:1
	;; [unrolled: 1-line block ×4, first 2 shown]
	v_mov_b32_e32 v31, s33
	s_add_i32 s33, s34, s31
	s_lshl_b32 s33, s33, 2
	v_mov_b32_e32 v37, s33
	s_add_i32 s33, s11, 0xfffffd80
	v_fma_f32 v18, -v27, v72, v18
	s_add_i32 s35, s34, s33
	v_fma_f32 v18, -v26, v74, v18
	s_lshl_b32 s35, s35, 2
	v_fma_f32 v18, -v25, v30, v18
	v_mov_b32_e32 v39, s35
	s_add_i32 s35, s7, 0xfffff52c
	v_fma_f32 v18, -v24, v36, v18
	s_sub_i32 s37, s8, 23
	ds_read2_b32 v[66:67], v31 offset1:1
	ds_read2_b32 v[68:69], v37 offset1:1
	;; [unrolled: 1-line block ×3, first 2 shown]
	v_mov_b32_e32 v31, s35
	v_fma_f32 v18, -v3, v38, v18
	s_add_i32 s35, s37, s11
	s_waitcnt lgkmcnt(14)
	v_fma_f32 v19, -v1, v43, v19
	v_fma_f32 v18, -v2, v40, v18
	s_lshl_b32 s35, s35, 2
	s_waitcnt lgkmcnt(13)
	v_fma_f32 v19, -v0, v45, v19
	v_fma_f32 v18, -v1, v42, v18
	v_mov_b32_e32 v30, s35
	s_add_i32 s35, s37, s12
	s_waitcnt lgkmcnt(12)
	v_fma_f32 v19, -v7, v47, v19
	v_fma_f32 v18, -v0, v44, v18
	s_lshl_b32 s35, s35, 2
	s_waitcnt lgkmcnt(11)
	v_fma_f32 v19, -v6, v49, v19
	v_fma_f32 v18, -v7, v46, v18
	v_mov_b32_e32 v36, s35
	;; [unrolled: 9-line block ×4, first 2 shown]
	s_waitcnt lgkmcnt(6)
	v_fma_f32 v19, -v9, v59, v19
	ds_read_b32 v43, v31
	v_fma_f32 v18, -v10, v56, v18
	ds_read2_b32 v[30:31], v30 offset1:1
	ds_read2_b32 v[36:37], v36 offset1:1
	;; [unrolled: 1-line block ×4, first 2 shown]
	s_add_i32 s35, s37, s14
	s_waitcnt lgkmcnt(10)
	v_fma_f32 v19, -v8, v61, v19
	v_fma_f32 v18, -v9, v58, v18
	s_lshl_b32 s35, s35, 2
	s_waitcnt lgkmcnt(9)
	v_fma_f32 v19, -v15, v63, v19
	v_fma_f32 v18, -v8, v60, v18
	s_waitcnt lgkmcnt(3)
	v_fma_f32 v17, -v27, v31, v17
	v_mov_b32_e32 v31, s35
	s_add_i32 s35, s37, s15
	v_fma_f32 v19, -v14, v65, v19
	v_fma_f32 v18, -v15, v62, v18
	s_lshl_b32 s35, s35, 2
	v_fma_f32 v19, -v13, v67, v19
	v_fma_f32 v18, -v14, v64, v18
	s_waitcnt lgkmcnt(2)
	v_fma_f32 v17, -v26, v37, v17
	v_mov_b32_e32 v37, s35
	s_add_i32 s35, s37, s17
	v_fma_f32 v19, -v12, v69, v19
	v_fma_f32 v18, -v13, v66, v18
	s_lshl_b32 s35, s35, 2
	v_mul_f32_e32 v19, v71, v19
	v_fma_f32 v18, -v12, v68, v18
	s_waitcnt lgkmcnt(1)
	v_fma_f32 v17, -v25, v39, v17
	v_mov_b32_e32 v39, s35
	s_add_i32 s35, s37, s19
	v_fma_f32 v18, -v19, v70, v18
	s_lshl_b32 s35, s35, 2
	v_mul_f32_e32 v18, v43, v18
	ds_read2_b32 v[42:43], v31 offset1:1
	ds_read2_b32 v[44:45], v37 offset1:1
	;; [unrolled: 1-line block ×3, first 2 shown]
	v_mov_b32_e32 v31, s35
	s_add_i32 s35, s37, s20
	s_lshl_b32 s35, s35, 2
	ds_read2_b32 v[48:49], v31 offset1:1
	v_mov_b32_e32 v31, s35
	s_add_i32 s35, s37, s21
	s_lshl_b32 s35, s35, 2
	v_mov_b32_e32 v37, s35
	s_add_i32 s35, s37, s22
	s_lshl_b32 s35, s35, 2
	;; [unrolled: 3-line block ×3, first 2 shown]
	s_waitcnt lgkmcnt(4)
	v_fma_f32 v17, -v24, v41, v17
	v_mov_b32_e32 v41, s35
	s_add_i32 s35, s37, s24
	s_lshl_b32 s35, s35, 2
	ds_read2_b32 v[50:51], v31 offset1:1
	ds_read2_b32 v[52:53], v37 offset1:1
	;; [unrolled: 1-line block ×4, first 2 shown]
	v_mov_b32_e32 v31, s35
	s_add_i32 s35, s37, s26
	s_lshl_b32 s35, s35, 2
	v_mov_b32_e32 v37, s35
	s_add_i32 s35, s37, s25
	s_lshl_b32 s35, s35, 2
	;; [unrolled: 3-line block ×3, first 2 shown]
	ds_read2_b32 v[58:59], v31 offset1:1
	ds_read2_b32 v[60:61], v37 offset1:1
	;; [unrolled: 1-line block ×3, first 2 shown]
	v_mov_b32_e32 v31, s35
	s_add_i32 s35, s37, s28
	v_fma_f32 v16, -v27, v30, v16
	s_lshl_b32 s35, s35, 2
	v_fma_f32 v16, -v26, v36, v16
	ds_read2_b32 v[64:65], v31 offset1:1
	v_mov_b32_e32 v31, s35
	s_add_i32 s35, s37, s29
	v_fma_f32 v16, -v25, v38, v16
	s_waitcnt lgkmcnt(11)
	v_fma_f32 v17, -v3, v43, v17
	s_lshl_b32 s35, s35, 2
	v_fma_f32 v16, -v24, v40, v16
	s_waitcnt lgkmcnt(10)
	v_fma_f32 v17, -v2, v45, v17
	v_mov_b32_e32 v37, s35
	s_add_i32 s35, s37, s30
	v_fma_f32 v16, -v3, v42, v16
	s_waitcnt lgkmcnt(9)
	v_fma_f32 v17, -v1, v47, v17
	s_lshl_b32 s35, s35, 2
	v_fma_f32 v16, -v2, v44, v16
	s_waitcnt lgkmcnt(8)
	v_fma_f32 v17, -v0, v49, v17
	v_mov_b32_e32 v39, s35
	s_add_i32 s35, s37, s31
	v_fma_f32 v16, -v1, v46, v16
	s_waitcnt lgkmcnt(7)
	v_fma_f32 v17, -v7, v51, v17
	s_lshl_b32 s35, s35, 2
	v_fma_f32 v16, -v0, v48, v16
	s_waitcnt lgkmcnt(6)
	v_fma_f32 v17, -v6, v53, v17
	v_mov_b32_e32 v41, s35
	s_add_i32 s35, s37, s33
	v_fma_f32 v16, -v7, v50, v16
	s_waitcnt lgkmcnt(5)
	v_fma_f32 v17, -v5, v55, v17
	s_lshl_b32 s35, s35, 2
	v_fma_f32 v16, -v6, v52, v16
	s_waitcnt lgkmcnt(4)
	v_fma_f32 v17, -v4, v57, v17
	ds_read2_b32 v[66:67], v31 offset1:1
	ds_read2_b32 v[68:69], v37 offset1:1
	;; [unrolled: 1-line block ×4, first 2 shown]
	v_mov_b32_e32 v31, s35
	s_lshl_b32 s35, s34, 5
	v_fma_f32 v16, -v5, v54, v16
	s_waitcnt lgkmcnt(7)
	v_fma_f32 v17, -v11, v59, v17
	s_add_i32 s34, s37, s35
	v_fma_f32 v16, -v4, v56, v16
	s_waitcnt lgkmcnt(6)
	v_fma_f32 v17, -v10, v61, v17
	s_lshl_b32 s34, s34, 2
	v_fma_f32 v16, -v11, v58, v16
	s_waitcnt lgkmcnt(5)
	v_fma_f32 v17, -v9, v63, v17
	v_mov_b32_e32 v37, s34
	s_add_i32 s34, s11, 0xfffffd40
	v_fma_f32 v16, -v10, v60, v16
	s_waitcnt lgkmcnt(4)
	v_fma_f32 v17, -v8, v65, v17
	s_add_i32 s36, s37, s34
	v_fma_f32 v16, -v9, v62, v16
	s_waitcnt lgkmcnt(3)
	v_fma_f32 v17, -v15, v67, v17
	s_lshl_b32 s36, s36, 2
	v_fma_f32 v16, -v8, v64, v16
	s_waitcnt lgkmcnt(2)
	v_fma_f32 v17, -v14, v69, v17
	v_mov_b32_e32 v39, s36
	s_add_i32 s36, s7, 0xfffff424
	ds_read2_b32 v[74:75], v31 offset1:1
	ds_read2_b32 v[76:77], v37 offset1:1
	;; [unrolled: 1-line block ×3, first 2 shown]
	v_fma_f32 v16, -v15, v66, v16
	s_waitcnt lgkmcnt(4)
	v_fma_f32 v17, -v13, v71, v17
	v_mov_b32_e32 v31, s36
	v_fma_f32 v16, -v14, v68, v16
	s_sub_i32 s36, s8, 25
	s_waitcnt lgkmcnt(3)
	v_fma_f32 v17, -v12, v73, v17
	ds_read_b32 v31, v31
	v_fma_f32 v16, -v13, v70, v16
	s_add_i32 s38, s36, s11
	s_waitcnt lgkmcnt(3)
	v_fma_f32 v17, -v19, v75, v17
	v_fma_f32 v16, -v12, v72, v16
	s_lshl_b32 s38, s38, 2
	s_waitcnt lgkmcnt(2)
	v_fma_f32 v17, -v18, v77, v17
	v_fma_f32 v16, -v19, v74, v16
	v_mov_b32_e32 v30, s38
	s_add_i32 s38, s36, s12
	s_waitcnt lgkmcnt(1)
	v_mul_f32_e32 v17, v79, v17
	v_fma_f32 v16, -v18, v76, v16
	s_lshl_b32 s38, s38, 2
	v_fma_f32 v16, -v17, v78, v16
	v_mov_b32_e32 v36, s38
	s_add_i32 s38, s36, s9
	s_waitcnt lgkmcnt(0)
	v_mul_f32_e32 v16, v31, v16
	s_lshl_b32 s38, s38, 2
	global_store_dwordx4 v[28:29], v[16:19], off offset:-92
	v_mov_b32_e32 v38, s38
	s_add_i32 s38, s36, s13
	s_lshl_b32 s38, s38, 2
	ds_read2_b32 v[30:31], v30 offset1:1
	ds_read2_b32 v[36:37], v36 offset1:1
	;; [unrolled: 1-line block ×3, first 2 shown]
	v_mov_b32_e32 v40, s38
	s_add_i32 s38, s36, s14
	s_lshl_b32 s38, s38, 2
	s_waitcnt lgkmcnt(2)
	v_fma_f32 v23, -v27, v31, v23
	v_mov_b32_e32 v31, s38
	s_add_i32 s38, s36, s15
	s_lshl_b32 s38, s38, 2
	s_waitcnt lgkmcnt(1)
	v_fma_f32 v23, -v26, v37, v23
	;; [unrolled: 5-line block ×3, first 2 shown]
	v_mov_b32_e32 v39, s38
	s_add_i32 s38, s36, s19
	s_lshl_b32 s38, s38, 2
	v_mov_b32_e32 v48, s38
	s_add_i32 s38, s36, s20
	s_lshl_b32 s38, s38, 2
	ds_read2_b32 v[40:41], v40 offset1:1
	ds_read2_b32 v[42:43], v31 offset1:1
	;; [unrolled: 1-line block ×5, first 2 shown]
	v_mov_b32_e32 v31, s38
	s_add_i32 s38, s36, s21
	s_lshl_b32 s38, s38, 2
	v_mov_b32_e32 v37, s38
	s_add_i32 s38, s36, s22
	s_lshl_b32 s38, s38, 2
	;; [unrolled: 3-line block ×3, first 2 shown]
	ds_read2_b32 v[50:51], v31 offset1:1
	ds_read2_b32 v[52:53], v37 offset1:1
	;; [unrolled: 1-line block ×3, first 2 shown]
	v_mov_b32_e32 v31, s38
	s_add_i32 s38, s36, s24
	s_lshl_b32 s38, s38, 2
	ds_read2_b32 v[56:57], v31 offset1:1
	v_mov_b32_e32 v31, s38
	s_add_i32 s38, s36, s26
	s_lshl_b32 s38, s38, 2
	v_mov_b32_e32 v37, s38
	s_add_i32 s38, s36, s25
	s_lshl_b32 s38, s38, 2
	v_mov_b32_e32 v39, s38
	s_add_i32 s38, s36, s27
	s_lshl_b32 s38, s38, 2
	s_waitcnt lgkmcnt(8)
	v_fma_f32 v23, -v24, v41, v23
	v_mov_b32_e32 v41, s38
	s_add_i32 s38, s36, s28
	s_lshl_b32 s38, s38, 2
	ds_read2_b32 v[58:59], v31 offset1:1
	ds_read2_b32 v[60:61], v37 offset1:1
	ds_read2_b32 v[62:63], v39 offset1:1
	ds_read2_b32 v[64:65], v41 offset1:1
	v_mov_b32_e32 v31, s38
	s_add_i32 s38, s36, s29
	s_lshl_b32 s38, s38, 2
	v_mov_b32_e32 v37, s38
	s_add_i32 s38, s36, s30
	s_lshl_b32 s38, s38, 2
	v_fma_f32 v22, -v27, v30, v22
	v_mov_b32_e32 v39, s38
	s_add_i32 s38, s36, s31
	v_fma_f32 v22, -v26, v36, v22
	s_lshl_b32 s38, s38, 2
	v_fma_f32 v22, -v25, v38, v22
	s_waitcnt lgkmcnt(11)
	v_fma_f32 v23, -v3, v43, v23
	ds_read2_b32 v[66:67], v31 offset1:1
	ds_read2_b32 v[68:69], v37 offset1:1
	ds_read2_b32 v[70:71], v39 offset1:1
	v_mov_b32_e32 v31, s38
	s_add_i32 s38, s36, s33
	v_fma_f32 v22, -v24, v40, v22
	s_waitcnt lgkmcnt(13)
	v_fma_f32 v23, -v2, v45, v23
	s_lshl_b32 s38, s38, 2
	v_fma_f32 v22, -v3, v42, v22
	s_waitcnt lgkmcnt(12)
	v_fma_f32 v23, -v1, v47, v23
	ds_read2_b32 v[72:73], v31 offset1:1
	v_mov_b32_e32 v31, s38
	s_add_i32 s38, s36, s35
	v_fma_f32 v22, -v2, v44, v22
	s_waitcnt lgkmcnt(12)
	v_fma_f32 v23, -v0, v49, v23
	s_lshl_b32 s38, s38, 2
	v_fma_f32 v22, -v1, v46, v22
	s_waitcnt lgkmcnt(11)
	v_fma_f32 v23, -v7, v51, v23
	v_mov_b32_e32 v37, s38
	s_add_i32 s38, s36, s34
	v_fma_f32 v22, -v0, v48, v22
	s_waitcnt lgkmcnt(10)
	v_fma_f32 v23, -v6, v53, v23
	s_lshl_b32 s38, s38, 2
	s_lshl_b32 s37, s37, 5
	v_fma_f32 v22, -v7, v50, v22
	s_waitcnt lgkmcnt(9)
	v_fma_f32 v23, -v5, v55, v23
	v_mov_b32_e32 v39, s38
	s_add_i32 s38, s36, s37
	v_fma_f32 v22, -v6, v52, v22
	s_waitcnt lgkmcnt(8)
	v_fma_f32 v23, -v4, v57, v23
	s_lshl_b32 s38, s38, 2
	v_fma_f32 v22, -v5, v54, v22
	s_waitcnt lgkmcnt(7)
	v_fma_f32 v23, -v11, v59, v23
	v_mov_b32_e32 v41, s38
	s_add_i32 s38, s11, 0xfffffd00
	v_fma_f32 v22, -v4, v56, v22
	s_waitcnt lgkmcnt(6)
	v_fma_f32 v23, -v10, v61, v23
	s_add_i32 s39, s36, s38
	v_fma_f32 v22, -v11, v58, v22
	s_waitcnt lgkmcnt(5)
	v_fma_f32 v23, -v9, v63, v23
	s_lshl_b32 s39, s39, 2
	v_fma_f32 v22, -v10, v60, v22
	s_waitcnt lgkmcnt(4)
	v_fma_f32 v23, -v8, v65, v23
	ds_read2_b32 v[74:75], v31 offset1:1
	ds_read2_b32 v[76:77], v37 offset1:1
	;; [unrolled: 1-line block ×4, first 2 shown]
	v_mov_b32_e32 v31, s39
	s_add_i32 s39, s7, 0xfffff31c
	v_fma_f32 v22, -v9, v62, v22
	s_waitcnt lgkmcnt(7)
	v_fma_f32 v23, -v15, v67, v23
	v_mov_b32_e32 v37, s39
	s_sub_i32 s39, s8, 27
	v_fma_f32 v22, -v8, v64, v22
	s_waitcnt lgkmcnt(6)
	v_fma_f32 v23, -v14, v69, v23
	v_fma_f32 v22, -v15, v66, v22
	s_add_i32 s9, s39, s9
	s_waitcnt lgkmcnt(5)
	v_fma_f32 v23, -v13, v71, v23
	v_fma_f32 v22, -v14, v68, v22
	s_lshl_b32 s9, s9, 2
	s_waitcnt lgkmcnt(4)
	v_fma_f32 v23, -v12, v73, v23
	ds_read2_b32 v[82:83], v31 offset1:1
	v_fma_f32 v22, -v13, v70, v22
	v_mov_b32_e32 v30, s9
	s_add_i32 s9, s39, s13
	s_waitcnt lgkmcnt(4)
	v_fma_f32 v23, -v19, v75, v23
	s_add_i32 s11, s39, s11
	s_add_i32 s12, s39, s12
	v_fma_f32 v22, -v12, v72, v22
	s_lshl_b32 s9, s9, 2
	s_waitcnt lgkmcnt(3)
	v_fma_f32 v23, -v18, v77, v23
	s_lshl_b32 s11, s11, 2
	s_lshl_b32 s12, s12, 2
	v_fma_f32 v22, -v19, v74, v22
	v_mov_b32_e32 v36, s9
	s_add_i32 s9, s39, s14
	s_waitcnt lgkmcnt(2)
	v_fma_f32 v23, -v17, v79, v23
	v_mov_b32_e32 v39, s11
	v_mov_b32_e32 v31, s12
	ds_read_b32 v37, v37
	ds_read2_b32 v[84:85], v39 offset1:1
	ds_read2_b32 v[86:87], v31 offset1:1
	v_fma_f32 v22, -v18, v76, v22
	s_lshl_b32 s9, s9, 2
	s_waitcnt lgkmcnt(4)
	v_fma_f32 v23, -v16, v81, v23
	v_fma_f32 v22, -v17, v78, v22
	v_mov_b32_e32 v38, s9
	s_add_i32 s9, s39, s15
	s_waitcnt lgkmcnt(3)
	v_mul_f32_e32 v23, v83, v23
	v_fma_f32 v22, -v16, v80, v22
	s_lshl_b32 s9, s9, 2
	v_fma_f32 v22, -v23, v82, v22
	v_mov_b32_e32 v40, s9
	s_waitcnt lgkmcnt(2)
	v_mul_f32_e32 v22, v37, v22
	s_waitcnt lgkmcnt(1)
	v_fma_f32 v21, -v27, v85, v21
	ds_read2_b32 v[30:31], v30 offset1:1
	ds_read2_b32 v[36:37], v36 offset1:1
	;; [unrolled: 1-line block ×4, first 2 shown]
	s_add_i32 s9, s39, s17
	s_waitcnt lgkmcnt(4)
	v_fma_f32 v21, -v26, v87, v21
	s_lshl_b32 s9, s9, 2
	s_waitcnt lgkmcnt(3)
	v_fma_f32 v21, -v25, v31, v21
	v_mov_b32_e32 v31, s9
	s_add_i32 s9, s39, s19
	s_lshl_b32 s9, s9, 2
	s_waitcnt lgkmcnt(2)
	v_fma_f32 v21, -v24, v37, v21
	v_mov_b32_e32 v37, s9
	s_add_i32 s9, s39, s20
	;; [unrolled: 5-line block ×3, first 2 shown]
	s_lshl_b32 s9, s9, 2
	ds_read2_b32 v[42:43], v31 offset1:1
	ds_read2_b32 v[44:45], v37 offset1:1
	;; [unrolled: 1-line block ×3, first 2 shown]
	v_mov_b32_e32 v31, s9
	s_add_i32 s9, s39, s22
	s_lshl_b32 s9, s9, 2
	ds_read2_b32 v[48:49], v31 offset1:1
	v_mov_b32_e32 v31, s9
	s_add_i32 s9, s39, s23
	s_lshl_b32 s9, s9, 2
	v_mov_b32_e32 v37, s9
	s_add_i32 s9, s39, s24
	s_lshl_b32 s9, s9, 2
	;; [unrolled: 3-line block ×3, first 2 shown]
	s_waitcnt lgkmcnt(4)
	v_fma_f32 v21, -v2, v41, v21
	v_mov_b32_e32 v41, s9
	s_add_i32 s9, s39, s25
	s_lshl_b32 s9, s9, 2
	ds_read2_b32 v[50:51], v31 offset1:1
	ds_read2_b32 v[52:53], v37 offset1:1
	;; [unrolled: 1-line block ×4, first 2 shown]
	v_mov_b32_e32 v31, s9
	s_add_i32 s9, s39, s27
	s_lshl_b32 s9, s9, 2
	v_mov_b32_e32 v37, s9
	s_add_i32 s9, s39, s28
	s_lshl_b32 s9, s9, 2
	;; [unrolled: 3-line block ×3, first 2 shown]
	v_fma_f32 v20, -v27, v84, v20
	ds_read2_b32 v[58:59], v31 offset1:1
	ds_read2_b32 v[60:61], v37 offset1:1
	;; [unrolled: 1-line block ×3, first 2 shown]
	v_mov_b32_e32 v31, s9
	s_add_i32 s9, s39, s30
	v_fma_f32 v20, -v26, v86, v20
	s_lshl_b32 s9, s9, 2
	v_fma_f32 v20, -v25, v30, v20
	ds_read2_b32 v[64:65], v31 offset1:1
	v_mov_b32_e32 v31, s9
	s_add_i32 s9, s39, s31
	v_fma_f32 v20, -v24, v36, v20
	s_lshl_b32 s9, s9, 2
	v_fma_f32 v3, -v3, v38, v20
	s_waitcnt lgkmcnt(11)
	v_fma_f32 v21, -v1, v43, v21
	v_mov_b32_e32 v37, s9
	s_add_i32 s9, s39, s33
	v_fma_f32 v2, -v2, v40, v3
	s_waitcnt lgkmcnt(10)
	v_fma_f32 v21, -v0, v45, v21
	s_lshl_b32 s9, s9, 2
	v_fma_f32 v1, -v1, v42, v2
	s_waitcnt lgkmcnt(9)
	v_fma_f32 v21, -v7, v47, v21
	v_mov_b32_e32 v39, s9
	s_add_i32 s9, s39, s35
	v_fma_f32 v0, -v0, v44, v1
	s_waitcnt lgkmcnt(8)
	;; [unrolled: 9-line block ×3, first 2 shown]
	v_fma_f32 v21, -v4, v53, v21
	s_lshl_b32 s9, s9, 2
	v_fma_f32 v0, -v5, v50, v0
	s_waitcnt lgkmcnt(5)
	v_fma_f32 v21, -v11, v55, v21
	ds_read2_b32 v[66:67], v31 offset1:1
	ds_read2_b32 v[68:69], v37 offset1:1
	;; [unrolled: 1-line block ×4, first 2 shown]
	v_mov_b32_e32 v31, s9
	s_add_i32 s9, s39, s37
	v_fma_f32 v0, -v4, v52, v0
	s_waitcnt lgkmcnt(8)
	v_fma_f32 v21, -v10, v57, v21
	s_lshl_b32 s9, s9, 2
	v_fma_f32 v0, -v11, v54, v0
	s_waitcnt lgkmcnt(7)
	v_fma_f32 v21, -v9, v59, v21
	v_mov_b32_e32 v37, s9
	s_add_i32 s9, s39, s38
	v_fma_f32 v0, -v10, v56, v0
	s_waitcnt lgkmcnt(6)
	v_fma_f32 v21, -v8, v61, v21
	s_lshl_b32 s9, s9, 2
	v_fma_f32 v0, -v9, v58, v0
	s_waitcnt lgkmcnt(5)
	v_fma_f32 v21, -v15, v63, v21
	v_mov_b32_e32 v39, s9
	s_lshl_b32 s9, s36, 5
	v_fma_f32 v0, -v8, v60, v0
	s_waitcnt lgkmcnt(4)
	v_fma_f32 v21, -v14, v65, v21
	s_add_i32 s39, s39, s9
	v_fma_f32 v0, -v15, v62, v0
	s_waitcnt lgkmcnt(3)
	v_fma_f32 v21, -v13, v67, v21
	s_lshl_b32 s9, s39, 2
	v_fma_f32 v0, -v14, v64, v0
	s_waitcnt lgkmcnt(2)
	v_fma_f32 v21, -v12, v69, v21
	ds_read2_b32 v[74:75], v31 offset1:1
	ds_read2_b32 v[76:77], v37 offset1:1
	;; [unrolled: 1-line block ×3, first 2 shown]
	v_mov_b32_e32 v31, s9
	s_add_i32 s9, s11, 0xfffff300
	v_fma_f32 v0, -v13, v66, v0
	s_waitcnt lgkmcnt(4)
	v_fma_f32 v21, -v19, v71, v21
	ds_read2_b32 v[80:81], v31 offset1:1
	v_mov_b32_e32 v31, s9
	v_fma_f32 v0, -v12, v68, v0
	s_waitcnt lgkmcnt(4)
	v_fma_f32 v21, -v18, v73, v21
	ds_read2_b32 v[82:83], v31 offset1:1
	s_addk_i32 s7, 0xf214
	v_fma_f32 v0, -v19, v70, v0
	s_waitcnt lgkmcnt(4)
	v_fma_f32 v21, -v17, v75, v21
	v_mov_b32_e32 v31, s7
	v_fma_f32 v0, -v18, v72, v0
	s_waitcnt lgkmcnt(3)
	v_fma_f32 v21, -v16, v77, v21
	ds_read_b32 v31, v31
	v_fma_f32 v0, -v17, v74, v0
	s_waitcnt lgkmcnt(3)
	v_fma_f32 v21, -v23, v79, v21
	v_fma_f32 v0, -v16, v76, v0
	s_waitcnt lgkmcnt(2)
	v_fma_f32 v21, -v22, v81, v21
	v_fma_f32 v0, -v23, v78, v0
	s_waitcnt lgkmcnt(1)
	v_mul_f32_e32 v21, v83, v21
	v_fma_f32 v0, -v22, v80, v0
	v_fma_f32 v0, -v21, v82, v0
	s_waitcnt lgkmcnt(0)
	v_mul_f32_e32 v20, v31, v0
	s_sub_i32 s8, s8, 28
	global_store_dwordx4 v[28:29], v[20:23], off offset:-108
.LBB37_49:
	s_cmp_lt_i32 s8, 0
	s_cbranch_scc1 .LBB37_66
; %bb.50:
	s_add_i32 s7, s8, 1
	s_and_b32 s9, s7, 3
	s_cmp_eq_u32 s9, 0
	s_mov_b32 s12, s8
	s_cbranch_scc1 .LBB37_55
; %bb.51:
	s_lshl_b32 s7, s18, 7
	s_lshl_b32 s11, s8, 2
	s_add_i32 s7, s7, s11
	s_add_i32 s11, s7, 0xffffff80
	s_ashr_i32 s7, s6, 31
	s_lshl_b64 s[12:13], s[6:7], 2
	s_add_u32 s7, s2, s12
	s_addc_u32 s12, s3, s13
	s_add_u32 s7, s7, s4
	s_addc_u32 s12, s12, s5
	;; [unrolled: 2-line block ×3, first 2 shown]
	v_mov_b32_e32 v1, s12
	v_add_co_u32_e32 v0, vcc, s7, v34
	s_mov_b32 s13, 0
	v_addc_co_u32_e32 v1, vcc, v1, v35, vcc
	s_mov_b32 s12, s8
	s_mov_b32 s7, s13
	s_branch .LBB37_53
.LBB37_52:                              ;   in Loop: Header=BB37_53 Depth=1
	s_mul_i32 s14, s12, 0x84
	v_mov_b32_e32 v2, s14
	ds_read_b32 v2, v2
	s_ashr_i32 s15, s12, 31
	s_mov_b32 s14, s12
	s_lshl_b64 s[14:15], s[14:15], 2
	v_mov_b32_e32 v3, s15
	s_waitcnt lgkmcnt(0)
	v_mul_f32_e32 v4, v2, v4
	v_add_co_u32_e32 v2, vcc, s14, v32
	s_add_i32 s12, s12, -1
	s_add_i32 s7, s7, 1
	s_add_i32 s11, s11, -4
	v_addc_co_u32_e32 v3, vcc, v33, v3, vcc
	s_cmp_lg_u32 s7, s9
	global_store_dword v[2:3], v4, off
	s_cbranch_scc0 .LBB37_55
.LBB37_53:                              ; =>This Loop Header: Depth=1
                                        ;     Child Loop BB37_54 Depth 2
	s_lshl_b64 s[14:15], s[12:13], 2
	v_mov_b32_e32 v3, s15
	v_add_co_u32_e32 v2, vcc, s14, v32
	v_addc_co_u32_e32 v3, vcc, v33, v3, vcc
	global_load_dword v4, v[2:3], off
	v_pk_mov_b32 v[2:3], v[0:1], v[0:1] op_sel:[0,1]
	s_mov_b32 s14, s11
	s_cmp_le_i32 s6, s12
	s_mov_b32 s15, s6
	s_waitcnt vmcnt(0)
	v_mul_f32_e32 v4, s16, v4
	s_cbranch_scc1 .LBB37_52
.LBB37_54:                              ;   Parent Loop BB37_53 Depth=1
                                        ; =>  This Inner Loop Header: Depth=2
	global_load_dword v5, v[2:3], off
	v_mov_b32_e32 v6, s14
	ds_read_b32 v6, v6
	s_add_i32 s15, s15, -1
	s_addk_i32 s14, 0xff80
	v_add_co_u32_e32 v2, vcc, -4, v2
	v_addc_co_u32_e32 v3, vcc, -1, v3, vcc
	s_cmp_gt_i32 s15, s12
	s_waitcnt vmcnt(0) lgkmcnt(0)
	v_fma_f32 v4, -v5, v6, v4
	s_cbranch_scc1 .LBB37_54
	s_branch .LBB37_52
.LBB37_55:
	s_cmp_lt_u32 s8, 3
	s_cbranch_scc1 .LBB37_66
; %bb.56:
	s_lshl_b32 s7, s18, 7
	s_lshl_b32 s8, s12, 2
	s_add_i32 s9, s7, s8
	s_add_i32 s8, s9, 0xffffff80
	s_add_u32 s0, s4, s0
	s_addc_u32 s1, s5, s1
	s_ashr_i32 s7, s6, 31
	v_mov_b32_e32 v0, s1
	v_add_co_u32_e32 v2, vcc, s0, v34
	s_lshl_b64 s[0:1], s[6:7], 2
	s_add_u32 s0, s2, s0
	v_addc_co_u32_e32 v3, vcc, v0, v35, vcc
	s_addc_u32 s1, s3, s1
	s_ashr_i32 s11, s10, 31
	v_mov_b32_e32 v1, s1
	v_add_co_u32_e32 v0, vcc, s0, v2
	s_add_i32 s4, s9, 0xffffff7c
	v_cmp_lt_i64_e64 s[0:1], s[10:11], 32
	s_and_b64 s[0:1], s[0:1], exec
	s_cselect_b32 s1, s11, 0
	s_cselect_b32 s0, s10, 32
	s_lshl_b64 s[0:1], s[0:1], 2
	s_add_u32 s0, s2, s0
	v_addc_co_u32_e32 v1, vcc, v1, v3, vcc
	s_addc_u32 s1, s3, s1
	v_mov_b32_e32 v4, s1
	v_add_co_u32_e32 v2, vcc, s0, v2
	v_addc_co_u32_e32 v3, vcc, v4, v3, vcc
	v_add_co_u32_e32 v2, vcc, -4, v2
	s_mov_b32 s13, 0
	v_addc_co_u32_e32 v3, vcc, -1, v3, vcc
	s_add_i32 s2, s9, 0xffffff78
	s_add_i32 s3, s9, 0xffffff74
	s_branch .LBB37_58
.LBB37_57:                              ;   in Loop: Header=BB37_58 Depth=1
	s_add_i32 s0, s1, 0xffffff7c
	v_mov_b32_e32 v6, s0
	ds_read_b32 v6, v6
	s_add_i32 s0, s12, -4
	s_add_i32 s8, s8, -16
	;; [unrolled: 1-line block ×5, first 2 shown]
	s_waitcnt lgkmcnt(0)
	v_mul_f32_e32 v6, v6, v8
	s_cmp_lt_i32 s12, 4
	s_mov_b32 s12, s0
	global_store_dword v[4:5], v6, off offset:-12
	s_cbranch_scc1 .LBB37_66
.LBB37_58:                              ; =>This Loop Header: Depth=1
                                        ;     Child Loop BB37_59 Depth 2
                                        ;     Child Loop BB37_61 Depth 2
	;; [unrolled: 1-line block ×4, first 2 shown]
	s_lshl_b64 s[0:1], s[12:13], 2
	v_mov_b32_e32 v5, s1
	v_add_co_u32_e32 v4, vcc, s0, v32
	v_addc_co_u32_e32 v5, vcc, v33, v5, vcc
	global_load_dword v6, v[4:5], off
	v_pk_mov_b32 v[4:5], v[0:1], v[0:1] op_sel:[0,1]
	s_mov_b32 s0, s8
	s_cmp_le_i32 s6, s12
	s_mov_b32 s1, s6
	s_waitcnt vmcnt(0)
	v_mul_f32_e32 v8, s16, v6
	s_cbranch_scc1 .LBB37_60
.LBB37_59:                              ;   Parent Loop BB37_58 Depth=1
                                        ; =>  This Inner Loop Header: Depth=2
	global_load_dword v6, v[4:5], off
	v_mov_b32_e32 v7, s0
	ds_read_b32 v7, v7
	s_add_i32 s1, s1, -1
	s_addk_i32 s0, 0xff80
	v_add_co_u32_e32 v4, vcc, -4, v4
	v_addc_co_u32_e32 v5, vcc, -1, v5, vcc
	s_cmp_gt_i32 s1, s12
	s_waitcnt vmcnt(0) lgkmcnt(0)
	v_fma_f32 v8, -v6, v7, v8
	s_cbranch_scc1 .LBB37_59
.LBB37_60:                              ;   in Loop: Header=BB37_58 Depth=1
	s_add_i32 s0, s12, -1
	s_mov_b32 s1, s13
	s_lshl_b64 s[0:1], s[0:1], 2
	v_mov_b32_e32 v5, s1
	v_add_co_u32_e32 v4, vcc, s0, v32
	v_addc_co_u32_e32 v5, vcc, v33, v5, vcc
	global_load_dword v9, v[4:5], off
	s_mul_i32 s5, s12, 0x84
	v_mov_b32_e32 v4, s5
	ds_read_b32 v10, v4
	s_ashr_i32 s11, s12, 31
	s_mov_b32 s10, s12
	s_lshl_b64 s[10:11], s[10:11], 2
	v_mov_b32_e32 v5, s11
	v_add_co_u32_e32 v4, vcc, s10, v32
	v_addc_co_u32_e32 v5, vcc, v33, v5, vcc
	s_waitcnt lgkmcnt(0)
	v_mul_f32_e32 v8, v10, v8
	v_pk_mov_b32 v[6:7], v[2:3], v[2:3] op_sel:[0,1]
	s_mov_b32 s0, s4
	s_cmp_le_i32 s18, s12
	global_store_dword v[4:5], v8, off
	s_mov_b32 s1, s18
	s_waitcnt vmcnt(1)
	v_mul_f32_e32 v8, s16, v9
	s_cbranch_scc1 .LBB37_62
.LBB37_61:                              ;   Parent Loop BB37_58 Depth=1
                                        ; =>  This Inner Loop Header: Depth=2
	global_load_dword v9, v[6:7], off
	v_mov_b32_e32 v10, s0
	ds_read_b32 v10, v10
	s_add_i32 s1, s1, -1
	s_addk_i32 s0, 0xff80
	v_add_co_u32_e32 v6, vcc, -4, v6
	v_addc_co_u32_e32 v7, vcc, -1, v7, vcc
	s_cmp_gt_i32 s1, s12
	s_waitcnt vmcnt(0) lgkmcnt(0)
	v_fma_f32 v8, -v9, v10, v8
	s_cbranch_scc1 .LBB37_61
.LBB37_62:                              ;   in Loop: Header=BB37_58 Depth=1
	s_add_i32 s0, s12, -2
	s_mov_b32 s1, s13
	s_lshl_b64 s[10:11], s[0:1], 2
	v_mov_b32_e32 v7, s11
	v_add_co_u32_e32 v6, vcc, s10, v32
	v_addc_co_u32_e32 v7, vcc, v33, v7, vcc
	global_load_dword v9, v[6:7], off
	s_addk_i32 s5, 0xff7c
	v_mov_b32_e32 v6, s5
	ds_read_b32 v10, v6
	v_pk_mov_b32 v[6:7], v[0:1], v[0:1] op_sel:[0,1]
	s_mov_b32 s1, s2
	s_cmp_le_i32 s6, s0
	s_mov_b32 s7, s6
	s_waitcnt lgkmcnt(0)
	v_mul_f32_e32 v8, v10, v8
	global_store_dword v[4:5], v8, off offset:-4
	s_waitcnt vmcnt(1)
	v_mul_f32_e32 v8, s16, v9
	s_cbranch_scc1 .LBB37_64
.LBB37_63:                              ;   Parent Loop BB37_58 Depth=1
                                        ; =>  This Inner Loop Header: Depth=2
	global_load_dword v9, v[6:7], off
	v_mov_b32_e32 v10, s1
	ds_read_b32 v10, v10
	s_add_i32 s7, s7, -1
	s_addk_i32 s1, 0xff80
	v_add_co_u32_e32 v6, vcc, -4, v6
	v_addc_co_u32_e32 v7, vcc, -1, v7, vcc
	s_cmp_gt_i32 s7, s0
	s_waitcnt vmcnt(0) lgkmcnt(0)
	v_fma_f32 v8, -v9, v10, v8
	s_cbranch_scc1 .LBB37_63
.LBB37_64:                              ;   in Loop: Header=BB37_58 Depth=1
	s_add_i32 s0, s12, -3
	s_mov_b32 s1, s13
	s_lshl_b64 s[10:11], s[0:1], 2
	v_mov_b32_e32 v7, s11
	v_add_co_u32_e32 v6, vcc, s10, v32
	v_addc_co_u32_e32 v7, vcc, v33, v7, vcc
	global_load_dword v9, v[6:7], off
	s_add_i32 s1, s5, 0xffffff7c
	v_mov_b32_e32 v6, s1
	ds_read_b32 v10, v6
	v_pk_mov_b32 v[6:7], v[0:1], v[0:1] op_sel:[0,1]
	s_mov_b32 s5, s3
	s_cmp_le_i32 s6, s0
	s_mov_b32 s7, s6
	s_waitcnt lgkmcnt(0)
	v_mul_f32_e32 v8, v10, v8
	global_store_dword v[4:5], v8, off offset:-8
	s_waitcnt vmcnt(1)
	v_mul_f32_e32 v8, s16, v9
	s_cbranch_scc1 .LBB37_57
.LBB37_65:                              ;   Parent Loop BB37_58 Depth=1
                                        ; =>  This Inner Loop Header: Depth=2
	global_load_dword v9, v[6:7], off
	v_mov_b32_e32 v10, s5
	ds_read_b32 v10, v10
	s_add_i32 s7, s7, -1
	s_addk_i32 s5, 0xff80
	v_add_co_u32_e32 v6, vcc, -4, v6
	v_addc_co_u32_e32 v7, vcc, -1, v7, vcc
	s_cmp_gt_i32 s7, s0
	s_waitcnt vmcnt(0) lgkmcnt(0)
	v_fma_f32 v8, -v9, v10, v8
	s_cbranch_scc1 .LBB37_65
	s_branch .LBB37_57
.LBB37_66:
	s_endpgm
	.section	.rodata,"a",@progbits
	.p2align	6, 0x0
	.amdhsa_kernel _ZL30rocblas_trsm_small_left_deviceILi32ELi32ELb0EffPKfPfEv13rocblas_fill_18rocblas_operation_17rocblas_diagonal_iiT3_T4_lilT5_lili
		.amdhsa_group_segment_fixed_size 4096
		.amdhsa_private_segment_fixed_size 0
		.amdhsa_kernarg_size 352
		.amdhsa_user_sgpr_count 6
		.amdhsa_user_sgpr_private_segment_buffer 1
		.amdhsa_user_sgpr_dispatch_ptr 0
		.amdhsa_user_sgpr_queue_ptr 0
		.amdhsa_user_sgpr_kernarg_segment_ptr 1
		.amdhsa_user_sgpr_dispatch_id 0
		.amdhsa_user_sgpr_flat_scratch_init 0
		.amdhsa_user_sgpr_kernarg_preload_length 0
		.amdhsa_user_sgpr_kernarg_preload_offset 0
		.amdhsa_user_sgpr_private_segment_size 0
		.amdhsa_uses_dynamic_stack 0
		.amdhsa_system_sgpr_private_segment_wavefront_offset 0
		.amdhsa_system_sgpr_workgroup_id_x 1
		.amdhsa_system_sgpr_workgroup_id_y 0
		.amdhsa_system_sgpr_workgroup_id_z 1
		.amdhsa_system_sgpr_workgroup_info 0
		.amdhsa_system_vgpr_workitem_id 0
		.amdhsa_next_free_vgpr 100
		.amdhsa_next_free_sgpr 44
		.amdhsa_accum_offset 100
		.amdhsa_reserve_vcc 1
		.amdhsa_reserve_flat_scratch 0
		.amdhsa_float_round_mode_32 0
		.amdhsa_float_round_mode_16_64 0
		.amdhsa_float_denorm_mode_32 3
		.amdhsa_float_denorm_mode_16_64 3
		.amdhsa_dx10_clamp 1
		.amdhsa_ieee_mode 1
		.amdhsa_fp16_overflow 0
		.amdhsa_tg_split 0
		.amdhsa_exception_fp_ieee_invalid_op 0
		.amdhsa_exception_fp_denorm_src 0
		.amdhsa_exception_fp_ieee_div_zero 0
		.amdhsa_exception_fp_ieee_overflow 0
		.amdhsa_exception_fp_ieee_underflow 0
		.amdhsa_exception_fp_ieee_inexact 0
		.amdhsa_exception_int_div_zero 0
	.end_amdhsa_kernel
	.section	.text._ZL30rocblas_trsm_small_left_deviceILi32ELi32ELb0EffPKfPfEv13rocblas_fill_18rocblas_operation_17rocblas_diagonal_iiT3_T4_lilT5_lili,"axG",@progbits,_ZL30rocblas_trsm_small_left_deviceILi32ELi32ELb0EffPKfPfEv13rocblas_fill_18rocblas_operation_17rocblas_diagonal_iiT3_T4_lilT5_lili,comdat
.Lfunc_end37:
	.size	_ZL30rocblas_trsm_small_left_deviceILi32ELi32ELb0EffPKfPfEv13rocblas_fill_18rocblas_operation_17rocblas_diagonal_iiT3_T4_lilT5_lili, .Lfunc_end37-_ZL30rocblas_trsm_small_left_deviceILi32ELi32ELb0EffPKfPfEv13rocblas_fill_18rocblas_operation_17rocblas_diagonal_iiT3_T4_lilT5_lili
                                        ; -- End function
	.section	.AMDGPU.csdata,"",@progbits
; Kernel info:
; codeLenInByte = 34572
; NumSgprs: 48
; NumVgprs: 100
; NumAgprs: 0
; TotalNumVgprs: 100
; ScratchSize: 0
; MemoryBound: 1
; FloatMode: 240
; IeeeMode: 1
; LDSByteSize: 4096 bytes/workgroup (compile time only)
; SGPRBlocks: 5
; VGPRBlocks: 12
; NumSGPRsForWavesPerEU: 48
; NumVGPRsForWavesPerEU: 100
; AccumOffset: 100
; Occupancy: 4
; WaveLimiterHint : 0
; COMPUTE_PGM_RSRC2:SCRATCH_EN: 0
; COMPUTE_PGM_RSRC2:USER_SGPR: 6
; COMPUTE_PGM_RSRC2:TRAP_HANDLER: 0
; COMPUTE_PGM_RSRC2:TGID_X_EN: 1
; COMPUTE_PGM_RSRC2:TGID_Y_EN: 0
; COMPUTE_PGM_RSRC2:TGID_Z_EN: 1
; COMPUTE_PGM_RSRC2:TIDIG_COMP_CNT: 0
; COMPUTE_PGM_RSRC3_GFX90A:ACCUM_OFFSET: 24
; COMPUTE_PGM_RSRC3_GFX90A:TG_SPLIT: 0
	.section	.text._ZL38rocblas_trsm_small_left_device_sharedBILi32ELi32ELb1EffPKfPfEv13rocblas_fill_18rocblas_operation_17rocblas_diagonal_iiT3_T4_lilT5_lili,"axG",@progbits,_ZL38rocblas_trsm_small_left_device_sharedBILi32ELi32ELb1EffPKfPfEv13rocblas_fill_18rocblas_operation_17rocblas_diagonal_iiT3_T4_lilT5_lili,comdat
	.globl	_ZL38rocblas_trsm_small_left_device_sharedBILi32ELi32ELb1EffPKfPfEv13rocblas_fill_18rocblas_operation_17rocblas_diagonal_iiT3_T4_lilT5_lili ; -- Begin function _ZL38rocblas_trsm_small_left_device_sharedBILi32ELi32ELb1EffPKfPfEv13rocblas_fill_18rocblas_operation_17rocblas_diagonal_iiT3_T4_lilT5_lili
	.p2align	8
	.type	_ZL38rocblas_trsm_small_left_device_sharedBILi32ELi32ELb1EffPKfPfEv13rocblas_fill_18rocblas_operation_17rocblas_diagonal_iiT3_T4_lilT5_lili,@function
_ZL38rocblas_trsm_small_left_device_sharedBILi32ELi32ELb1EffPKfPfEv13rocblas_fill_18rocblas_operation_17rocblas_diagonal_iiT3_T4_lilT5_lili: ; @_ZL38rocblas_trsm_small_left_device_sharedBILi32ELi32ELb1EffPKfPfEv13rocblas_fill_18rocblas_operation_17rocblas_diagonal_iiT3_T4_lilT5_lili
; %bb.0:
	s_load_dwordx4 s[8:11], s[4:5], 0x4
	s_load_dword s18, s[4:5], 0x14
	s_load_dwordx4 s[0:3], s[4:5], 0x30
	s_load_dwordx2 s[16:17], s[4:5], 0x40
	s_mov_b32 s27, 0
	s_waitcnt lgkmcnt(0)
	s_min_i32 s26, s10, 32
	v_cmp_gt_i32_e32 vcc, s26, v0
	s_and_saveexec_b64 s[20:21], vcc
	s_cbranch_execz .LBB38_15
; %bb.1:
	s_load_dword s22, s[4:5], 0x28
	s_load_dwordx4 s[12:15], s[4:5], 0x18
	s_cmp_gt_u32 s26, 1
	s_cselect_b64 s[24:25], -1, 0
	s_mov_b32 s19, 1
	s_waitcnt lgkmcnt(0)
	s_cmp_eq_u32 s22, 1
	s_cselect_b64 s[28:29], -1, 0
	s_and_b64 s[28:29], s[24:25], s[28:29]
	s_mov_b64 s[24:25], -1
	s_and_b64 vcc, exec, s[28:29]
	s_cbranch_vccz .LBB38_9
; %bb.2:
	s_add_i32 s24, s26, -2
	s_lshr_b32 s25, s24, 1
	s_add_i32 s25, s25, 1
	s_mov_b32 s23, 0
	s_cmp_lt_u32 s24, 14
	s_mov_b32 s24, s23
	s_cbranch_scc1 .LBB38_5
; %bb.3:
	s_mul_i32 s19, s1, s7
	s_mul_hi_u32 s23, s0, s7
	s_add_i32 s29, s23, s19
	s_mul_i32 s28, s0, s7
	s_and_b32 s27, s25, -8
	s_lshl_b64 s[28:29], s[28:29], 2
	s_lshl_b64 s[30:31], s[14:15], 2
	s_add_u32 s19, s28, s30
	s_addc_u32 s23, s29, s31
	s_add_u32 s19, s12, s19
	v_lshlrev_b32_e32 v1, 2, v0
	s_addc_u32 s23, s13, s23
	v_mov_b32_e32 v2, s23
	v_add_co_u32_e32 v1, vcc, s19, v1
	v_addc_co_u32_e32 v3, vcc, 0, v2, vcc
	v_add_co_u32_e32 v2, vcc, 56, v1
	v_addc_co_u32_e32 v3, vcc, 0, v3, vcc
	s_mov_b32 s19, 1
	s_mov_b32 s24, 0
	;; [unrolled: 1-line block ×3, first 2 shown]
.LBB38_4:                               ; =>This Inner Loop Header: Depth=1
	global_load_dwordx4 v[4:7], v[2:3], off offset:-56
	global_load_dwordx4 v[8:11], v[2:3], off offset:-40
	global_load_dwordx4 v[12:15], v[2:3], off offset:-24
	global_load_dwordx4 v[16:19], v[2:3], off offset:-8
	s_lshl_b32 s28, s23, 5
	s_lshl_b32 s29, s19, 5
	s_add_i32 s24, s24, 16
	s_add_i32 s19, s19, 16
	;; [unrolled: 1-line block ×3, first 2 shown]
	s_add_i32 s27, s27, -8
	v_add_co_u32_e32 v2, vcc, 64, v2
	v_or_b32_e32 v1, s29, v0
	v_or_b32_e32 v20, s28, v0
	s_add_i32 s30, s28, 64
	s_add_i32 s31, s29, 64
	;; [unrolled: 1-line block ×12, first 2 shown]
	s_addk_i32 s28, 0x1c0
	s_addk_i32 s29, 0x1c0
	v_addc_co_u32_e32 v3, vcc, 0, v3, vcc
	v_lshlrev_b32_e32 v20, 2, v20
	v_or_b32_e32 v21, s31, v0
	v_or_b32_e32 v22, s30, v0
	;; [unrolled: 1-line block ×14, first 2 shown]
	s_cmp_lg_u32 s27, 0
	v_lshlrev_b32_e32 v1, 2, v1
	v_lshlrev_b32_e32 v22, 2, v22
	v_lshlrev_b32_e32 v21, 2, v21
	v_lshlrev_b32_e32 v24, 2, v24
	v_lshlrev_b32_e32 v23, 2, v23
	v_lshlrev_b32_e32 v26, 2, v26
	v_lshlrev_b32_e32 v25, 2, v25
	v_lshlrev_b32_e32 v28, 2, v28
	v_lshlrev_b32_e32 v27, 2, v27
	v_lshlrev_b32_e32 v30, 2, v30
	v_lshlrev_b32_e32 v29, 2, v29
	v_lshlrev_b32_e32 v32, 2, v32
	v_lshlrev_b32_e32 v31, 2, v31
	v_lshlrev_b32_e32 v34, 2, v34
	v_lshlrev_b32_e32 v33, 2, v33
	s_waitcnt vmcnt(3)
	ds_write_b32 v20, v4
	ds_write_b32 v1, v5
	ds_write_b32 v22, v6
	ds_write_b32 v21, v7
	s_waitcnt vmcnt(2)
	ds_write_b32 v24, v8
	ds_write_b32 v23, v9
	ds_write_b32 v26, v10
	ds_write_b32 v25, v11
	s_waitcnt vmcnt(1)
	ds_write_b32 v28, v12
	ds_write_b32 v27, v13
	ds_write_b32 v30, v14
	ds_write_b32 v29, v15
	s_waitcnt vmcnt(0)
	ds_write_b32 v32, v16
	ds_write_b32 v31, v17
	ds_write_b32 v34, v18
	ds_write_b32 v33, v19
	s_cbranch_scc1 .LBB38_4
.LBB38_5:
	s_and_b32 s27, s25, 7
	s_cmp_eq_u32 s27, 0
	s_mov_b32 s25, 0
	s_cbranch_scc1 .LBB38_8
; %bb.6:
	s_mul_i32 s28, s1, s7
	s_mul_hi_u32 s29, s0, s7
	s_add_i32 s29, s29, s28
	s_mul_i32 s28, s0, s7
	s_lshl_b64 s[28:29], s[28:29], 2
	s_lshl_b64 s[30:31], s[14:15], 2
	s_add_u32 s28, s28, s30
	s_addc_u32 s29, s29, s31
	s_lshl_b64 s[24:25], s[24:25], 2
	s_add_u32 s24, s12, s24
	s_addc_u32 s25, s13, s25
	s_add_u32 s24, s24, s28
	v_lshlrev_b32_e32 v1, 2, v0
	s_addc_u32 s25, s25, s29
	v_mov_b32_e32 v3, s25
	v_add_co_u32_e32 v2, vcc, s24, v1
	v_addc_co_u32_e32 v3, vcc, 0, v3, vcc
	s_lshl_b32 s24, s27, 3
.LBB38_7:                               ; =>This Inner Loop Header: Depth=1
	global_load_dwordx2 v[4:5], v[2:3], off
	v_lshl_or_b32 v6, s23, 7, v1
	v_lshl_or_b32 v7, s19, 7, v1
	s_add_i32 s19, s19, 2
	s_add_i32 s23, s23, 2
	v_add_co_u32_e32 v2, vcc, 8, v2
	s_add_i32 s24, s24, -8
	v_addc_co_u32_e32 v3, vcc, 0, v3, vcc
	s_cmp_lg_u32 s24, 0
	s_waitcnt vmcnt(0)
	ds_write_b32 v6, v4
	ds_write_b32 v7, v5
	s_cbranch_scc1 .LBB38_7
.LBB38_8:
	s_and_b32 s27, s26, -2
	s_cmp_lg_u32 s26, s27
	s_cselect_b64 s[24:25], -1, 0
.LBB38_9:
	s_and_b64 vcc, exec, s[24:25]
	s_cbranch_vccz .LBB38_12
; %bb.10:
	s_ashr_i32 s23, s22, 31
	s_mul_i32 s1, s1, s7
	s_mul_hi_u32 s19, s0, s7
	s_add_i32 s1, s19, s1
	s_mul_hi_u32 s19, s22, s27
	s_mul_i32 s24, s23, s27
	s_mul_i32 s0, s0, s7
	s_add_i32 s25, s19, s24
	s_mul_i32 s24, s22, s27
	s_lshl_b64 s[0:1], s[0:1], 2
	s_lshl_b64 s[24:25], s[24:25], 2
	s_add_u32 s19, s0, s24
	s_addc_u32 s24, s1, s25
	s_lshl_b64 s[0:1], s[14:15], 2
	s_add_u32 s0, s19, s0
	s_addc_u32 s1, s24, s1
	s_add_u32 s0, s12, s0
	v_lshlrev_b32_e32 v1, 2, v0
	s_addc_u32 s1, s13, s1
	v_mov_b32_e32 v3, s1
	v_add_co_u32_e32 v2, vcc, s0, v1
	s_lshl_b64 s[0:1], s[22:23], 2
	v_addc_co_u32_e32 v3, vcc, 0, v3, vcc
	v_lshl_or_b32 v1, s27, 7, v1
	s_sub_i32 s12, s26, s27
	v_mov_b32_e32 v4, s1
.LBB38_11:                              ; =>This Inner Loop Header: Depth=1
	global_load_dword v5, v[2:3], off
	v_add_co_u32_e32 v2, vcc, s0, v2
	s_add_i32 s12, s12, -1
	v_addc_co_u32_e32 v3, vcc, v3, v4, vcc
	s_cmp_eq_u32 s12, 0
	s_waitcnt vmcnt(0)
	ds_write_b32 v1, v5
	v_add_u32_e32 v1, 0x80, v1
	s_cbranch_scc0 .LBB38_11
.LBB38_12:
	v_mul_u32_u24_e32 v1, 33, v0
	s_cmpk_lg_i32 s9, 0x84
	v_lshlrev_b32_e32 v1, 2, v1
	v_mov_b32_e32 v2, 1.0
	s_cbranch_scc0 .LBB38_14
; %bb.13:
	ds_read_b32 v2, v1
	s_waitcnt lgkmcnt(0)
	v_div_scale_f32 v3, s[0:1], v2, v2, 1.0
	v_rcp_f32_e32 v4, v3
	v_div_scale_f32 v5, vcc, 1.0, v2, 1.0
	v_fma_f32 v6, -v3, v4, 1.0
	v_fmac_f32_e32 v4, v6, v4
	v_mul_f32_e32 v6, v5, v4
	v_fma_f32 v7, -v3, v6, v5
	v_fmac_f32_e32 v6, v7, v4
	v_fma_f32 v3, -v3, v6, v5
	v_div_fmas_f32 v3, v3, v4, v6
	v_div_fixup_f32 v2, v3, v2, 1.0
.LBB38_14:
	ds_write_b32 v1, v2
.LBB38_15:
	s_or_b64 exec, exec, s[20:21]
	s_load_dword s9, s[4:5], 0x60
	s_load_dword s22, s[4:5], 0x48
	s_load_dwordx2 s[0:1], s[4:5], 0x50
	s_lshl_b32 s4, s6, 5
	s_sub_i32 s5, s11, s4
	s_waitcnt lgkmcnt(0)
	s_add_i32 s9, s9, -1
	s_ashr_i32 s11, s22, 31
	s_cmp_ge_u32 s6, s9
	s_cselect_b32 s6, s5, 32
	s_ashr_i32 s5, s4, 31
	s_cmp_gt_i32 s10, 0
	v_cmp_gt_i32_e32 vcc, s6, v0
	s_cselect_b64 s[12:13], -1, 0
	s_mov_b32 s9, 0
	s_and_b64 s[12:13], vcc, s[12:13]
	s_and_saveexec_b64 s[14:15], s[12:13]
	s_cbranch_execz .LBB38_27
; %bb.16:
	s_cmp_lt_i32 s10, 2
	s_mov_b64 s[20:21], -1
	s_cbranch_scc1 .LBB38_24
; %bb.17:
	s_add_i32 s20, s26, -2
	s_lshr_b32 s21, s20, 1
	s_add_i32 s21, s21, 1
	s_mov_b32 s19, s18
	s_mov_b32 s6, 1
	s_cmp_lt_u32 s20, 14
	s_mov_b32 s20, s9
	s_cbranch_scc1 .LBB38_20
; %bb.18:
	s_mul_i32 s9, s1, s7
	s_mul_hi_u32 s20, s0, s7
	s_add_i32 s25, s20, s9
	s_mul_i32 s24, s0, s7
	s_lshl_b64 s[28:29], s[4:5], 2
	v_lshlrev_b32_e32 v1, 2, v0
	s_and_b32 s23, s21, -8
	s_lshl_b64 s[24:25], s[24:25], 2
	v_mov_b32_e32 v2, s29
	v_add_co_u32_e32 v1, vcc, s28, v1
	s_lshl_b64 s[28:29], s[16:17], 2
	s_add_u32 s9, s2, s28
	s_addc_u32 s20, s3, s29
	s_add_u32 s24, s9, s24
	s_addc_u32 s25, s20, s25
	v_addc_co_u32_e32 v4, vcc, 0, v2, vcc
	v_pk_mov_b32 v[2:3], s[24:25], s[24:25] op_sel:[0,1]
	v_mad_u64_u32 v[2:3], s[24:25], v1, s22, v[2:3]
	v_mul_lo_u32 v1, v1, s11
	v_mul_lo_u32 v4, v4, s22
	v_add3_u32 v1, v4, v3, v1
	v_add_co_u32_e32 v2, vcc, 56, v2
	v_addc_co_u32_e32 v3, vcc, 0, v1, vcc
	s_mov_b32 s20, 0
	s_mov_b32 s9, 0
.LBB38_19:                              ; =>This Inner Loop Header: Depth=1
	global_load_dwordx4 v[4:7], v[2:3], off offset:-56
	global_load_dwordx4 v[8:11], v[2:3], off offset:-40
	;; [unrolled: 1-line block ×4, first 2 shown]
	s_lshl_b32 s24, s9, 5
	s_lshl_b32 s25, s6, 5
	s_add_i32 s20, s20, 16
	s_add_i32 s6, s6, 16
	;; [unrolled: 1-line block ×3, first 2 shown]
	s_add_i32 s23, s23, -8
	v_add_co_u32_e32 v2, vcc, 64, v2
	v_or_b32_e32 v1, s25, v0
	v_or_b32_e32 v20, s24, v0
	s_add_i32 s27, s24, 64
	s_add_i32 s28, s25, 64
	;; [unrolled: 1-line block ×12, first 2 shown]
	s_addk_i32 s24, 0x1c0
	s_addk_i32 s25, 0x1c0
	v_addc_co_u32_e32 v3, vcc, 0, v3, vcc
	v_lshlrev_b32_e32 v20, 2, v20
	v_or_b32_e32 v21, s28, v0
	v_or_b32_e32 v22, s27, v0
	;; [unrolled: 1-line block ×14, first 2 shown]
	s_cmp_lg_u32 s23, 0
	v_lshlrev_b32_e32 v1, 2, v1
	v_lshlrev_b32_e32 v22, 2, v22
	;; [unrolled: 1-line block ×15, first 2 shown]
	s_waitcnt vmcnt(3)
	v_pk_mul_f32 v[4:5], v[4:5], s[18:19]
	v_pk_mul_f32 v[6:7], v[6:7], s[18:19]
	s_waitcnt vmcnt(2)
	v_pk_mul_f32 v[8:9], v[8:9], s[18:19]
	v_pk_mul_f32 v[10:11], v[10:11], s[18:19]
	;; [unrolled: 3-line block ×4, first 2 shown]
	ds_write_b32 v20, v4 offset:4096
	ds_write_b32 v1, v5 offset:4096
	;; [unrolled: 1-line block ×16, first 2 shown]
	s_cbranch_scc1 .LBB38_19
.LBB38_20:
	s_and_b32 s23, s21, 7
	s_cmp_eq_u32 s23, 0
	s_mov_b32 s21, 0
	s_cbranch_scc1 .LBB38_23
; %bb.21:
	s_mul_i32 s24, s1, s7
	s_mul_hi_u32 s25, s0, s7
	s_add_i32 s25, s25, s24
	s_mul_i32 s24, s0, s7
	s_lshl_b64 s[28:29], s[4:5], 2
	v_lshlrev_b32_e32 v1, 2, v0
	s_lshl_b64 s[24:25], s[24:25], 2
	v_mov_b32_e32 v2, s29
	v_add_co_u32_e32 v4, vcc, s28, v1
	s_lshl_b64 s[28:29], s[16:17], 2
	s_lshl_b64 s[20:21], s[20:21], 2
	s_add_u32 s20, s2, s20
	s_addc_u32 s21, s3, s21
	s_add_u32 s20, s20, s28
	s_addc_u32 s21, s21, s29
	;; [unrolled: 2-line block ×3, first 2 shown]
	v_addc_co_u32_e32 v5, vcc, 0, v2, vcc
	v_pk_mov_b32 v[2:3], s[20:21], s[20:21] op_sel:[0,1]
	v_mad_u64_u32 v[2:3], s[20:21], v4, s22, v[2:3]
	v_mul_lo_u32 v4, v4, s11
	v_mul_lo_u32 v5, v5, s22
	v_add3_u32 v3, v5, v3, v4
	s_lshl_b32 s20, s23, 3
.LBB38_22:                              ; =>This Inner Loop Header: Depth=1
	global_load_dwordx2 v[4:5], v[2:3], off
	v_lshl_or_b32 v6, s9, 7, v1
	v_lshl_or_b32 v7, s6, 7, v1
	s_add_i32 s6, s6, 2
	s_add_i32 s9, s9, 2
	v_add_co_u32_e32 v2, vcc, 8, v2
	s_add_i32 s20, s20, -8
	v_addc_co_u32_e32 v3, vcc, 0, v3, vcc
	s_cmp_lg_u32 s20, 0
	s_waitcnt vmcnt(0)
	v_pk_mul_f32 v[4:5], v[4:5], s[18:19]
	ds_write_b32 v6, v4 offset:4096
	ds_write_b32 v7, v5 offset:4096
	s_cbranch_scc1 .LBB38_22
.LBB38_23:
	s_and_b32 s9, s26, 62
	s_cmp_lg_u32 s26, s9
	s_cselect_b64 s[20:21], -1, 0
.LBB38_24:
	s_and_b64 vcc, exec, s[20:21]
	s_cbranch_vccz .LBB38_27
; %bb.25:
	s_mul_i32 s19, s1, s7
	s_mul_hi_u32 s20, s0, s7
	v_lshlrev_b32_e32 v2, 2, v0
	s_add_i32 s21, s20, s19
	s_mul_i32 s20, s0, s7
	s_lshl_b64 s[24:25], s[4:5], 2
	v_lshl_or_b32 v1, s9, 7, v2
	s_sub_i32 s6, s26, s9
	s_lshl_b64 s[20:21], s[20:21], 2
	v_mov_b32_e32 v3, s25
	v_add_co_u32_e32 v4, vcc, s24, v2
	s_lshl_b64 s[24:25], s[16:17], 2
	s_lshl_b32 s9, s9, 2
	s_add_u32 s9, s2, s9
	s_addc_u32 s19, s3, 0
	s_add_u32 s9, s9, s24
	s_addc_u32 s19, s19, s25
	;; [unrolled: 2-line block ×3, first 2 shown]
	v_addc_co_u32_e32 v5, vcc, 0, v3, vcc
	v_pk_mov_b32 v[2:3], s[20:21], s[20:21] op_sel:[0,1]
	v_mad_u64_u32 v[2:3], s[20:21], v4, s22, v[2:3]
	v_mul_lo_u32 v4, v4, s11
	v_mul_lo_u32 v5, v5, s22
	v_add_u32_e32 v1, 0x1000, v1
	v_add3_u32 v3, v5, v3, v4
.LBB38_26:                              ; =>This Inner Loop Header: Depth=1
	global_load_dword v4, v[2:3], off
	s_add_i32 s6, s6, -1
	v_add_co_u32_e32 v2, vcc, 4, v2
	v_addc_co_u32_e32 v3, vcc, 0, v3, vcc
	s_cmp_lg_u32 s6, 0
	s_waitcnt vmcnt(0)
	v_mul_f32_e32 v4, s18, v4
	ds_write_b32 v1, v4
	v_add_u32_e32 v1, 0x80, v1
	s_cbranch_scc1 .LBB38_26
.LBB38_27:
	s_or_b64 exec, exec, s[14:15]
	s_cmpk_eq_i32 s8, 0x6f
	s_mov_b64 s[8:9], -1
	s_waitcnt lgkmcnt(0)
	; wave barrier
	s_waitcnt lgkmcnt(0)
	s_cbranch_scc1 .LBB38_50
; %bb.28:
	s_add_i32 s6, s26, -1
	s_cmp_gt_i32 s10, 31
	s_mov_b32 s8, s6
	s_cbranch_scc0 .LBB38_30
; %bb.29:
	s_lshl_b32 s41, s26, 5
	s_add_i32 s44, s41, 0xffffffa0
	v_or_b32_e32 v2, s44, v0
	s_add_i32 s45, s41, 0xffffff80
	v_lshlrev_b32_e32 v12, 2, v2
	v_or_b32_e32 v2, s45, v0
	s_add_i32 s46, s41, 0xffffff60
	v_lshlrev_b32_e32 v14, 2, v2
	v_or_b32_e32 v2, s46, v0
	s_add_i32 s43, s41, 0xffffff40
	s_sub_i32 s8, s41, 64
	v_lshlrev_b32_e32 v17, 2, v2
	v_or_b32_e32 v2, s43, v0
	s_add_i32 s42, s41, 0xffffff20
	v_lshlrev_b32_e32 v8, 2, v0
	v_or_b32_e32 v1, s8, v0
	v_lshlrev_b32_e32 v18, 2, v2
	v_or_b32_e32 v2, s42, v0
	s_add_i32 s40, s41, 0xffffff00
	v_lshl_or_b32 v9, s6, 7, v8
	v_lshlrev_b32_e32 v1, 2, v1
	v_lshlrev_b32_e32 v21, 2, v2
	v_or_b32_e32 v2, s40, v0
	s_add_i32 s39, s41, 0xfffffee0
	v_lshlrev_b32_e32 v22, 2, v2
	ds_read_b32 v3, v9 offset:4096
	ds_read_b32 v13, v1 offset:4096
	;; [unrolled: 1-line block ×8, first 2 shown]
	v_or_b32_e32 v1, s39, v0
	s_add_i32 s38, s41, 0xfffffec0
	v_lshlrev_b32_e32 v60, 2, v1
	v_or_b32_e32 v1, s38, v0
	s_add_i32 s9, s41, 0xfffffea0
	v_lshlrev_b32_e32 v61, 2, v1
	;; [unrolled: 3-line block ×20, first 2 shown]
	v_or_b32_e32 v1, s15, v0
	s_add_i32 s14, s41, 0xfffffc40
	s_add_i32 s8, s41, 0xfffffc20
	s_addk_i32 s41, 0xfc00
	v_lshlrev_b32_e32 v15, 2, v1
	v_or_b32_e32 v1, s14, v0
	v_or_b32_e32 v2, s41, v0
	s_mul_i32 s41, s6, 0x84
	v_lshlrev_b32_e32 v10, 2, v1
	v_or_b32_e32 v1, s8, v0
	v_lshlrev_b32_e32 v2, 2, v2
	v_mov_b32_e32 v4, s41
	s_add_i32 s44, s44, s6
	ds_read_b32 v65, v60 offset:4096
	ds_read_b32 v66, v61 offset:4096
	;; [unrolled: 1-line block ×16, first 2 shown]
	v_lshlrev_b32_e32 v1, 2, v1
	ds_read_b32 v35, v30 offset:4096
	ds_read_b32 v32, v27 offset:4096
	;; [unrolled: 1-line block ×8, first 2 shown]
	s_lshl_b32 s44, s44, 2
	ds_read_b32 v54, v4
	s_add_i32 s47, s41, 0xffffff7c
	v_mov_b32_e32 v6, s44
	s_add_i32 s44, s41, 0xfffffef8
	v_mov_b32_e32 v5, s47
	v_mov_b32_e32 v7, s44
	ds_read2_b32 v[4:5], v5 offset1:1
	ds_read_b32 v55, v6
	ds_read2_b32 v[6:7], v7 offset1:1
	s_waitcnt lgkmcnt(3)
	v_mul_f32_e32 v3, v54, v3
	s_lshl_b32 s44, s26, 7
	s_waitcnt lgkmcnt(2)
	v_fma_f32 v5, -v3, v5, v13
	s_addk_i32 s44, 0xff00
	v_mul_f32_e32 v4, v4, v5
	v_or_b32_e32 v5, s44, v8
	s_add_i32 s45, s45, s6
	ds_write_b32 v5, v4 offset:4096
	s_waitcnt lgkmcnt(2)
	v_fma_f32 v5, -v3, v55, v51
	s_lshl_b32 s44, s45, 2
	s_waitcnt lgkmcnt(1)
	v_fma_f32 v5, -v4, v7, v5
	s_add_i32 s44, s44, -4
	v_mul_f32_e32 v5, v6, v5
	v_mov_b32_e32 v6, s44
	s_add_i32 s44, s41, 0xfffffe74
	s_add_i32 s46, s46, s6
	ds_read2_b32 v[6:7], v6 offset1:1
	v_mov_b32_e32 v8, s44
	s_lshl_b32 s44, s46, 2
	ds_write_b32 v12, v5 offset:4096
	v_mov_b32_e32 v12, s44
	s_add_i32 s44, s44, -8
	ds_write_b32 v9, v3 offset:4096
	v_mov_b32_e32 v13, s44
	ds_read2_b32 v[8:9], v8 offset1:1
	ds_read_b32 v51, v12
	ds_read2_b32 v[12:13], v13 offset1:1
	s_waitcnt lgkmcnt(5)
	v_fma_f32 v7, -v3, v7, v52
	v_fma_f32 v6, -v4, v6, v7
	s_waitcnt lgkmcnt(2)
	v_fma_f32 v6, -v5, v9, v6
	s_add_i32 s44, s41, 0xfffffdf0
	v_mul_f32_e32 v6, v8, v6
	v_mov_b32_e32 v8, s44
	s_add_i32 s43, s43, s6
	s_waitcnt lgkmcnt(1)
	v_fma_f32 v7, -v3, v51, v53
	s_lshl_b32 s43, s43, 2
	ds_read2_b32 v[8:9], v8 offset1:1
	s_waitcnt lgkmcnt(1)
	v_fma_f32 v7, -v4, v13, v7
	s_add_i32 s44, s43, -4
	s_add_i32 s43, s43, -12
	ds_write_b32 v14, v6 offset:4096
	v_fma_f32 v7, -v5, v12, v7
	v_mov_b32_e32 v12, s44
	v_mov_b32_e32 v14, s43
	s_add_i32 s43, s41, 0xfffffd6c
	v_mov_b32_e32 v51, s43
	ds_read2_b32 v[12:13], v12 offset1:1
	ds_read2_b32 v[52:53], v14 offset1:1
	;; [unrolled: 1-line block ×3, first 2 shown]
	s_waitcnt lgkmcnt(4)
	v_fma_f32 v7, -v6, v9, v7
	s_add_i32 s42, s42, s6
	v_mul_f32_e32 v7, v8, v7
	s_waitcnt lgkmcnt(2)
	v_fma_f32 v8, -v3, v13, v56
	s_lshl_b32 s42, s42, 2
	v_fma_f32 v8, -v4, v12, v8
	s_add_i32 s43, s42, -4
	s_waitcnt lgkmcnt(1)
	v_fma_f32 v8, -v5, v53, v8
	v_mov_b32_e32 v9, s43
	v_fma_f32 v8, -v6, v52, v8
	ds_read2_b32 v[12:13], v9 offset1:1
	s_waitcnt lgkmcnt(1)
	v_fma_f32 v8, -v7, v55, v8
	v_mul_f32_e32 v8, v54, v8
	s_add_i32 s43, s42, -12
	ds_write_b32 v17, v7 offset:4096
	ds_write_b32 v18, v8 offset:4096
	v_mov_b32_e32 v14, s43
	s_sub_i32 s42, s42, 20
	v_mov_b32_e32 v9, s42
	ds_read2_b32 v[52:53], v14 offset1:1
	ds_read2_b32 v[54:55], v9 offset1:1
	s_waitcnt lgkmcnt(4)
	v_fma_f32 v9, -v3, v13, v57
	s_add_i32 s42, s41, 0xfffffce8
	v_fma_f32 v9, -v4, v12, v9
	v_mov_b32_e32 v12, s42
	ds_read_b32 v12, v12
	s_waitcnt lgkmcnt(2)
	v_fma_f32 v9, -v5, v53, v9
	v_fma_f32 v9, -v6, v52, v9
	s_waitcnt lgkmcnt(1)
	v_fma_f32 v9, -v7, v55, v9
	s_add_i32 s40, s40, s6
	v_fma_f32 v9, -v8, v54, v9
	s_lshl_b32 s40, s40, 2
	s_waitcnt lgkmcnt(0)
	v_mul_f32_e32 v9, v12, v9
	s_add_i32 s42, s40, -8
	ds_write_b32 v21, v9 offset:4096
	v_mov_b32_e32 v12, s40
	v_mov_b32_e32 v13, s42
	ds_read_b32 v17, v12
	ds_read2_b32 v[12:13], v13 offset1:1
	s_add_i32 s42, s40, -16
	v_mov_b32_e32 v14, s42
	s_sub_i32 s40, s40, 24
	v_mov_b32_e32 v18, s40
	ds_read2_b32 v[52:53], v14 offset1:1
	ds_read2_b32 v[54:55], v18 offset1:1
	s_waitcnt lgkmcnt(3)
	v_fma_f32 v14, -v3, v17, v58
	s_waitcnt lgkmcnt(2)
	v_fma_f32 v13, -v4, v13, v14
	s_add_i32 s40, s41, 0xfffffc64
	v_fma_f32 v12, -v5, v12, v13
	v_mov_b32_e32 v13, s40
	ds_read_b32 v13, v13
	s_waitcnt lgkmcnt(2)
	v_fma_f32 v12, -v6, v53, v12
	v_fma_f32 v12, -v7, v52, v12
	s_add_i32 s39, s39, s6
	s_waitcnt lgkmcnt(1)
	v_fma_f32 v12, -v8, v55, v12
	s_lshl_b32 s39, s39, 2
	v_fma_f32 v12, -v9, v54, v12
	s_add_i32 s40, s39, -4
	s_waitcnt lgkmcnt(0)
	v_mul_f32_e32 v12, v13, v12
	v_mov_b32_e32 v13, s40
	ds_read2_b32 v[52:53], v13 offset1:1
	s_add_i32 s40, s39, -12
	ds_write_b32 v22, v12 offset:4096
	v_mov_b32_e32 v14, s40
	s_sub_i32 s40, s39, 20
	s_sub_i32 s39, s39, 28
	v_mov_b32_e32 v17, s40
	v_mov_b32_e32 v13, s39
	ds_read2_b32 v[54:55], v14 offset1:1
	ds_read2_b32 v[56:57], v17 offset1:1
	;; [unrolled: 1-line block ×3, first 2 shown]
	s_waitcnt lgkmcnt(4)
	v_fma_f32 v13, -v3, v53, v65
	v_fma_f32 v13, -v4, v52, v13
	s_add_i32 s39, s41, 0xfffffbe0
	s_waitcnt lgkmcnt(2)
	v_fma_f32 v13, -v5, v55, v13
	v_mov_b32_e32 v14, s39
	v_fma_f32 v13, -v6, v54, v13
	ds_read_b32 v14, v14
	s_waitcnt lgkmcnt(2)
	v_fma_f32 v13, -v7, v57, v13
	v_fma_f32 v13, -v8, v56, v13
	s_waitcnt lgkmcnt(1)
	v_fma_f32 v13, -v9, v59, v13
	v_fma_f32 v13, -v12, v58, v13
	s_add_i32 s38, s38, s6
	s_waitcnt lgkmcnt(0)
	v_mul_f32_e32 v13, v14, v13
	s_lshl_b32 s38, s38, 2
	ds_write_b32 v60, v13 offset:4096
	v_mov_b32_e32 v14, s38
	s_add_i32 s39, s38, -8
	v_mov_b32_e32 v17, s39
	ds_read_b32 v14, v14
	ds_read2_b32 v[52:53], v17 offset1:1
	s_add_i32 s39, s38, -16
	v_mov_b32_e32 v18, s39
	s_sub_i32 s39, s38, 24
	v_mov_b32_e32 v17, s39
	ds_read2_b32 v[54:55], v18 offset1:1
	ds_read2_b32 v[56:57], v17 offset1:1
	s_waitcnt lgkmcnt(3)
	v_fma_f32 v14, -v3, v14, v66
	s_sub_i32 s38, s38, 32
	s_waitcnt lgkmcnt(2)
	v_fma_f32 v14, -v4, v53, v14
	v_mov_b32_e32 v17, s38
	v_fma_f32 v14, -v5, v52, v14
	ds_read2_b32 v[52:53], v17 offset1:1
	s_add_i32 s38, s41, 0xfffffb5c
	s_waitcnt lgkmcnt(2)
	v_fma_f32 v14, -v6, v55, v14
	v_mov_b32_e32 v17, s38
	v_fma_f32 v14, -v7, v54, v14
	ds_read_b32 v17, v17
	s_waitcnt lgkmcnt(2)
	v_fma_f32 v14, -v8, v57, v14
	v_fma_f32 v14, -v9, v56, v14
	s_waitcnt lgkmcnt(1)
	v_fma_f32 v14, -v12, v53, v14
	v_fma_f32 v14, -v13, v52, v14
	s_add_i32 s9, s9, s6
	s_waitcnt lgkmcnt(0)
	v_mul_f32_e32 v14, v17, v14
	s_lshl_b32 s9, s9, 2
	ds_write_b32 v61, v14 offset:4096
	v_mov_b32_e32 v17, s9
	s_add_i32 s38, s9, -8
	v_mov_b32_e32 v18, s38
	ds_read_b32 v17, v17
	ds_read2_b32 v[52:53], v18 offset1:1
	s_add_i32 s38, s9, -16
	v_mov_b32_e32 v21, s38
	s_sub_i32 s38, s9, 24
	v_mov_b32_e32 v18, s38
	ds_read2_b32 v[54:55], v21 offset1:1
	ds_read2_b32 v[56:57], v18 offset1:1
	s_waitcnt lgkmcnt(3)
	v_fma_f32 v17, -v3, v17, v67
	s_waitcnt lgkmcnt(2)
	v_fma_f32 v17, -v4, v53, v17
	s_sub_i32 s9, s9, 32
	v_fma_f32 v17, -v5, v52, v17
	v_mov_b32_e32 v18, s9
	s_mul_i32 s9, s26, 0x84
	s_add_i32 s37, s37, s6
	s_waitcnt lgkmcnt(1)
	v_fma_f32 v17, -v6, v55, v17
	s_add_i32 s38, s9, 0xfffffa54
	s_lshl_b32 s37, s37, 2
	ds_read2_b32 v[52:53], v18 offset1:1
	v_fma_f32 v17, -v7, v54, v17
	v_mov_b32_e32 v21, s38
	s_add_i32 s38, s37, -4
	s_waitcnt lgkmcnt(1)
	v_fma_f32 v17, -v8, v57, v17
	v_mov_b32_e32 v22, s38
	s_add_i32 s38, s37, -12
	v_fma_f32 v17, -v9, v56, v17
	v_mov_b32_e32 v18, s38
	ds_read2_b32 v[54:55], v21 offset1:1
	ds_read2_b32 v[56:57], v22 offset1:1
	;; [unrolled: 1-line block ×3, first 2 shown]
	s_sub_i32 s38, s37, 20
	s_waitcnt lgkmcnt(3)
	v_fma_f32 v17, -v12, v53, v17
	v_mov_b32_e32 v21, s38
	v_fma_f32 v17, -v13, v52, v17
	ds_read2_b32 v[52:53], v21 offset1:1
	s_waitcnt lgkmcnt(3)
	v_fma_f32 v17, -v14, v55, v17
	s_waitcnt lgkmcnt(2)
	v_fma_f32 v18, -v3, v57, v68
	v_mul_f32_e32 v17, v54, v17
	v_fma_f32 v18, -v4, v56, v18
	s_sub_i32 s38, s37, 28
	s_sub_i32 s37, s37, 36
	ds_write_b32 v62, v17 offset:4096
	s_waitcnt lgkmcnt(2)
	v_fma_f32 v18, -v5, v59, v18
	v_mov_b32_e32 v22, s38
	v_mov_b32_e32 v51, s37
	s_add_i32 s37, s9, 0xfffff9d0
	v_fma_f32 v18, -v6, v58, v18
	v_mov_b32_e32 v21, s37
	ds_read2_b32 v[54:55], v22 offset1:1
	ds_read2_b32 v[56:57], v51 offset1:1
	;; [unrolled: 1-line block ×3, first 2 shown]
	s_waitcnt lgkmcnt(4)
	v_fma_f32 v18, -v7, v53, v18
	v_fma_f32 v18, -v8, v52, v18
	s_waitcnt lgkmcnt(2)
	v_fma_f32 v18, -v9, v55, v18
	v_fma_f32 v18, -v12, v54, v18
	;; [unrolled: 3-line block ×3, first 2 shown]
	s_waitcnt lgkmcnt(0)
	v_fma_f32 v18, -v17, v59, v18
	s_add_i32 s36, s36, s6
	v_mul_f32_e32 v18, v58, v18
	s_lshl_b32 s36, s36, 2
	ds_write_b32 v63, v18 offset:4096
	v_mov_b32_e32 v21, s36
	s_add_i32 s37, s36, -8
	v_mov_b32_e32 v22, s37
	ds_read_b32 v21, v21
	ds_read2_b32 v[52:53], v22 offset1:1
	s_add_i32 s37, s36, -16
	v_mov_b32_e32 v51, s37
	s_sub_i32 s37, s36, 24
	v_mov_b32_e32 v22, s37
	ds_read2_b32 v[54:55], v51 offset1:1
	ds_read2_b32 v[56:57], v22 offset1:1
	s_waitcnt lgkmcnt(3)
	v_fma_f32 v21, -v3, v21, v69
	s_waitcnt lgkmcnt(2)
	v_fma_f32 v21, -v4, v53, v21
	s_sub_i32 s37, s36, 32
	v_fma_f32 v21, -v5, v52, v21
	v_mov_b32_e32 v22, s37
	s_waitcnt lgkmcnt(1)
	v_fma_f32 v21, -v6, v55, v21
	ds_read2_b32 v[52:53], v22 offset1:1
	v_fma_f32 v21, -v7, v54, v21
	s_sub_i32 s36, s36, 40
	s_add_i32 s35, s35, s6
	s_waitcnt lgkmcnt(1)
	v_fma_f32 v21, -v8, v57, v21
	v_mov_b32_e32 v51, s36
	s_add_i32 s36, s9, 0xfffff94c
	s_lshl_b32 s35, s35, 2
	v_fma_f32 v21, -v9, v56, v21
	v_mov_b32_e32 v56, s36
	s_add_i32 s36, s35, -4
	v_mov_b32_e32 v22, s36
	ds_read2_b32 v[54:55], v51 offset1:1
	ds_read2_b32 v[56:57], v56 offset1:1
	;; [unrolled: 1-line block ×3, first 2 shown]
	s_waitcnt lgkmcnt(3)
	v_fma_f32 v21, -v12, v53, v21
	v_fma_f32 v21, -v13, v52, v21
	s_add_i32 s36, s35, -12
	s_waitcnt lgkmcnt(2)
	v_fma_f32 v21, -v14, v55, v21
	v_mov_b32_e32 v51, s36
	v_fma_f32 v21, -v17, v54, v21
	ds_read2_b32 v[52:53], v51 offset1:1
	s_waitcnt lgkmcnt(2)
	v_fma_f32 v21, -v18, v57, v21
	s_sub_i32 s36, s35, 20
	v_mul_f32_e32 v21, v56, v21
	v_mov_b32_e32 v54, s36
	s_sub_i32 s36, s35, 28
	ds_write_b32 v64, v21 offset:4096
	s_waitcnt lgkmcnt(2)
	v_fma_f32 v22, -v3, v59, v70
	v_mov_b32_e32 v56, s36
	s_sub_i32 s36, s35, 36
	v_fma_f32 v22, -v4, v58, v22
	v_mov_b32_e32 v51, s36
	ds_read2_b32 v[54:55], v54 offset1:1
	ds_read2_b32 v[56:57], v56 offset1:1
	;; [unrolled: 1-line block ×3, first 2 shown]
	s_waitcnt lgkmcnt(4)
	v_fma_f32 v22, -v5, v53, v22
	v_fma_f32 v22, -v6, v52, v22
	s_sub_i32 s35, s35, 44
	s_waitcnt lgkmcnt(2)
	v_fma_f32 v22, -v7, v55, v22
	v_mov_b32_e32 v51, s35
	v_fma_f32 v22, -v8, v54, v22
	ds_read2_b32 v[52:53], v51 offset1:1
	s_waitcnt lgkmcnt(2)
	v_fma_f32 v22, -v9, v57, v22
	s_add_i32 s34, s34, s6
	v_fma_f32 v22, -v12, v56, v22
	s_add_i32 s35, s9, 0xfffff8c8
	s_lshl_b32 s34, s34, 2
	s_waitcnt lgkmcnt(1)
	v_fma_f32 v22, -v13, v59, v22
	v_mov_b32_e32 v54, s35
	v_mov_b32_e32 v56, s34
	s_add_i32 s35, s34, -8
	v_fma_f32 v22, -v14, v58, v22
	v_mov_b32_e32 v51, s35
	ds_read2_b32 v[54:55], v54 offset1:1
	ds_read_b32 v58, v56
	ds_read2_b32 v[56:57], v51 offset1:1
	s_waitcnt lgkmcnt(3)
	v_fma_f32 v22, -v17, v53, v22
	v_fma_f32 v22, -v18, v52, v22
	s_waitcnt lgkmcnt(2)
	v_fma_f32 v22, -v21, v55, v22
	v_mul_f32_e32 v22, v54, v22
	s_add_i32 s35, s34, -16
	ds_write_b32 v25, v22 offset:4096
	s_waitcnt lgkmcnt(2)
	v_fma_f32 v25, -v3, v58, v50
	v_mov_b32_e32 v50, s35
	s_sub_i32 s35, s34, 24
	ds_read2_b32 v[50:51], v50 offset1:1
	v_mov_b32_e32 v52, s35
	s_sub_i32 s35, s34, 32
	s_waitcnt lgkmcnt(2)
	v_fma_f32 v25, -v4, v57, v25
	v_mov_b32_e32 v54, s35
	s_sub_i32 s35, s34, 40
	v_fma_f32 v25, -v5, v56, v25
	v_mov_b32_e32 v56, s35
	ds_read2_b32 v[52:53], v52 offset1:1
	ds_read2_b32 v[54:55], v54 offset1:1
	;; [unrolled: 1-line block ×3, first 2 shown]
	s_waitcnt lgkmcnt(3)
	v_fma_f32 v25, -v6, v51, v25
	v_fma_f32 v25, -v7, v50, v25
	s_waitcnt lgkmcnt(2)
	v_fma_f32 v25, -v8, v53, v25
	s_sub_i32 s34, s34, 48
	v_fma_f32 v25, -v9, v52, v25
	v_mov_b32_e32 v50, s34
	s_add_i32 s33, s33, s6
	s_waitcnt lgkmcnt(1)
	v_fma_f32 v25, -v12, v55, v25
	s_add_i32 s34, s9, 0xfffff844
	s_lshl_b32 s33, s33, 2
	ds_read2_b32 v[50:51], v50 offset1:1
	v_fma_f32 v25, -v13, v54, v25
	v_mov_b32_e32 v52, s34
	s_add_i32 s34, s33, -4
	s_waitcnt lgkmcnt(1)
	v_fma_f32 v25, -v14, v57, v25
	v_mov_b32_e32 v54, s34
	s_add_i32 s34, s33, -12
	v_fma_f32 v25, -v17, v56, v25
	v_mov_b32_e32 v56, s34
	ds_read2_b32 v[52:53], v52 offset1:1
	ds_read2_b32 v[54:55], v54 offset1:1
	;; [unrolled: 1-line block ×3, first 2 shown]
	s_waitcnt lgkmcnt(3)
	v_fma_f32 v25, -v18, v51, v25
	v_fma_f32 v25, -v21, v50, v25
	s_waitcnt lgkmcnt(2)
	v_fma_f32 v25, -v22, v53, v25
	v_mul_f32_e32 v25, v52, v25
	s_sub_i32 s34, s33, 20
	ds_write_b32 v26, v25 offset:4096
	s_waitcnt lgkmcnt(2)
	v_fma_f32 v26, -v3, v55, v49
	v_mov_b32_e32 v49, s34
	ds_read2_b32 v[50:51], v49 offset1:1
	s_sub_i32 s34, s33, 28
	v_fma_f32 v26, -v4, v54, v26
	v_mov_b32_e32 v52, s34
	s_sub_i32 s34, s33, 36
	s_waitcnt lgkmcnt(2)
	v_fma_f32 v26, -v5, v57, v26
	v_mov_b32_e32 v54, s34
	s_sub_i32 s34, s33, 44
	v_fma_f32 v26, -v6, v56, v26
	v_mov_b32_e32 v49, s34
	ds_read2_b32 v[52:53], v52 offset1:1
	ds_read2_b32 v[54:55], v54 offset1:1
	;; [unrolled: 1-line block ×3, first 2 shown]
	s_waitcnt lgkmcnt(3)
	v_fma_f32 v26, -v7, v51, v26
	v_fma_f32 v26, -v8, v50, v26
	s_sub_i32 s33, s33, 52
	s_waitcnt lgkmcnt(2)
	v_fma_f32 v26, -v9, v53, v26
	v_mov_b32_e32 v49, s33
	v_fma_f32 v26, -v12, v52, v26
	ds_read2_b32 v[50:51], v49 offset1:1
	s_waitcnt lgkmcnt(2)
	v_fma_f32 v26, -v13, v55, v26
	s_add_i32 s31, s31, s6
	v_fma_f32 v26, -v14, v54, v26
	s_add_i32 s33, s9, 0xfffff7c0
	s_lshl_b32 s31, s31, 2
	s_waitcnt lgkmcnt(1)
	v_fma_f32 v26, -v17, v57, v26
	v_mov_b32_e32 v52, s33
	v_mov_b32_e32 v54, s31
	s_add_i32 s33, s31, -8
	v_fma_f32 v26, -v18, v56, v26
	v_mov_b32_e32 v49, s33
	ds_read2_b32 v[52:53], v52 offset1:1
	ds_read_b32 v56, v54
	ds_read2_b32 v[54:55], v49 offset1:1
	s_waitcnt lgkmcnt(3)
	v_fma_f32 v26, -v21, v51, v26
	v_fma_f32 v26, -v22, v50, v26
	s_waitcnt lgkmcnt(2)
	v_fma_f32 v26, -v25, v53, v26
	v_mul_f32_e32 v26, v52, v26
	s_add_i32 s33, s31, -16
	ds_write_b32 v29, v26 offset:4096
	s_waitcnt lgkmcnt(2)
	v_fma_f32 v29, -v3, v56, v48
	v_mov_b32_e32 v48, s33
	s_sub_i32 s33, s31, 24
	ds_read2_b32 v[48:49], v48 offset1:1
	v_mov_b32_e32 v50, s33
	s_sub_i32 s33, s31, 32
	s_waitcnt lgkmcnt(2)
	v_fma_f32 v29, -v4, v55, v29
	v_mov_b32_e32 v52, s33
	s_sub_i32 s33, s31, 40
	v_fma_f32 v29, -v5, v54, v29
	v_mov_b32_e32 v54, s33
	ds_read2_b32 v[50:51], v50 offset1:1
	ds_read2_b32 v[52:53], v52 offset1:1
	ds_read2_b32 v[54:55], v54 offset1:1
	s_waitcnt lgkmcnt(3)
	v_fma_f32 v29, -v6, v49, v29
	v_fma_f32 v29, -v7, v48, v29
	s_waitcnt lgkmcnt(2)
	v_fma_f32 v29, -v8, v51, v29
	s_sub_i32 s33, s31, 48
	v_fma_f32 v29, -v9, v50, v29
	v_mov_b32_e32 v48, s33
	s_waitcnt lgkmcnt(1)
	v_fma_f32 v29, -v12, v53, v29
	s_sub_i32 s31, s31, 56
	s_add_i32 s30, s30, s6
	ds_read2_b32 v[48:49], v48 offset1:1
	v_fma_f32 v29, -v13, v52, v29
	v_mov_b32_e32 v50, s31
	s_add_i32 s31, s9, 0xfffff73c
	s_lshl_b32 s30, s30, 2
	s_waitcnt lgkmcnt(1)
	v_fma_f32 v29, -v14, v55, v29
	v_mov_b32_e32 v52, s31
	s_add_i32 s31, s30, -4
	v_fma_f32 v29, -v17, v54, v29
	v_mov_b32_e32 v54, s31
	ds_read2_b32 v[50:51], v50 offset1:1
	ds_read2_b32 v[52:53], v52 offset1:1
	;; [unrolled: 1-line block ×3, first 2 shown]
	s_waitcnt lgkmcnt(3)
	v_fma_f32 v29, -v18, v49, v29
	v_fma_f32 v29, -v21, v48, v29
	s_waitcnt lgkmcnt(2)
	v_fma_f32 v29, -v22, v51, v29
	v_fma_f32 v29, -v25, v50, v29
	s_waitcnt lgkmcnt(1)
	v_fma_f32 v29, -v26, v53, v29
	v_mul_f32_e32 v29, v52, v29
	s_add_i32 s31, s30, -12
	ds_write_b32 v31, v29 offset:4096
	s_waitcnt lgkmcnt(1)
	v_fma_f32 v31, -v3, v55, v47
	v_mov_b32_e32 v47, s31
	ds_read2_b32 v[48:49], v47 offset1:1
	s_sub_i32 s31, s30, 20
	v_mov_b32_e32 v50, s31
	s_sub_i32 s31, s30, 28
	v_mov_b32_e32 v52, s31
	s_sub_i32 s31, s30, 36
	v_fma_f32 v31, -v4, v54, v31
	v_mov_b32_e32 v47, s31
	ds_read2_b32 v[50:51], v50 offset1:1
	ds_read2_b32 v[52:53], v52 offset1:1
	;; [unrolled: 1-line block ×3, first 2 shown]
	s_waitcnt lgkmcnt(3)
	v_fma_f32 v31, -v5, v49, v31
	v_fma_f32 v31, -v6, v48, v31
	s_sub_i32 s31, s30, 44
	s_waitcnt lgkmcnt(2)
	v_fma_f32 v31, -v7, v51, v31
	v_mov_b32_e32 v47, s31
	v_fma_f32 v31, -v8, v50, v31
	ds_read2_b32 v[48:49], v47 offset1:1
	s_waitcnt lgkmcnt(2)
	v_fma_f32 v31, -v9, v53, v31
	v_fma_f32 v31, -v12, v52, v31
	s_sub_i32 s31, s30, 52
	s_sub_i32 s30, s30, 60
	s_waitcnt lgkmcnt(1)
	v_fma_f32 v31, -v13, v55, v31
	v_mov_b32_e32 v50, s31
	v_mov_b32_e32 v52, s30
	s_add_i32 s30, s9, 0xfffff6b8
	v_fma_f32 v31, -v14, v54, v31
	v_mov_b32_e32 v47, s30
	ds_read2_b32 v[50:51], v50 offset1:1
	ds_read2_b32 v[52:53], v52 offset1:1
	;; [unrolled: 1-line block ×3, first 2 shown]
	s_waitcnt lgkmcnt(3)
	v_fma_f32 v31, -v17, v49, v31
	v_fma_f32 v31, -v18, v48, v31
	s_waitcnt lgkmcnt(2)
	v_fma_f32 v31, -v21, v51, v31
	v_fma_f32 v31, -v22, v50, v31
	;; [unrolled: 3-line block ×3, first 2 shown]
	s_waitcnt lgkmcnt(0)
	v_fma_f32 v31, -v29, v55, v31
	s_add_i32 s29, s29, s6
	v_mul_f32_e32 v31, v54, v31
	s_lshl_b32 s29, s29, 2
	ds_write_b32 v34, v31 offset:4096
	v_mov_b32_e32 v34, s29
	s_add_i32 s30, s29, -8
	v_mov_b32_e32 v47, s30
	ds_read_b32 v34, v34
	ds_read2_b32 v[48:49], v47 offset1:1
	s_add_i32 s30, s29, -16
	v_mov_b32_e32 v50, s30
	s_sub_i32 s30, s29, 24
	v_mov_b32_e32 v47, s30
	ds_read2_b32 v[50:51], v50 offset1:1
	ds_read2_b32 v[52:53], v47 offset1:1
	s_waitcnt lgkmcnt(3)
	v_fma_f32 v34, -v3, v34, v46
	s_waitcnt lgkmcnt(2)
	v_fma_f32 v34, -v4, v49, v34
	s_sub_i32 s30, s29, 32
	v_fma_f32 v34, -v5, v48, v34
	v_mov_b32_e32 v46, s30
	s_waitcnt lgkmcnt(1)
	v_fma_f32 v34, -v6, v51, v34
	s_sub_i32 s30, s29, 40
	ds_read2_b32 v[46:47], v46 offset1:1
	v_fma_f32 v34, -v7, v50, v34
	v_mov_b32_e32 v48, s30
	s_sub_i32 s30, s29, 48
	s_waitcnt lgkmcnt(1)
	v_fma_f32 v34, -v8, v53, v34
	v_mov_b32_e32 v50, s30
	s_sub_i32 s30, s29, 56
	v_fma_f32 v34, -v9, v52, v34
	v_mov_b32_e32 v52, s30
	ds_read2_b32 v[48:49], v48 offset1:1
	ds_read2_b32 v[50:51], v50 offset1:1
	;; [unrolled: 1-line block ×3, first 2 shown]
	s_waitcnt lgkmcnt(3)
	v_fma_f32 v34, -v12, v47, v34
	v_fma_f32 v34, -v13, v46, v34
	s_waitcnt lgkmcnt(2)
	v_fma_f32 v34, -v14, v49, v34
	s_sub_i32 s29, s29, 64
	v_fma_f32 v34, -v17, v48, v34
	v_mov_b32_e32 v46, s29
	s_add_i32 s28, s28, s6
	s_waitcnt lgkmcnt(1)
	v_fma_f32 v34, -v18, v51, v34
	s_add_i32 s29, s9, 0xfffff634
	s_lshl_b32 s28, s28, 2
	ds_read2_b32 v[46:47], v46 offset1:1
	v_fma_f32 v34, -v21, v50, v34
	v_mov_b32_e32 v48, s29
	s_add_i32 s29, s28, -4
	s_waitcnt lgkmcnt(1)
	v_fma_f32 v34, -v22, v53, v34
	v_mov_b32_e32 v50, s29
	s_add_i32 s29, s28, -12
	v_fma_f32 v34, -v25, v52, v34
	v_mov_b32_e32 v52, s29
	ds_read2_b32 v[48:49], v48 offset1:1
	ds_read2_b32 v[50:51], v50 offset1:1
	;; [unrolled: 1-line block ×3, first 2 shown]
	s_waitcnt lgkmcnt(3)
	v_fma_f32 v34, -v26, v47, v34
	v_fma_f32 v34, -v29, v46, v34
	s_waitcnt lgkmcnt(2)
	v_fma_f32 v34, -v31, v49, v34
	v_mul_f32_e32 v34, v48, v34
	s_sub_i32 s29, s28, 20
	ds_write_b32 v37, v34 offset:4096
	s_waitcnt lgkmcnt(2)
	v_fma_f32 v37, -v3, v51, v45
	v_mov_b32_e32 v45, s29
	ds_read2_b32 v[46:47], v45 offset1:1
	s_sub_i32 s29, s28, 28
	v_fma_f32 v37, -v4, v50, v37
	v_mov_b32_e32 v48, s29
	s_sub_i32 s29, s28, 36
	s_waitcnt lgkmcnt(2)
	v_fma_f32 v37, -v5, v53, v37
	v_mov_b32_e32 v50, s29
	s_sub_i32 s29, s28, 44
	v_fma_f32 v37, -v6, v52, v37
	v_mov_b32_e32 v45, s29
	ds_read2_b32 v[48:49], v48 offset1:1
	ds_read2_b32 v[50:51], v50 offset1:1
	;; [unrolled: 1-line block ×3, first 2 shown]
	s_waitcnt lgkmcnt(3)
	v_fma_f32 v37, -v7, v47, v37
	v_fma_f32 v37, -v8, v46, v37
	s_sub_i32 s29, s28, 52
	s_waitcnt lgkmcnt(2)
	v_fma_f32 v37, -v9, v49, v37
	v_mov_b32_e32 v45, s29
	v_fma_f32 v37, -v12, v48, v37
	ds_read2_b32 v[46:47], v45 offset1:1
	s_waitcnt lgkmcnt(2)
	v_fma_f32 v37, -v13, v51, v37
	v_fma_f32 v37, -v14, v50, v37
	s_sub_i32 s29, s28, 60
	s_addk_i32 s28, 0xffbc
	s_waitcnt lgkmcnt(1)
	v_fma_f32 v37, -v17, v53, v37
	v_mov_b32_e32 v48, s29
	v_mov_b32_e32 v50, s28
	s_add_i32 s28, s9, 0xfffff5b0
	v_fma_f32 v37, -v18, v52, v37
	v_mov_b32_e32 v45, s28
	ds_read2_b32 v[48:49], v48 offset1:1
	ds_read2_b32 v[50:51], v50 offset1:1
	;; [unrolled: 1-line block ×3, first 2 shown]
	s_waitcnt lgkmcnt(3)
	v_fma_f32 v37, -v21, v47, v37
	v_fma_f32 v37, -v22, v46, v37
	s_waitcnt lgkmcnt(2)
	v_fma_f32 v37, -v25, v49, v37
	v_fma_f32 v37, -v26, v48, v37
	s_waitcnt lgkmcnt(1)
	v_fma_f32 v37, -v29, v51, v37
	v_fma_f32 v37, -v31, v50, v37
	s_add_i32 s27, s27, s6
	s_waitcnt lgkmcnt(0)
	v_fma_f32 v37, -v34, v53, v37
	s_lshl_b32 s27, s27, 2
	v_mul_f32_e32 v37, v52, v37
	s_add_i32 s28, s27, -8
	ds_write_b32 v44, v37 offset:4096
	v_mov_b32_e32 v44, s27
	v_mov_b32_e32 v45, s28
	s_add_i32 s28, s27, -16
	ds_read_b32 v50, v44
	ds_read2_b32 v[44:45], v45 offset1:1
	v_mov_b32_e32 v46, s28
	s_sub_i32 s28, s27, 24
	v_mov_b32_e32 v48, s28
	ds_read2_b32 v[46:47], v46 offset1:1
	ds_read2_b32 v[48:49], v48 offset1:1
	s_waitcnt lgkmcnt(3)
	v_fma_f32 v39, -v3, v50, v39
	s_waitcnt lgkmcnt(2)
	v_fma_f32 v39, -v4, v45, v39
	v_fma_f32 v39, -v5, v44, v39
	s_sub_i32 s28, s27, 32
	s_waitcnt lgkmcnt(1)
	v_fma_f32 v39, -v6, v47, v39
	v_mov_b32_e32 v44, s28
	v_fma_f32 v39, -v7, v46, v39
	s_sub_i32 s28, s27, 40
	ds_read2_b32 v[44:45], v44 offset1:1
	s_waitcnt lgkmcnt(1)
	v_fma_f32 v39, -v8, v49, v39
	v_mov_b32_e32 v46, s28
	s_sub_i32 s28, s27, 48
	v_fma_f32 v39, -v9, v48, v39
	v_mov_b32_e32 v48, s28
	s_sub_i32 s28, s27, 56
	v_mov_b32_e32 v50, s28
	ds_read2_b32 v[46:47], v46 offset1:1
	ds_read2_b32 v[48:49], v48 offset1:1
	;; [unrolled: 1-line block ×3, first 2 shown]
	s_waitcnt lgkmcnt(3)
	v_fma_f32 v39, -v12, v45, v39
	v_fma_f32 v39, -v13, v44, v39
	s_waitcnt lgkmcnt(2)
	v_fma_f32 v39, -v14, v47, v39
	s_sub_i32 s28, s27, 64
	v_fma_f32 v39, -v17, v46, v39
	v_mov_b32_e32 v44, s28
	s_waitcnt lgkmcnt(1)
	v_fma_f32 v39, -v18, v49, v39
	s_addk_i32 s27, 0xffb8
	s_add_i32 s25, s25, s6
	ds_read2_b32 v[44:45], v44 offset1:1
	v_fma_f32 v39, -v21, v48, v39
	v_mov_b32_e32 v46, s27
	s_add_i32 s27, s9, 0xfffff52c
	s_lshl_b32 s25, s25, 2
	s_waitcnt lgkmcnt(1)
	v_fma_f32 v39, -v22, v51, v39
	v_mov_b32_e32 v48, s27
	s_add_i32 s27, s25, -4
	v_fma_f32 v39, -v25, v50, v39
	v_mov_b32_e32 v50, s27
	ds_read2_b32 v[46:47], v46 offset1:1
	ds_read2_b32 v[48:49], v48 offset1:1
	;; [unrolled: 1-line block ×3, first 2 shown]
	s_waitcnt lgkmcnt(3)
	v_fma_f32 v39, -v26, v45, v39
	v_fma_f32 v39, -v29, v44, v39
	s_waitcnt lgkmcnt(2)
	v_fma_f32 v39, -v31, v47, v39
	v_fma_f32 v39, -v34, v46, v39
	s_waitcnt lgkmcnt(1)
	v_fma_f32 v39, -v37, v49, v39
	v_mul_f32_e32 v39, v48, v39
	ds_write_b32 v42, v39 offset:4096
	s_waitcnt lgkmcnt(1)
	v_fma_f32 v42, -v3, v51, v43
	s_add_i32 s27, s25, -12
	v_fma_f32 v50, -v4, v50, v42
	v_mov_b32_e32 v42, s27
	s_sub_i32 s27, s25, 20
	ds_read2_b32 v[42:43], v42 offset1:1
	v_mov_b32_e32 v44, s27
	s_sub_i32 s27, s25, 28
	v_mov_b32_e32 v46, s27
	s_sub_i32 s27, s25, 36
	v_mov_b32_e32 v48, s27
	ds_read2_b32 v[44:45], v44 offset1:1
	ds_read2_b32 v[46:47], v46 offset1:1
	;; [unrolled: 1-line block ×3, first 2 shown]
	s_waitcnt lgkmcnt(3)
	v_fma_f32 v43, -v5, v43, v50
	v_fma_f32 v42, -v6, v42, v43
	s_waitcnt lgkmcnt(2)
	v_fma_f32 v42, -v7, v45, v42
	v_fma_f32 v42, -v8, v44, v42
	;; [unrolled: 3-line block ×3, first 2 shown]
	s_waitcnt lgkmcnt(0)
	v_fma_f32 v42, -v13, v49, v42
	s_sub_i32 s27, s25, 44
	v_fma_f32 v50, -v14, v48, v42
	v_mov_b32_e32 v42, s27
	s_sub_i32 s27, s25, 52
	ds_read2_b32 v[42:43], v42 offset1:1
	v_mov_b32_e32 v44, s27
	s_sub_i32 s27, s25, 60
	v_mov_b32_e32 v46, s27
	s_add_i32 s27, s25, 0xffffffbc
	v_mov_b32_e32 v48, s27
	ds_read2_b32 v[44:45], v44 offset1:1
	ds_read2_b32 v[46:47], v46 offset1:1
	;; [unrolled: 1-line block ×3, first 2 shown]
	s_waitcnt lgkmcnt(3)
	v_fma_f32 v43, -v17, v43, v50
	v_fma_f32 v42, -v18, v42, v43
	s_waitcnt lgkmcnt(2)
	v_fma_f32 v42, -v21, v45, v42
	v_fma_f32 v42, -v22, v44, v42
	;; [unrolled: 3-line block ×3, first 2 shown]
	s_waitcnt lgkmcnt(0)
	v_fma_f32 v42, -v29, v49, v42
	s_addk_i32 s25, 0xffb4
	v_fma_f32 v48, -v31, v48, v42
	v_mov_b32_e32 v42, s25
	s_add_i32 s24, s24, s6
	ds_read2_b32 v[42:43], v42 offset1:1
	s_add_i32 s25, s9, 0xfffff4a8
	s_lshl_b32 s24, s24, 2
	v_mov_b32_e32 v44, s25
	s_add_i32 s25, s24, -8
	v_mov_b32_e32 v46, s24
	v_mov_b32_e32 v47, s25
	ds_read2_b32 v[44:45], v44 offset1:1
	ds_read_b32 v49, v46
	ds_read2_b32 v[46:47], v47 offset1:1
	s_waitcnt lgkmcnt(3)
	v_fma_f32 v43, -v34, v43, v48
	v_fma_f32 v42, -v37, v42, v43
	s_waitcnt lgkmcnt(2)
	v_fma_f32 v42, -v39, v45, v42
	v_mul_f32_e32 v42, v44, v42
	ds_write_b32 v40, v42 offset:4096
	s_waitcnt lgkmcnt(2)
	v_fma_f32 v40, -v3, v49, v41
	s_waitcnt lgkmcnt(1)
	v_fma_f32 v40, -v4, v47, v40
	s_add_i32 s25, s24, -16
	v_fma_f32 v43, -v5, v46, v40
	v_mov_b32_e32 v40, s25
	s_sub_i32 s25, s24, 24
	ds_read2_b32 v[40:41], v40 offset1:1
	v_mov_b32_e32 v44, s25
	s_sub_i32 s25, s24, 32
	v_mov_b32_e32 v46, s25
	s_sub_i32 s25, s24, 40
	v_mov_b32_e32 v48, s25
	ds_read2_b32 v[44:45], v44 offset1:1
	ds_read2_b32 v[46:47], v46 offset1:1
	;; [unrolled: 1-line block ×3, first 2 shown]
	s_waitcnt lgkmcnt(3)
	v_fma_f32 v41, -v6, v41, v43
	v_fma_f32 v40, -v7, v40, v41
	s_waitcnt lgkmcnt(2)
	v_fma_f32 v40, -v8, v45, v40
	v_fma_f32 v40, -v9, v44, v40
	;; [unrolled: 3-line block ×3, first 2 shown]
	s_waitcnt lgkmcnt(0)
	v_fma_f32 v40, -v14, v49, v40
	s_sub_i32 s25, s24, 48
	v_fma_f32 v43, -v17, v48, v40
	v_mov_b32_e32 v40, s25
	s_sub_i32 s25, s24, 56
	ds_read2_b32 v[40:41], v40 offset1:1
	v_mov_b32_e32 v44, s25
	s_sub_i32 s25, s24, 64
	v_mov_b32_e32 v46, s25
	s_add_i32 s25, s24, 0xffffffb8
	v_mov_b32_e32 v48, s25
	ds_read2_b32 v[44:45], v44 offset1:1
	ds_read2_b32 v[46:47], v46 offset1:1
	;; [unrolled: 1-line block ×3, first 2 shown]
	s_waitcnt lgkmcnt(3)
	v_fma_f32 v41, -v18, v41, v43
	v_fma_f32 v40, -v21, v40, v41
	s_waitcnt lgkmcnt(2)
	v_fma_f32 v40, -v22, v45, v40
	v_fma_f32 v40, -v25, v44, v40
	;; [unrolled: 3-line block ×3, first 2 shown]
	s_waitcnt lgkmcnt(0)
	v_fma_f32 v40, -v31, v49, v40
	s_addk_i32 s24, 0xffb0
	v_fma_f32 v43, -v34, v48, v40
	v_mov_b32_e32 v40, s24
	s_add_i32 s23, s23, s6
	s_add_i32 s24, s9, 0xfffff424
	s_lshl_b32 s23, s23, 2
	ds_read2_b32 v[40:41], v40 offset1:1
	v_mov_b32_e32 v44, s24
	s_add_i32 s24, s23, -4
	v_mov_b32_e32 v46, s24
	s_add_i32 s24, s23, -12
	v_mov_b32_e32 v48, s24
	ds_read2_b32 v[44:45], v44 offset1:1
	ds_read2_b32 v[46:47], v46 offset1:1
	;; [unrolled: 1-line block ×3, first 2 shown]
	s_waitcnt lgkmcnt(3)
	v_fma_f32 v41, -v37, v41, v43
	v_fma_f32 v40, -v39, v40, v41
	s_waitcnt lgkmcnt(2)
	v_fma_f32 v40, -v42, v45, v40
	v_mul_f32_e32 v40, v44, v40
	s_sub_i32 s24, s23, 20
	ds_write_b32 v36, v40 offset:4096
	s_waitcnt lgkmcnt(2)
	v_fma_f32 v36, -v3, v47, v38
	v_mov_b32_e32 v38, s24
	ds_read2_b32 v[44:45], v38 offset1:1
	s_sub_i32 s24, s23, 28
	v_fma_f32 v36, -v4, v46, v36
	v_mov_b32_e32 v41, s24
	s_sub_i32 s24, s23, 36
	s_waitcnt lgkmcnt(2)
	v_fma_f32 v36, -v5, v49, v36
	v_mov_b32_e32 v43, s24
	s_sub_i32 s24, s23, 44
	v_fma_f32 v36, -v6, v48, v36
	v_mov_b32_e32 v38, s24
	ds_read2_b32 v[46:47], v41 offset1:1
	ds_read2_b32 v[48:49], v43 offset1:1
	;; [unrolled: 1-line block ×3, first 2 shown]
	s_waitcnt lgkmcnt(3)
	v_fma_f32 v36, -v7, v45, v36
	v_fma_f32 v36, -v8, v44, v36
	s_sub_i32 s24, s23, 52
	s_waitcnt lgkmcnt(2)
	v_fma_f32 v36, -v9, v47, v36
	v_mov_b32_e32 v38, s24
	v_fma_f32 v36, -v12, v46, v36
	ds_read2_b32 v[44:45], v38 offset1:1
	s_waitcnt lgkmcnt(2)
	v_fma_f32 v36, -v13, v49, v36
	s_sub_i32 s24, s23, 60
	v_fma_f32 v36, -v14, v48, v36
	v_mov_b32_e32 v41, s24
	s_add_i32 s24, s23, 0xffffffbc
	s_waitcnt lgkmcnt(1)
	v_fma_f32 v36, -v17, v51, v36
	v_mov_b32_e32 v43, s24
	s_add_i32 s24, s23, 0xffffffb4
	v_fma_f32 v36, -v18, v50, v36
	v_mov_b32_e32 v38, s24
	ds_read2_b32 v[46:47], v41 offset1:1
	ds_read2_b32 v[48:49], v43 offset1:1
	;; [unrolled: 1-line block ×3, first 2 shown]
	s_waitcnt lgkmcnt(3)
	v_fma_f32 v36, -v21, v45, v36
	v_fma_f32 v36, -v22, v44, v36
	s_addk_i32 s23, 0xffac
	s_waitcnt lgkmcnt(2)
	v_fma_f32 v36, -v25, v47, v36
	v_mov_b32_e32 v38, s23
	v_fma_f32 v36, -v26, v46, v36
	ds_read2_b32 v[44:45], v38 offset1:1
	s_waitcnt lgkmcnt(2)
	v_fma_f32 v36, -v29, v49, v36
	s_add_i32 s21, s21, s6
	v_fma_f32 v36, -v31, v48, v36
	s_add_i32 s23, s9, 0xfffff3a0
	s_lshl_b32 s21, s21, 2
	s_waitcnt lgkmcnt(1)
	v_fma_f32 v36, -v34, v51, v36
	v_mov_b32_e32 v41, s23
	s_add_i32 s23, s21, -8
	v_fma_f32 v36, -v37, v50, v36
	v_mov_b32_e32 v43, s21
	v_mov_b32_e32 v38, s23
	ds_read2_b32 v[46:47], v41 offset1:1
	ds_read_b32 v41, v43
	ds_read2_b32 v[48:49], v38 offset1:1
	s_waitcnt lgkmcnt(3)
	v_fma_f32 v36, -v39, v45, v36
	v_fma_f32 v36, -v42, v44, v36
	s_waitcnt lgkmcnt(2)
	v_fma_f32 v36, -v40, v47, v36
	v_mul_f32_e32 v36, v46, v36
	s_add_i32 s23, s21, -16
	ds_write_b32 v33, v36 offset:4096
	s_waitcnt lgkmcnt(2)
	v_fma_f32 v33, -v3, v41, v35
	v_mov_b32_e32 v35, s23
	ds_read2_b32 v[44:45], v35 offset1:1
	s_sub_i32 s23, s21, 24
	v_mov_b32_e32 v38, s23
	s_sub_i32 s23, s21, 32
	s_waitcnt lgkmcnt(2)
	v_fma_f32 v33, -v4, v49, v33
	v_mov_b32_e32 v41, s23
	s_sub_i32 s23, s21, 40
	v_fma_f32 v33, -v5, v48, v33
	v_mov_b32_e32 v35, s23
	ds_read2_b32 v[46:47], v38 offset1:1
	ds_read2_b32 v[48:49], v41 offset1:1
	;; [unrolled: 1-line block ×3, first 2 shown]
	s_waitcnt lgkmcnt(3)
	v_fma_f32 v33, -v6, v45, v33
	v_fma_f32 v33, -v7, v44, v33
	s_sub_i32 s23, s21, 48
	s_waitcnt lgkmcnt(2)
	v_fma_f32 v33, -v8, v47, v33
	v_mov_b32_e32 v35, s23
	v_fma_f32 v33, -v9, v46, v33
	ds_read2_b32 v[44:45], v35 offset1:1
	s_waitcnt lgkmcnt(2)
	v_fma_f32 v33, -v12, v49, v33
	s_sub_i32 s23, s21, 56
	v_fma_f32 v33, -v13, v48, v33
	v_mov_b32_e32 v38, s23
	s_sub_i32 s23, s21, 64
	s_waitcnt lgkmcnt(1)
	v_fma_f32 v33, -v14, v51, v33
	v_mov_b32_e32 v41, s23
	s_add_i32 s23, s21, 0xffffffb8
	v_fma_f32 v33, -v17, v50, v33
	v_mov_b32_e32 v35, s23
	ds_read2_b32 v[46:47], v38 offset1:1
	ds_read2_b32 v[48:49], v41 offset1:1
	;; [unrolled: 1-line block ×3, first 2 shown]
	s_waitcnt lgkmcnt(3)
	v_fma_f32 v33, -v18, v45, v33
	v_fma_f32 v33, -v21, v44, v33
	s_add_i32 s23, s21, 0xffffffb0
	s_waitcnt lgkmcnt(2)
	v_fma_f32 v33, -v22, v47, v33
	v_mov_b32_e32 v35, s23
	v_fma_f32 v33, -v25, v46, v33
	ds_read2_b32 v[44:45], v35 offset1:1
	s_waitcnt lgkmcnt(2)
	v_fma_f32 v33, -v26, v49, v33
	s_addk_i32 s21, 0xffa8
	s_add_i32 s20, s20, s6
	v_fma_f32 v33, -v29, v48, v33
	v_mov_b32_e32 v38, s21
	s_add_i32 s21, s9, 0xfffff31c
	s_lshl_b32 s20, s20, 2
	s_waitcnt lgkmcnt(1)
	v_fma_f32 v33, -v31, v51, v33
	v_mov_b32_e32 v41, s21
	s_add_i32 s21, s20, -4
	v_fma_f32 v33, -v34, v50, v33
	v_mov_b32_e32 v35, s21
	ds_read2_b32 v[46:47], v38 offset1:1
	ds_read2_b32 v[48:49], v41 offset1:1
	;; [unrolled: 1-line block ×3, first 2 shown]
	s_waitcnt lgkmcnt(3)
	v_fma_f32 v33, -v37, v45, v33
	v_fma_f32 v33, -v39, v44, v33
	s_waitcnt lgkmcnt(2)
	v_fma_f32 v33, -v42, v47, v33
	v_fma_f32 v33, -v40, v46, v33
	s_waitcnt lgkmcnt(1)
	v_fma_f32 v33, -v36, v49, v33
	v_mul_f32_e32 v33, v48, v33
	s_add_i32 s21, s20, -12
	ds_write_b32 v30, v33 offset:4096
	s_waitcnt lgkmcnt(1)
	v_fma_f32 v30, -v3, v51, v32
	v_mov_b32_e32 v32, s21
	ds_read2_b32 v[44:45], v32 offset1:1
	s_sub_i32 s21, s20, 20
	v_mov_b32_e32 v35, s21
	s_sub_i32 s21, s20, 28
	v_mov_b32_e32 v38, s21
	s_sub_i32 s21, s20, 36
	v_fma_f32 v30, -v4, v50, v30
	v_mov_b32_e32 v32, s21
	ds_read2_b32 v[46:47], v35 offset1:1
	ds_read2_b32 v[48:49], v38 offset1:1
	ds_read2_b32 v[50:51], v32 offset1:1
	s_waitcnt lgkmcnt(3)
	v_fma_f32 v30, -v5, v45, v30
	v_fma_f32 v30, -v6, v44, v30
	s_sub_i32 s21, s20, 44
	s_waitcnt lgkmcnt(2)
	v_fma_f32 v30, -v7, v47, v30
	v_mov_b32_e32 v32, s21
	v_fma_f32 v30, -v8, v46, v30
	ds_read2_b32 v[44:45], v32 offset1:1
	s_waitcnt lgkmcnt(2)
	v_fma_f32 v30, -v9, v49, v30
	s_sub_i32 s21, s20, 52
	v_fma_f32 v30, -v12, v48, v30
	v_mov_b32_e32 v35, s21
	s_sub_i32 s21, s20, 60
	s_waitcnt lgkmcnt(1)
	v_fma_f32 v30, -v13, v51, v30
	v_mov_b32_e32 v38, s21
	s_add_i32 s21, s20, 0xffffffbc
	v_fma_f32 v30, -v14, v50, v30
	v_mov_b32_e32 v32, s21
	ds_read2_b32 v[46:47], v35 offset1:1
	ds_read2_b32 v[48:49], v38 offset1:1
	;; [unrolled: 1-line block ×3, first 2 shown]
	s_waitcnt lgkmcnt(3)
	v_fma_f32 v30, -v17, v45, v30
	v_fma_f32 v30, -v18, v44, v30
	s_add_i32 s21, s20, 0xffffffb4
	s_waitcnt lgkmcnt(2)
	v_fma_f32 v30, -v21, v47, v30
	v_mov_b32_e32 v32, s21
	v_fma_f32 v30, -v22, v46, v30
	ds_read2_b32 v[44:45], v32 offset1:1
	s_waitcnt lgkmcnt(2)
	v_fma_f32 v30, -v25, v49, v30
	v_fma_f32 v30, -v26, v48, v30
	s_add_i32 s21, s20, 0xffffffac
	s_addk_i32 s20, 0xffa4
	s_waitcnt lgkmcnt(1)
	v_fma_f32 v30, -v29, v51, v30
	v_mov_b32_e32 v35, s21
	v_mov_b32_e32 v38, s20
	s_add_i32 s20, s9, 0xfffff298
	v_fma_f32 v30, -v31, v50, v30
	v_mov_b32_e32 v32, s20
	ds_read2_b32 v[46:47], v35 offset1:1
	ds_read2_b32 v[48:49], v38 offset1:1
	;; [unrolled: 1-line block ×3, first 2 shown]
	s_waitcnt lgkmcnt(3)
	v_fma_f32 v30, -v34, v45, v30
	v_fma_f32 v30, -v37, v44, v30
	s_waitcnt lgkmcnt(2)
	v_fma_f32 v30, -v39, v47, v30
	v_fma_f32 v30, -v42, v46, v30
	;; [unrolled: 3-line block ×3, first 2 shown]
	s_waitcnt lgkmcnt(0)
	v_fma_f32 v30, -v33, v51, v30
	s_add_i32 s19, s19, s6
	v_mul_f32_e32 v30, v50, v30
	s_lshl_b32 s19, s19, 2
	ds_write_b32 v27, v30 offset:4096
	v_mov_b32_e32 v27, s19
	s_add_i32 s20, s19, -8
	v_mov_b32_e32 v32, s20
	ds_read_b32 v27, v27
	ds_read2_b32 v[44:45], v32 offset1:1
	s_add_i32 s20, s19, -16
	v_mov_b32_e32 v35, s20
	s_sub_i32 s20, s19, 24
	v_mov_b32_e32 v32, s20
	ds_read2_b32 v[46:47], v35 offset1:1
	ds_read2_b32 v[48:49], v32 offset1:1
	s_waitcnt lgkmcnt(3)
	v_fma_f32 v27, -v3, v27, v28
	s_sub_i32 s20, s19, 32
	s_waitcnt lgkmcnt(2)
	v_fma_f32 v27, -v4, v45, v27
	v_mov_b32_e32 v28, s20
	v_fma_f32 v27, -v5, v44, v27
	ds_read2_b32 v[44:45], v28 offset1:1
	s_waitcnt lgkmcnt(2)
	v_fma_f32 v27, -v6, v47, v27
	s_sub_i32 s20, s19, 40
	v_fma_f32 v27, -v7, v46, v27
	v_mov_b32_e32 v32, s20
	s_sub_i32 s20, s19, 48
	s_waitcnt lgkmcnt(1)
	v_fma_f32 v27, -v8, v49, v27
	v_mov_b32_e32 v35, s20
	s_sub_i32 s20, s19, 56
	v_fma_f32 v27, -v9, v48, v27
	v_mov_b32_e32 v28, s20
	ds_read2_b32 v[46:47], v32 offset1:1
	ds_read2_b32 v[48:49], v35 offset1:1
	;; [unrolled: 1-line block ×3, first 2 shown]
	s_waitcnt lgkmcnt(3)
	v_fma_f32 v27, -v12, v45, v27
	v_fma_f32 v27, -v13, v44, v27
	s_sub_i32 s20, s19, 64
	s_waitcnt lgkmcnt(2)
	v_fma_f32 v27, -v14, v47, v27
	v_mov_b32_e32 v28, s20
	v_fma_f32 v27, -v17, v46, v27
	ds_read2_b32 v[44:45], v28 offset1:1
	s_waitcnt lgkmcnt(2)
	v_fma_f32 v27, -v18, v49, v27
	s_add_i32 s20, s19, 0xffffffb8
	v_fma_f32 v27, -v21, v48, v27
	v_mov_b32_e32 v32, s20
	s_add_i32 s20, s19, 0xffffffb0
	s_waitcnt lgkmcnt(1)
	v_fma_f32 v27, -v22, v51, v27
	v_mov_b32_e32 v35, s20
	s_add_i32 s20, s19, 0xffffffa8
	v_fma_f32 v27, -v25, v50, v27
	v_mov_b32_e32 v28, s20
	ds_read2_b32 v[46:47], v32 offset1:1
	ds_read2_b32 v[48:49], v35 offset1:1
	;; [unrolled: 1-line block ×3, first 2 shown]
	s_waitcnt lgkmcnt(3)
	v_fma_f32 v27, -v26, v45, v27
	v_fma_f32 v27, -v29, v44, v27
	s_addk_i32 s19, 0xffa0
	s_waitcnt lgkmcnt(2)
	v_fma_f32 v27, -v31, v47, v27
	v_mov_b32_e32 v28, s19
	v_fma_f32 v27, -v34, v46, v27
	s_add_i32 s18, s18, s6
	ds_read2_b32 v[44:45], v28 offset1:1
	s_waitcnt lgkmcnt(2)
	v_fma_f32 v27, -v37, v49, v27
	s_add_i32 s19, s9, 0xfffff214
	s_lshl_b32 s18, s18, 2
	v_fma_f32 v27, -v39, v48, v27
	v_mov_b32_e32 v32, s19
	s_add_i32 s19, s18, -4
	s_waitcnt lgkmcnt(1)
	v_fma_f32 v27, -v42, v51, v27
	v_mov_b32_e32 v35, s19
	s_add_i32 s19, s18, -12
	v_fma_f32 v27, -v40, v50, v27
	v_mov_b32_e32 v28, s19
	ds_read2_b32 v[46:47], v32 offset1:1
	ds_read2_b32 v[48:49], v35 offset1:1
	;; [unrolled: 1-line block ×3, first 2 shown]
	s_waitcnt lgkmcnt(3)
	v_fma_f32 v27, -v36, v45, v27
	v_fma_f32 v27, -v33, v44, v27
	s_waitcnt lgkmcnt(2)
	v_fma_f32 v27, -v30, v47, v27
	v_mul_f32_e32 v27, v46, v27
	s_sub_i32 s19, s18, 20
	ds_write_b32 v23, v27 offset:4096
	s_waitcnt lgkmcnt(2)
	v_fma_f32 v23, -v3, v49, v24
	v_mov_b32_e32 v24, s19
	ds_read2_b32 v[44:45], v24 offset1:1
	s_sub_i32 s19, s18, 28
	v_fma_f32 v23, -v4, v48, v23
	v_mov_b32_e32 v28, s19
	s_sub_i32 s19, s18, 36
	s_waitcnt lgkmcnt(2)
	v_fma_f32 v23, -v5, v51, v23
	v_mov_b32_e32 v32, s19
	s_sub_i32 s19, s18, 44
	v_fma_f32 v23, -v6, v50, v23
	v_mov_b32_e32 v24, s19
	ds_read2_b32 v[46:47], v28 offset1:1
	ds_read2_b32 v[48:49], v32 offset1:1
	;; [unrolled: 1-line block ×3, first 2 shown]
	s_waitcnt lgkmcnt(3)
	v_fma_f32 v23, -v7, v45, v23
	v_fma_f32 v23, -v8, v44, v23
	s_sub_i32 s19, s18, 52
	s_waitcnt lgkmcnt(2)
	v_fma_f32 v23, -v9, v47, v23
	v_mov_b32_e32 v24, s19
	v_fma_f32 v23, -v12, v46, v23
	ds_read2_b32 v[44:45], v24 offset1:1
	s_waitcnt lgkmcnt(2)
	v_fma_f32 v23, -v13, v49, v23
	s_sub_i32 s19, s18, 60
	v_fma_f32 v23, -v14, v48, v23
	v_mov_b32_e32 v28, s19
	s_add_i32 s19, s18, 0xffffffbc
	s_waitcnt lgkmcnt(1)
	v_fma_f32 v23, -v17, v51, v23
	v_mov_b32_e32 v32, s19
	s_add_i32 s19, s18, 0xffffffb4
	v_fma_f32 v23, -v18, v50, v23
	v_mov_b32_e32 v24, s19
	ds_read2_b32 v[46:47], v28 offset1:1
	ds_read2_b32 v[48:49], v32 offset1:1
	;; [unrolled: 1-line block ×3, first 2 shown]
	s_waitcnt lgkmcnt(3)
	v_fma_f32 v23, -v21, v45, v23
	v_fma_f32 v23, -v22, v44, v23
	s_add_i32 s19, s18, 0xffffffac
	s_waitcnt lgkmcnt(2)
	v_fma_f32 v23, -v25, v47, v23
	v_mov_b32_e32 v24, s19
	v_fma_f32 v23, -v26, v46, v23
	ds_read2_b32 v[44:45], v24 offset1:1
	s_waitcnt lgkmcnt(2)
	v_fma_f32 v23, -v29, v49, v23
	v_fma_f32 v23, -v31, v48, v23
	s_add_i32 s19, s18, 0xffffffa4
	s_addk_i32 s18, 0xff9c
	s_waitcnt lgkmcnt(1)
	v_fma_f32 v23, -v34, v51, v23
	v_mov_b32_e32 v28, s19
	v_mov_b32_e32 v32, s18
	s_add_i32 s18, s9, 0xfffff190
	v_fma_f32 v23, -v37, v50, v23
	v_mov_b32_e32 v24, s18
	ds_read2_b32 v[46:47], v28 offset1:1
	ds_read2_b32 v[48:49], v32 offset1:1
	;; [unrolled: 1-line block ×3, first 2 shown]
	s_waitcnt lgkmcnt(3)
	v_fma_f32 v23, -v39, v45, v23
	v_fma_f32 v23, -v42, v44, v23
	s_waitcnt lgkmcnt(2)
	v_fma_f32 v23, -v40, v47, v23
	v_fma_f32 v23, -v36, v46, v23
	;; [unrolled: 3-line block ×3, first 2 shown]
	s_waitcnt lgkmcnt(0)
	v_fma_f32 v23, -v27, v51, v23
	s_add_i32 s15, s15, s6
	v_mul_f32_e32 v23, v50, v23
	s_lshl_b32 s15, s15, 2
	ds_write_b32 v20, v23 offset:4096
	v_mov_b32_e32 v20, s15
	s_add_i32 s18, s15, -8
	v_mov_b32_e32 v24, s18
	ds_read_b32 v20, v20
	ds_read2_b32 v[44:45], v24 offset1:1
	s_add_i32 s18, s15, -16
	v_mov_b32_e32 v28, s18
	s_sub_i32 s18, s15, 24
	v_mov_b32_e32 v24, s18
	ds_read2_b32 v[46:47], v28 offset1:1
	ds_read2_b32 v[48:49], v24 offset1:1
	s_waitcnt lgkmcnt(3)
	v_fma_f32 v19, -v3, v20, v19
	s_sub_i32 s18, s15, 32
	s_waitcnt lgkmcnt(2)
	v_fma_f32 v19, -v4, v45, v19
	v_mov_b32_e32 v20, s18
	v_fma_f32 v19, -v5, v44, v19
	ds_read2_b32 v[44:45], v20 offset1:1
	s_waitcnt lgkmcnt(2)
	v_fma_f32 v19, -v6, v47, v19
	s_sub_i32 s18, s15, 40
	v_fma_f32 v19, -v7, v46, v19
	v_mov_b32_e32 v24, s18
	s_sub_i32 s18, s15, 48
	s_waitcnt lgkmcnt(1)
	v_fma_f32 v19, -v8, v49, v19
	v_mov_b32_e32 v28, s18
	s_sub_i32 s18, s15, 56
	v_fma_f32 v19, -v9, v48, v19
	v_mov_b32_e32 v20, s18
	ds_read2_b32 v[46:47], v24 offset1:1
	ds_read2_b32 v[48:49], v28 offset1:1
	;; [unrolled: 1-line block ×3, first 2 shown]
	s_waitcnt lgkmcnt(3)
	v_fma_f32 v19, -v12, v45, v19
	v_fma_f32 v19, -v13, v44, v19
	s_sub_i32 s18, s15, 64
	s_waitcnt lgkmcnt(2)
	v_fma_f32 v19, -v14, v47, v19
	v_mov_b32_e32 v20, s18
	v_fma_f32 v19, -v17, v46, v19
	ds_read2_b32 v[44:45], v20 offset1:1
	s_waitcnt lgkmcnt(2)
	v_fma_f32 v19, -v18, v49, v19
	s_add_i32 s18, s15, 0xffffffb8
	v_fma_f32 v19, -v21, v48, v19
	v_mov_b32_e32 v24, s18
	s_add_i32 s18, s15, 0xffffffb0
	s_waitcnt lgkmcnt(1)
	v_fma_f32 v19, -v22, v51, v19
	v_mov_b32_e32 v28, s18
	s_add_i32 s18, s15, 0xffffffa8
	v_fma_f32 v19, -v25, v50, v19
	v_mov_b32_e32 v20, s18
	ds_read2_b32 v[46:47], v24 offset1:1
	ds_read2_b32 v[48:49], v28 offset1:1
	;; [unrolled: 1-line block ×3, first 2 shown]
	s_waitcnt lgkmcnt(3)
	v_fma_f32 v19, -v26, v45, v19
	v_fma_f32 v19, -v29, v44, v19
	s_add_i32 s18, s15, 0xffffffa0
	s_waitcnt lgkmcnt(2)
	v_fma_f32 v19, -v31, v47, v19
	v_mov_b32_e32 v20, s18
	v_fma_f32 v19, -v34, v46, v19
	ds_read2_b32 v[44:45], v20 offset1:1
	s_waitcnt lgkmcnt(2)
	v_fma_f32 v19, -v37, v49, v19
	s_addk_i32 s15, 0xff98
	s_add_i32 s14, s14, s6
	v_fma_f32 v19, -v39, v48, v19
	v_mov_b32_e32 v24, s15
	s_add_i32 s15, s9, 0xfffff10c
	s_lshl_b32 s14, s14, 2
	s_waitcnt lgkmcnt(1)
	v_fma_f32 v19, -v42, v51, v19
	v_mov_b32_e32 v28, s15
	s_add_i32 s15, s14, -4
	v_fma_f32 v19, -v40, v50, v19
	v_mov_b32_e32 v20, s15
	ds_read2_b32 v[46:47], v24 offset1:1
	ds_read2_b32 v[48:49], v28 offset1:1
	;; [unrolled: 1-line block ×3, first 2 shown]
	s_waitcnt lgkmcnt(3)
	v_fma_f32 v19, -v36, v45, v19
	v_fma_f32 v19, -v33, v44, v19
	s_waitcnt lgkmcnt(2)
	v_fma_f32 v19, -v30, v47, v19
	v_fma_f32 v19, -v27, v46, v19
	s_waitcnt lgkmcnt(1)
	v_fma_f32 v19, -v23, v49, v19
	v_mul_f32_e32 v19, v48, v19
	s_add_i32 s15, s14, -12
	ds_write_b32 v15, v19 offset:4096
	s_waitcnt lgkmcnt(1)
	v_fma_f32 v15, -v3, v51, v16
	v_mov_b32_e32 v16, s15
	ds_read2_b32 v[44:45], v16 offset1:1
	s_sub_i32 s15, s14, 20
	v_mov_b32_e32 v20, s15
	s_sub_i32 s15, s14, 28
	v_mov_b32_e32 v24, s15
	s_sub_i32 s15, s14, 36
	v_fma_f32 v15, -v4, v50, v15
	v_mov_b32_e32 v16, s15
	ds_read2_b32 v[46:47], v20 offset1:1
	ds_read2_b32 v[48:49], v24 offset1:1
	;; [unrolled: 1-line block ×3, first 2 shown]
	s_waitcnt lgkmcnt(3)
	v_fma_f32 v15, -v5, v45, v15
	v_fma_f32 v15, -v6, v44, v15
	s_sub_i32 s15, s14, 44
	s_waitcnt lgkmcnt(2)
	v_fma_f32 v15, -v7, v47, v15
	v_mov_b32_e32 v16, s15
	v_fma_f32 v15, -v8, v46, v15
	ds_read2_b32 v[44:45], v16 offset1:1
	s_waitcnt lgkmcnt(2)
	v_fma_f32 v15, -v9, v49, v15
	s_sub_i32 s15, s14, 52
	v_fma_f32 v15, -v12, v48, v15
	v_mov_b32_e32 v20, s15
	s_sub_i32 s15, s14, 60
	s_waitcnt lgkmcnt(1)
	v_fma_f32 v15, -v13, v51, v15
	v_mov_b32_e32 v24, s15
	s_add_i32 s15, s14, 0xffffffbc
	v_fma_f32 v15, -v14, v50, v15
	v_mov_b32_e32 v16, s15
	ds_read2_b32 v[46:47], v20 offset1:1
	ds_read2_b32 v[48:49], v24 offset1:1
	ds_read2_b32 v[50:51], v16 offset1:1
	s_waitcnt lgkmcnt(3)
	v_fma_f32 v15, -v17, v45, v15
	v_fma_f32 v15, -v18, v44, v15
	s_add_i32 s15, s14, 0xffffffb4
	s_waitcnt lgkmcnt(2)
	v_fma_f32 v15, -v21, v47, v15
	v_mov_b32_e32 v16, s15
	v_fma_f32 v15, -v22, v46, v15
	ds_read2_b32 v[44:45], v16 offset1:1
	s_waitcnt lgkmcnt(2)
	v_fma_f32 v15, -v25, v49, v15
	s_add_i32 s15, s14, 0xffffffac
	v_fma_f32 v15, -v26, v48, v15
	v_mov_b32_e32 v20, s15
	s_add_i32 s15, s14, 0xffffffa4
	s_waitcnt lgkmcnt(1)
	v_fma_f32 v15, -v29, v51, v15
	v_mov_b32_e32 v24, s15
	s_add_i32 s15, s14, 0xffffff9c
	v_fma_f32 v15, -v31, v50, v15
	v_mov_b32_e32 v16, s15
	ds_read2_b32 v[46:47], v20 offset1:1
	ds_read2_b32 v[48:49], v24 offset1:1
	;; [unrolled: 1-line block ×3, first 2 shown]
	s_waitcnt lgkmcnt(3)
	v_fma_f32 v15, -v34, v45, v15
	v_fma_f32 v15, -v37, v44, v15
	s_addk_i32 s14, 0xff94
	s_waitcnt lgkmcnt(2)
	v_fma_f32 v15, -v39, v47, v15
	v_mov_b32_e32 v16, s14
	v_fma_f32 v15, -v42, v46, v15
	ds_read2_b32 v[44:45], v16 offset1:1
	s_waitcnt lgkmcnt(2)
	v_fma_f32 v15, -v40, v49, v15
	s_add_i32 s8, s8, s6
	v_fma_f32 v15, -v36, v48, v15
	s_add_i32 s14, s9, 0xfffff088
	s_lshl_b32 s8, s8, 2
	s_waitcnt lgkmcnt(1)
	v_fma_f32 v15, -v33, v51, v15
	v_mov_b32_e32 v20, s14
	s_add_i32 s14, s8, -8
	v_fma_f32 v15, -v30, v50, v15
	v_mov_b32_e32 v24, s8
	v_mov_b32_e32 v16, s14
	ds_read2_b32 v[46:47], v20 offset1:1
	ds_read_b32 v20, v24
	ds_read2_b32 v[48:49], v16 offset1:1
	s_waitcnt lgkmcnt(3)
	v_fma_f32 v15, -v27, v45, v15
	v_fma_f32 v15, -v23, v44, v15
	s_waitcnt lgkmcnt(2)
	v_fma_f32 v15, -v19, v47, v15
	v_mul_f32_e32 v15, v46, v15
	ds_write_b32 v10, v15 offset:4096
	s_waitcnt lgkmcnt(2)
	v_fma_f32 v10, -v3, v20, v11
	s_waitcnt lgkmcnt(1)
	v_fma_f32 v10, -v4, v49, v10
	s_add_i32 s14, s8, -16
	v_fma_f32 v16, -v5, v48, v10
	v_mov_b32_e32 v10, s14
	ds_read2_b32 v[10:11], v10 offset1:1
	s_sub_i32 s14, s8, 24
	v_mov_b32_e32 v20, s14
	s_sub_i32 s14, s8, 32
	v_mov_b32_e32 v24, s14
	;; [unrolled: 2-line block ×3, first 2 shown]
	ds_read2_b32 v[44:45], v20 offset1:1
	ds_read2_b32 v[46:47], v24 offset1:1
	;; [unrolled: 1-line block ×3, first 2 shown]
	s_waitcnt lgkmcnt(3)
	v_fma_f32 v11, -v6, v11, v16
	v_fma_f32 v10, -v7, v10, v11
	s_waitcnt lgkmcnt(2)
	v_fma_f32 v10, -v8, v45, v10
	v_fma_f32 v10, -v9, v44, v10
	;; [unrolled: 3-line block ×3, first 2 shown]
	s_waitcnt lgkmcnt(0)
	v_fma_f32 v10, -v14, v49, v10
	s_sub_i32 s14, s8, 48
	v_fma_f32 v16, -v17, v48, v10
	v_mov_b32_e32 v10, s14
	ds_read2_b32 v[10:11], v10 offset1:1
	s_sub_i32 s14, s8, 56
	v_mov_b32_e32 v20, s14
	s_sub_i32 s14, s8, 64
	v_mov_b32_e32 v24, s14
	s_add_i32 s14, s8, 0xffffffb8
	v_mov_b32_e32 v28, s14
	ds_read2_b32 v[44:45], v20 offset1:1
	ds_read2_b32 v[46:47], v24 offset1:1
	;; [unrolled: 1-line block ×3, first 2 shown]
	s_waitcnt lgkmcnt(3)
	v_fma_f32 v11, -v18, v11, v16
	v_fma_f32 v10, -v21, v10, v11
	s_waitcnt lgkmcnt(2)
	v_fma_f32 v10, -v22, v45, v10
	v_fma_f32 v10, -v25, v44, v10
	;; [unrolled: 3-line block ×3, first 2 shown]
	s_waitcnt lgkmcnt(0)
	v_fma_f32 v10, -v31, v49, v10
	s_add_i32 s14, s8, 0xffffffb0
	v_fma_f32 v16, -v34, v48, v10
	v_mov_b32_e32 v10, s14
	ds_read2_b32 v[10:11], v10 offset1:1
	s_add_i32 s14, s8, 0xffffffa8
	v_mov_b32_e32 v20, s14
	s_add_i32 s14, s8, 0xffffffa0
	v_mov_b32_e32 v24, s14
	;; [unrolled: 2-line block ×3, first 2 shown]
	ds_read2_b32 v[44:45], v20 offset1:1
	ds_read2_b32 v[46:47], v24 offset1:1
	ds_read2_b32 v[48:49], v28 offset1:1
	s_waitcnt lgkmcnt(3)
	v_fma_f32 v11, -v37, v11, v16
	v_fma_f32 v10, -v39, v10, v11
	s_waitcnt lgkmcnt(2)
	v_fma_f32 v10, -v42, v45, v10
	v_fma_f32 v10, -v40, v44, v10
	;; [unrolled: 3-line block ×3, first 2 shown]
	s_waitcnt lgkmcnt(0)
	v_fma_f32 v10, -v30, v49, v10
	s_addk_i32 s8, 0xff90
	v_fma_f32 v16, -v27, v48, v10
	v_mov_b32_e32 v10, s8
	s_add_i32 s8, s9, 0xfffff004
	v_mov_b32_e32 v20, s8
	s_sub_i32 s8, s26, 32
	s_lshl_b32 s8, s8, 5
	s_add_i32 s14, s8, s6
	ds_read2_b32 v[10:11], v10 offset1:1
	s_lshl_b32 s14, s14, 2
	s_add_i32 s15, s14, -4
	v_mov_b32_e32 v24, s15
	s_add_i32 s15, s14, -12
	v_mov_b32_e32 v28, s15
	ds_read2_b32 v[44:45], v20 offset1:1
	ds_read2_b32 v[46:47], v24 offset1:1
	ds_read2_b32 v[48:49], v28 offset1:1
	s_waitcnt lgkmcnt(3)
	v_fma_f32 v11, -v23, v11, v16
	v_fma_f32 v10, -v19, v10, v11
	s_waitcnt lgkmcnt(2)
	v_fma_f32 v10, -v15, v45, v10
	v_mul_f32_e32 v16, v44, v10
	s_sub_i32 s15, s14, 20
	ds_write_b32 v1, v16 offset:4096
	s_waitcnt lgkmcnt(2)
	v_fma_f32 v1, -v3, v47, v2
	v_mov_b32_e32 v2, s15
	ds_read2_b32 v[2:3], v2 offset1:1
	v_fma_f32 v1, -v4, v46, v1
	s_sub_i32 s15, s14, 28
	s_waitcnt lgkmcnt(2)
	v_fma_f32 v1, -v5, v49, v1
	v_mov_b32_e32 v4, s15
	s_sub_i32 s15, s14, 36
	v_fma_f32 v1, -v6, v48, v1
	v_mov_b32_e32 v6, s15
	s_sub_i32 s15, s14, 44
	v_mov_b32_e32 v20, s15
	ds_read2_b32 v[4:5], v4 offset1:1
	ds_read2_b32 v[10:11], v6 offset1:1
	;; [unrolled: 1-line block ×3, first 2 shown]
	s_waitcnt lgkmcnt(3)
	v_fma_f32 v1, -v7, v3, v1
	v_fma_f32 v1, -v8, v2, v1
	s_sub_i32 s15, s14, 52
	s_waitcnt lgkmcnt(2)
	v_fma_f32 v1, -v9, v5, v1
	v_mov_b32_e32 v2, s15
	v_fma_f32 v1, -v12, v4, v1
	s_sub_i32 s15, s14, 60
	ds_read2_b32 v[2:3], v2 offset1:1
	s_waitcnt lgkmcnt(2)
	v_fma_f32 v1, -v13, v11, v1
	v_mov_b32_e32 v4, s15
	s_add_i32 s15, s14, 0xffffffbc
	v_fma_f32 v1, -v14, v10, v1
	v_mov_b32_e32 v6, s15
	s_add_i32 s15, s14, 0xffffffb4
	s_waitcnt lgkmcnt(1)
	v_fma_f32 v1, -v17, v45, v1
	v_mov_b32_e32 v8, s15
	v_fma_f32 v1, -v18, v44, v1
	ds_read2_b32 v[4:5], v4 offset1:1
	ds_read2_b32 v[6:7], v6 offset1:1
	;; [unrolled: 1-line block ×3, first 2 shown]
	s_waitcnt lgkmcnt(3)
	v_fma_f32 v1, -v21, v3, v1
	v_fma_f32 v1, -v22, v2, v1
	s_waitcnt lgkmcnt(2)
	v_fma_f32 v1, -v25, v5, v1
	s_add_i32 s15, s14, 0xffffffac
	v_fma_f32 v1, -v26, v4, v1
	v_mov_b32_e32 v2, s15
	s_waitcnt lgkmcnt(1)
	v_fma_f32 v1, -v29, v7, v1
	s_add_i32 s15, s14, 0xffffffa4
	ds_read2_b32 v[2:3], v2 offset1:1
	v_fma_f32 v1, -v31, v6, v1
	v_mov_b32_e32 v4, s15
	s_add_i32 s15, s14, 0xffffff9c
	s_waitcnt lgkmcnt(1)
	v_fma_f32 v1, -v34, v9, v1
	v_mov_b32_e32 v6, s15
	s_add_i32 s15, s14, 0xffffff94
	v_fma_f32 v1, -v37, v8, v1
	v_mov_b32_e32 v8, s15
	ds_read2_b32 v[4:5], v4 offset1:1
	ds_read2_b32 v[6:7], v6 offset1:1
	;; [unrolled: 1-line block ×3, first 2 shown]
	s_waitcnt lgkmcnt(3)
	v_fma_f32 v1, -v39, v3, v1
	v_fma_f32 v1, -v42, v2, v1
	s_addk_i32 s14, 0xff8c
	s_waitcnt lgkmcnt(2)
	v_fma_f32 v1, -v40, v5, v1
	v_mov_b32_e32 v2, s14
	v_fma_f32 v1, -v36, v4, v1
	s_addk_i32 s9, 0xef80
	ds_read2_b32 v[2:3], v2 offset1:1
	s_waitcnt lgkmcnt(2)
	v_fma_f32 v1, -v33, v7, v1
	v_mov_b32_e32 v4, s9
	ds_read2_b32 v[4:5], v4 offset1:1
	v_fma_f32 v1, -v30, v6, v1
	s_waitcnt lgkmcnt(2)
	v_fma_f32 v1, -v27, v9, v1
	v_fma_f32 v1, -v23, v8, v1
	s_waitcnt lgkmcnt(1)
	v_fma_f32 v1, -v19, v3, v1
	;; [unrolled: 3-line block ×3, first 2 shown]
	v_or_b32_e32 v2, s8, v0
	v_mul_f32_e32 v1, v4, v1
	v_lshlrev_b32_e32 v2, 2, v2
	s_sub_i32 s8, s26, 33
	ds_write_b32 v2, v1 offset:4096
.LBB38_30:
	s_cmp_gt_i32 s8, -1
	s_cbranch_scc0 .LBB38_49
; %bb.31:
	s_cmp_lt_u32 s8, 27
	s_cbranch_scc1 .LBB38_36
; %bb.32:
	s_lshl_b32 s15, s8, 5
	s_sub_i32 s43, s15, 64
	v_or_b32_e32 v2, s43, v0
	s_add_i32 s42, s15, 0xffffffa0
	v_lshlrev_b32_e32 v53, 2, v2
	v_or_b32_e32 v2, s42, v0
	s_add_i32 s41, s15, 0xffffff80
	v_lshlrev_b32_e32 v14, 2, v2
	v_or_b32_e32 v2, s41, v0
	s_add_i32 s40, s15, 0xffffff60
	v_or_b32_e32 v1, s15, v0
	s_sub_i32 s9, s15, 32
	v_lshlrev_b32_e32 v16, 2, v2
	v_or_b32_e32 v2, s40, v0
	s_add_i32 s39, s15, 0xffffff40
	v_lshlrev_b32_e32 v9, 2, v1
	v_or_b32_e32 v1, s9, v0
	v_lshlrev_b32_e32 v50, 2, v2
	v_or_b32_e32 v2, s39, v0
	s_add_i32 s38, s15, 0xffffff20
	v_lshlrev_b32_e32 v1, 2, v1
	v_lshlrev_b32_e32 v49, 2, v2
	v_or_b32_e32 v2, s38, v0
	s_add_i32 s37, s15, 0xffffff00
	v_lshlrev_b32_e32 v21, 2, v2
	ds_read_b32 v54, v9 offset:4096
	ds_read_b32 v10, v1 offset:4096
	;; [unrolled: 1-line block ×8, first 2 shown]
	v_or_b32_e32 v1, s37, v0
	s_add_i32 s36, s15, 0xfffffee0
	v_lshlrev_b32_e32 v22, 2, v1
	v_or_b32_e32 v1, s36, v0
	s_add_i32 s35, s15, 0xfffffec0
	v_lshlrev_b32_e32 v25, 2, v1
	;; [unrolled: 3-line block ×15, first 2 shown]
	v_or_b32_e32 v1, s19, v0
	ds_read_b32 v48, v22 offset:4096
	ds_read_b32 v47, v25 offset:4096
	;; [unrolled: 1-line block ×8, first 2 shown]
	v_lshlrev_b32_e32 v7, 2, v1
	ds_read_b32 v40, v36 offset:4096
	ds_read_b32 v38, v33 offset:4096
	;; [unrolled: 1-line block ×8, first 2 shown]
	s_add_i32 s18, s15, 0xfffffd00
	v_or_b32_e32 v1, s18, v0
	s_add_i32 s14, s15, 0xfffffce0
	s_add_i32 s9, s15, 0xfffffcc0
	s_addk_i32 s15, 0xfca0
	v_lshlrev_b32_e32 v5, 2, v1
	v_or_b32_e32 v1, s14, v0
	v_or_b32_e32 v2, s15, v0
	v_lshlrev_b32_e32 v4, 2, v1
	v_or_b32_e32 v1, s9, v0
	v_lshlrev_b32_e32 v2, 2, v2
	v_lshlrev_b32_e32 v1, 2, v1
	ds_read_b32 v8, v5 offset:4096
	ds_read_b32 v6, v4 offset:4096
	;; [unrolled: 1-line block ×4, first 2 shown]
	s_cmp_le_i32 s6, s8
	s_cbranch_scc1 .LBB38_35
; %bb.33:
	s_lshl_b32 s15, s8, 7
	s_lshl_b32 s44, s26, 2
	v_lshlrev_b32_e32 v55, 2, v0
	s_add_i32 s15, s15, s44
	v_lshl_or_b32 v55, s26, 7, v55
	s_addk_i32 s15, 0xf27c
	v_add_u32_e32 v55, 0xf80, v55
	s_mov_b32 s44, s6
.LBB38_34:                              ; =>This Inner Loop Header: Depth=1
	v_mov_b32_e32 v62, s15
	v_add_u32_e32 v66, 0xc00, v62
	v_add_u32_e32 v74, 0x800, v62
	;; [unrolled: 1-line block ×3, first 2 shown]
	ds_read_b32 v84, v55
	ds_read2_b32 v[56:57], v62 offset0:192 offset1:224
	ds_read2_b32 v[58:59], v62 offset0:128 offset1:160
	;; [unrolled: 1-line block ×3, first 2 shown]
	ds_read2_b32 v[62:63], v62 offset1:32
	ds_read2_b32 v[64:65], v66 offset0:64 offset1:96
	ds_read2_b32 v[66:67], v66 offset1:32
	ds_read2_b32 v[68:69], v74 offset0:192 offset1:224
	ds_read2_b32 v[70:71], v74 offset0:128 offset1:160
	;; [unrolled: 1-line block ×3, first 2 shown]
	ds_read2_b32 v[74:75], v74 offset1:32
	ds_read2_b32 v[76:77], v82 offset0:192 offset1:224
	ds_read2_b32 v[78:79], v82 offset0:128 offset1:160
	;; [unrolled: 1-line block ×3, first 2 shown]
	ds_read2_b32 v[82:83], v82 offset1:32
	s_add_i32 s44, s44, -1
	s_add_i32 s15, s15, -4
	v_add_u32_e32 v55, 0xffffff80, v55
	s_cmp_gt_i32 s44, s8
	s_waitcnt lgkmcnt(13)
	v_fma_f32 v27, -v84, v57, v27
	v_fma_f32 v24, -v84, v56, v24
	s_waitcnt lgkmcnt(12)
	v_fma_f32 v20, -v84, v59, v20
	v_fma_f32 v15, -v84, v58, v15
	;; [unrolled: 3-line block ×14, first 2 shown]
	s_cbranch_scc1 .LBB38_34
.LBB38_35:
	s_mul_i32 s15, s8, 0x84
	v_add_u32_e32 v55, 0x1000, v9
	v_mov_b32_e32 v9, s15
	s_add_i32 s43, s43, s8
	s_lshl_b32 s43, s43, 2
	ds_read_b32 v9, v9
	s_add_i32 s44, s15, 0xffffff7c
	v_mov_b32_e32 v58, s43
	s_add_i32 s43, s15, 0xfffffef8
	v_mov_b32_e32 v56, s44
	v_mov_b32_e32 v59, s43
	ds_read2_b32 v[56:57], v56 offset1:1
	ds_read_b32 v60, v58
	ds_read2_b32 v[58:59], v59 offset1:1
	s_waitcnt lgkmcnt(3)
	v_mul_f32_e32 v9, v9, v54
	s_add_i32 s42, s42, s8
	s_waitcnt lgkmcnt(2)
	v_fma_f32 v10, -v9, v57, v10
	v_mul_f32_e32 v10, v56, v10
	s_waitcnt lgkmcnt(1)
	v_fma_f32 v11, -v9, v60, v11
	s_lshl_b32 s43, s8, 7
	s_waitcnt lgkmcnt(0)
	v_fma_f32 v11, -v10, v59, v11
	s_lshl_b32 s42, s42, 2
	s_addk_i32 s43, 0xff80
	v_mul_f32_e32 v11, v58, v11
	s_add_i32 s42, s42, -4
	ds_write_b32 v55, v9
	v_lshl_or_b32 v54, v0, 2, s43
	ds_write_b32 v53, v11 offset:4096
	v_mov_b32_e32 v53, s42
	ds_write_b32 v54, v10 offset:4096
	ds_read2_b32 v[54:55], v53 offset1:1
	s_add_i32 s41, s41, s8
	s_add_i32 s42, s15, 0xfffffe74
	s_lshl_b32 s41, s41, 2
	v_mov_b32_e32 v56, s42
	v_mov_b32_e32 v58, s41
	s_add_i32 s41, s41, -8
	v_mov_b32_e32 v53, s41
	ds_read2_b32 v[56:57], v56 offset1:1
	ds_read_b32 v60, v58
	ds_read2_b32 v[58:59], v53 offset1:1
	s_waitcnt lgkmcnt(3)
	v_fma_f32 v12, -v9, v55, v12
	v_fma_f32 v12, -v10, v54, v12
	s_waitcnt lgkmcnt(2)
	v_fma_f32 v12, -v11, v57, v12
	v_mul_f32_e32 v12, v56, v12
	s_add_i32 s41, s15, 0xfffffdf0
	ds_write_b32 v14, v12 offset:4096
	s_waitcnt lgkmcnt(2)
	v_fma_f32 v14, -v9, v60, v52
	v_mov_b32_e32 v52, s41
	s_add_i32 s40, s40, s8
	s_lshl_b32 s40, s40, 2
	ds_read2_b32 v[52:53], v52 offset1:1
	s_add_i32 s41, s40, -4
	s_add_i32 s40, s40, -12
	s_waitcnt lgkmcnt(2)
	v_fma_f32 v14, -v10, v59, v14
	v_mov_b32_e32 v56, s40
	s_add_i32 s40, s15, 0xfffffd6c
	v_fma_f32 v14, -v11, v58, v14
	v_mov_b32_e32 v54, s41
	v_mov_b32_e32 v58, s40
	ds_read2_b32 v[54:55], v54 offset1:1
	ds_read2_b32 v[56:57], v56 offset1:1
	;; [unrolled: 1-line block ×3, first 2 shown]
	s_waitcnt lgkmcnt(3)
	v_fma_f32 v14, -v12, v53, v14
	v_mul_f32_e32 v14, v52, v14
	ds_write_b32 v16, v14 offset:4096
	s_waitcnt lgkmcnt(3)
	v_fma_f32 v16, -v9, v55, v51
	v_fma_f32 v16, -v10, v54, v16
	s_waitcnt lgkmcnt(2)
	v_fma_f32 v16, -v11, v57, v16
	v_fma_f32 v16, -v12, v56, v16
	s_add_i32 s39, s39, s8
	s_waitcnt lgkmcnt(1)
	v_fma_f32 v16, -v14, v59, v16
	s_lshl_b32 s39, s39, 2
	v_mul_f32_e32 v16, v58, v16
	s_add_i32 s40, s39, -4
	ds_write_b32 v50, v16 offset:4096
	v_mov_b32_e32 v50, s40
	ds_read2_b32 v[50:51], v50 offset1:1
	s_add_i32 s40, s39, -12
	s_sub_i32 s39, s39, 20
	v_mov_b32_e32 v52, s40
	v_mov_b32_e32 v54, s39
	ds_read2_b32 v[52:53], v52 offset1:1
	ds_read2_b32 v[54:55], v54 offset1:1
	s_waitcnt lgkmcnt(2)
	v_fma_f32 v17, -v9, v51, v17
	s_add_i32 s39, s15, 0xfffffce8
	v_fma_f32 v17, -v10, v50, v17
	v_mov_b32_e32 v50, s39
	ds_read_b32 v50, v50
	s_waitcnt lgkmcnt(2)
	v_fma_f32 v17, -v11, v53, v17
	v_fma_f32 v17, -v12, v52, v17
	s_waitcnt lgkmcnt(1)
	v_fma_f32 v17, -v14, v55, v17
	s_add_i32 s38, s38, s8
	v_fma_f32 v17, -v16, v54, v17
	s_lshl_b32 s38, s38, 2
	s_waitcnt lgkmcnt(0)
	v_mul_f32_e32 v17, v50, v17
	s_add_i32 s39, s38, -8
	ds_write_b32 v49, v17 offset:4096
	v_mov_b32_e32 v49, s38
	v_mov_b32_e32 v50, s39
	ds_read_b32 v49, v49
	ds_read2_b32 v[50:51], v50 offset1:1
	s_add_i32 s39, s38, -16
	s_sub_i32 s38, s38, 24
	v_mov_b32_e32 v52, s39
	v_mov_b32_e32 v54, s38
	ds_read2_b32 v[52:53], v52 offset1:1
	ds_read2_b32 v[54:55], v54 offset1:1
	s_waitcnt lgkmcnt(3)
	v_fma_f32 v18, -v9, v49, v18
	s_add_i32 s38, s15, 0xfffffc64
	s_waitcnt lgkmcnt(2)
	v_fma_f32 v18, -v10, v51, v18
	v_mov_b32_e32 v49, s38
	v_fma_f32 v18, -v11, v50, v18
	ds_read_b32 v49, v49
	s_waitcnt lgkmcnt(2)
	v_fma_f32 v18, -v12, v53, v18
	v_fma_f32 v18, -v14, v52, v18
	s_waitcnt lgkmcnt(1)
	v_fma_f32 v18, -v16, v55, v18
	s_add_i32 s37, s37, s8
	v_fma_f32 v18, -v17, v54, v18
	s_lshl_b32 s37, s37, 2
	s_waitcnt lgkmcnt(0)
	v_mul_f32_e32 v18, v49, v18
	s_add_i32 s38, s37, -4
	ds_write_b32 v21, v18 offset:4096
	v_mov_b32_e32 v21, s38
	ds_read2_b32 v[50:51], v21 offset1:1
	s_add_i32 s38, s37, -12
	v_mov_b32_e32 v49, s38
	s_sub_i32 s38, s37, 20
	v_mov_b32_e32 v54, s38
	s_sub_i32 s37, s37, 28
	v_mov_b32_e32 v21, s37
	ds_read2_b32 v[52:53], v49 offset1:1
	ds_read2_b32 v[54:55], v54 offset1:1
	;; [unrolled: 1-line block ×3, first 2 shown]
	s_waitcnt lgkmcnt(3)
	v_fma_f32 v21, -v9, v51, v48
	v_fma_f32 v21, -v10, v50, v21
	s_add_i32 s37, s15, 0xfffffbe0
	s_waitcnt lgkmcnt(2)
	v_fma_f32 v21, -v11, v53, v21
	v_mov_b32_e32 v48, s37
	v_fma_f32 v21, -v12, v52, v21
	ds_read_b32 v48, v48
	s_waitcnt lgkmcnt(2)
	v_fma_f32 v21, -v14, v55, v21
	v_fma_f32 v21, -v16, v54, v21
	s_waitcnt lgkmcnt(1)
	v_fma_f32 v21, -v17, v57, v21
	s_add_i32 s36, s36, s8
	v_fma_f32 v21, -v18, v56, v21
	s_lshl_b32 s36, s36, 2
	s_waitcnt lgkmcnt(0)
	v_mul_f32_e32 v21, v48, v21
	s_add_i32 s37, s36, -8
	ds_write_b32 v22, v21 offset:4096
	v_mov_b32_e32 v22, s36
	v_mov_b32_e32 v48, s37
	s_add_i32 s37, s36, -16
	ds_read_b32 v22, v22
	ds_read2_b32 v[48:49], v48 offset1:1
	v_mov_b32_e32 v50, s37
	s_sub_i32 s37, s36, 24
	v_mov_b32_e32 v52, s37
	ds_read2_b32 v[50:51], v50 offset1:1
	ds_read2_b32 v[52:53], v52 offset1:1
	s_waitcnt lgkmcnt(3)
	v_fma_f32 v22, -v9, v22, v47
	s_sub_i32 s36, s36, 32
	s_waitcnt lgkmcnt(2)
	v_fma_f32 v22, -v10, v49, v22
	v_mov_b32_e32 v47, s36
	v_fma_f32 v22, -v11, v48, v22
	ds_read2_b32 v[48:49], v47 offset1:1
	s_add_i32 s36, s15, 0xfffffb5c
	s_waitcnt lgkmcnt(2)
	v_fma_f32 v22, -v12, v51, v22
	v_mov_b32_e32 v47, s36
	v_fma_f32 v22, -v14, v50, v22
	ds_read_b32 v47, v47
	s_waitcnt lgkmcnt(2)
	v_fma_f32 v22, -v16, v53, v22
	v_fma_f32 v22, -v17, v52, v22
	s_waitcnt lgkmcnt(1)
	v_fma_f32 v22, -v18, v49, v22
	v_fma_f32 v22, -v21, v48, v22
	s_add_i32 s35, s35, s8
	s_waitcnt lgkmcnt(0)
	v_mul_f32_e32 v22, v47, v22
	s_lshl_b32 s35, s35, 2
	ds_write_b32 v25, v22 offset:4096
	v_mov_b32_e32 v25, s35
	s_add_i32 s36, s35, -8
	v_mov_b32_e32 v47, s36
	ds_read_b32 v25, v25
	ds_read2_b32 v[48:49], v47 offset1:1
	s_add_i32 s36, s35, -16
	v_mov_b32_e32 v50, s36
	s_sub_i32 s36, s35, 24
	v_mov_b32_e32 v47, s36
	ds_read2_b32 v[50:51], v50 offset1:1
	ds_read2_b32 v[52:53], v47 offset1:1
	s_waitcnt lgkmcnt(3)
	v_fma_f32 v25, -v9, v25, v46
	s_waitcnt lgkmcnt(2)
	v_fma_f32 v25, -v10, v49, v25
	s_sub_i32 s35, s35, 32
	v_fma_f32 v25, -v11, v48, v25
	v_mov_b32_e32 v46, s35
	s_add_i32 s34, s34, s8
	s_waitcnt lgkmcnt(1)
	v_fma_f32 v25, -v12, v51, v25
	s_add_i32 s35, s15, 0xfffffad8
	s_lshl_b32 s34, s34, 2
	ds_read2_b32 v[46:47], v46 offset1:1
	v_fma_f32 v25, -v14, v50, v25
	v_mov_b32_e32 v48, s35
	s_add_i32 s35, s34, -4
	s_waitcnt lgkmcnt(1)
	v_fma_f32 v25, -v16, v53, v25
	v_mov_b32_e32 v50, s35
	s_add_i32 s35, s34, -12
	v_fma_f32 v25, -v17, v52, v25
	v_mov_b32_e32 v52, s35
	ds_read2_b32 v[48:49], v48 offset1:1
	ds_read2_b32 v[50:51], v50 offset1:1
	;; [unrolled: 1-line block ×3, first 2 shown]
	s_waitcnt lgkmcnt(3)
	v_fma_f32 v25, -v18, v47, v25
	v_fma_f32 v25, -v21, v46, v25
	s_waitcnt lgkmcnt(2)
	v_fma_f32 v25, -v22, v49, v25
	v_mul_f32_e32 v25, v48, v25
	s_sub_i32 s35, s34, 20
	ds_write_b32 v26, v25 offset:4096
	s_waitcnt lgkmcnt(2)
	v_fma_f32 v26, -v9, v51, v45
	v_mov_b32_e32 v45, s35
	ds_read2_b32 v[46:47], v45 offset1:1
	v_fma_f32 v26, -v10, v50, v26
	s_sub_i32 s35, s34, 28
	s_sub_i32 s34, s34, 36
	s_waitcnt lgkmcnt(2)
	v_fma_f32 v26, -v11, v53, v26
	v_mov_b32_e32 v48, s35
	v_mov_b32_e32 v50, s34
	s_add_i32 s34, s15, 0xfffffa54
	v_fma_f32 v26, -v12, v52, v26
	v_mov_b32_e32 v45, s34
	ds_read2_b32 v[48:49], v48 offset1:1
	ds_read2_b32 v[50:51], v50 offset1:1
	;; [unrolled: 1-line block ×3, first 2 shown]
	s_waitcnt lgkmcnt(3)
	v_fma_f32 v26, -v14, v47, v26
	v_fma_f32 v26, -v16, v46, v26
	s_waitcnt lgkmcnt(2)
	v_fma_f32 v26, -v17, v49, v26
	v_fma_f32 v26, -v18, v48, v26
	;; [unrolled: 3-line block ×3, first 2 shown]
	s_add_i32 s33, s33, s8
	s_waitcnt lgkmcnt(0)
	v_fma_f32 v26, -v25, v53, v26
	s_lshl_b32 s33, s33, 2
	v_mul_f32_e32 v26, v52, v26
	s_add_i32 s34, s33, -8
	ds_write_b32 v44, v26 offset:4096
	v_mov_b32_e32 v44, s33
	v_mov_b32_e32 v45, s34
	s_add_i32 s34, s33, -16
	ds_read_b32 v50, v44
	ds_read2_b32 v[44:45], v45 offset1:1
	v_mov_b32_e32 v46, s34
	s_sub_i32 s34, s33, 24
	v_mov_b32_e32 v48, s34
	ds_read2_b32 v[46:47], v46 offset1:1
	ds_read2_b32 v[48:49], v48 offset1:1
	s_waitcnt lgkmcnt(3)
	v_fma_f32 v29, -v9, v50, v29
	s_waitcnt lgkmcnt(2)
	v_fma_f32 v29, -v10, v45, v29
	v_fma_f32 v29, -v11, v44, v29
	s_sub_i32 s34, s33, 32
	s_waitcnt lgkmcnt(1)
	v_fma_f32 v29, -v12, v47, v29
	v_mov_b32_e32 v44, s34
	v_fma_f32 v29, -v14, v46, v29
	s_sub_i32 s33, s33, 40
	s_add_i32 s31, s31, s8
	ds_read2_b32 v[44:45], v44 offset1:1
	s_waitcnt lgkmcnt(1)
	v_fma_f32 v29, -v16, v49, v29
	v_mov_b32_e32 v46, s33
	s_add_i32 s33, s15, 0xfffff9d0
	s_lshl_b32 s31, s31, 2
	v_fma_f32 v29, -v17, v48, v29
	v_mov_b32_e32 v48, s33
	s_add_i32 s33, s31, -4
	v_mov_b32_e32 v50, s33
	ds_read2_b32 v[46:47], v46 offset1:1
	ds_read2_b32 v[48:49], v48 offset1:1
	ds_read2_b32 v[50:51], v50 offset1:1
	s_waitcnt lgkmcnt(3)
	v_fma_f32 v29, -v18, v45, v29
	v_fma_f32 v29, -v21, v44, v29
	s_waitcnt lgkmcnt(2)
	v_fma_f32 v29, -v22, v47, v29
	v_fma_f32 v29, -v25, v46, v29
	s_waitcnt lgkmcnt(1)
	v_fma_f32 v29, -v26, v49, v29
	v_mul_f32_e32 v29, v48, v29
	s_add_i32 s33, s31, -12
	ds_write_b32 v32, v29 offset:4096
	s_waitcnt lgkmcnt(1)
	v_fma_f32 v32, -v9, v51, v43
	v_mov_b32_e32 v43, s33
	ds_read2_b32 v[44:45], v43 offset1:1
	s_sub_i32 s33, s31, 20
	v_mov_b32_e32 v46, s33
	s_sub_i32 s33, s31, 28
	v_mov_b32_e32 v48, s33
	s_sub_i32 s33, s31, 36
	v_fma_f32 v32, -v10, v50, v32
	v_mov_b32_e32 v43, s33
	ds_read2_b32 v[46:47], v46 offset1:1
	ds_read2_b32 v[48:49], v48 offset1:1
	;; [unrolled: 1-line block ×3, first 2 shown]
	s_waitcnt lgkmcnt(3)
	v_fma_f32 v32, -v11, v45, v32
	v_fma_f32 v32, -v12, v44, v32
	s_sub_i32 s31, s31, 44
	s_waitcnt lgkmcnt(2)
	v_fma_f32 v32, -v14, v47, v32
	v_mov_b32_e32 v43, s31
	v_fma_f32 v32, -v16, v46, v32
	ds_read2_b32 v[44:45], v43 offset1:1
	s_waitcnt lgkmcnt(2)
	v_fma_f32 v32, -v17, v49, v32
	s_add_i32 s30, s30, s8
	v_fma_f32 v32, -v18, v48, v32
	s_add_i32 s31, s15, 0xfffff94c
	s_lshl_b32 s30, s30, 2
	s_waitcnt lgkmcnt(1)
	v_fma_f32 v32, -v21, v51, v32
	v_mov_b32_e32 v46, s31
	v_mov_b32_e32 v48, s30
	s_add_i32 s31, s30, -8
	v_fma_f32 v32, -v22, v50, v32
	v_mov_b32_e32 v43, s31
	ds_read2_b32 v[46:47], v46 offset1:1
	ds_read_b32 v50, v48
	ds_read2_b32 v[48:49], v43 offset1:1
	s_waitcnt lgkmcnt(3)
	v_fma_f32 v32, -v25, v45, v32
	v_fma_f32 v32, -v26, v44, v32
	s_waitcnt lgkmcnt(2)
	v_fma_f32 v32, -v29, v47, v32
	v_mul_f32_e32 v32, v46, v32
	s_add_i32 s31, s30, -16
	ds_write_b32 v34, v32 offset:4096
	s_waitcnt lgkmcnt(2)
	v_fma_f32 v34, -v9, v50, v42
	v_mov_b32_e32 v42, s31
	s_sub_i32 s31, s30, 24
	ds_read2_b32 v[42:43], v42 offset1:1
	v_mov_b32_e32 v44, s31
	s_sub_i32 s31, s30, 32
	s_waitcnt lgkmcnt(2)
	v_fma_f32 v34, -v10, v49, v34
	v_mov_b32_e32 v46, s31
	s_sub_i32 s31, s30, 40
	v_fma_f32 v34, -v11, v48, v34
	v_mov_b32_e32 v48, s31
	ds_read2_b32 v[44:45], v44 offset1:1
	ds_read2_b32 v[46:47], v46 offset1:1
	;; [unrolled: 1-line block ×3, first 2 shown]
	s_waitcnt lgkmcnt(3)
	v_fma_f32 v34, -v12, v43, v34
	v_fma_f32 v34, -v14, v42, v34
	s_waitcnt lgkmcnt(2)
	v_fma_f32 v34, -v16, v45, v34
	s_sub_i32 s30, s30, 48
	v_fma_f32 v34, -v17, v44, v34
	v_mov_b32_e32 v42, s30
	s_add_i32 s29, s29, s8
	s_waitcnt lgkmcnt(1)
	v_fma_f32 v34, -v18, v47, v34
	s_add_i32 s30, s15, 0xfffff8c8
	s_lshl_b32 s29, s29, 2
	ds_read2_b32 v[42:43], v42 offset1:1
	v_fma_f32 v34, -v21, v46, v34
	v_mov_b32_e32 v44, s30
	s_add_i32 s30, s29, -4
	s_waitcnt lgkmcnt(1)
	v_fma_f32 v34, -v22, v49, v34
	v_mov_b32_e32 v46, s30
	s_add_i32 s30, s29, -12
	v_fma_f32 v34, -v25, v48, v34
	v_mov_b32_e32 v48, s30
	ds_read2_b32 v[44:45], v44 offset1:1
	ds_read2_b32 v[46:47], v46 offset1:1
	ds_read2_b32 v[48:49], v48 offset1:1
	s_waitcnt lgkmcnt(3)
	v_fma_f32 v34, -v26, v43, v34
	v_fma_f32 v34, -v29, v42, v34
	s_waitcnt lgkmcnt(2)
	v_fma_f32 v34, -v32, v45, v34
	v_mul_f32_e32 v34, v44, v34
	s_sub_i32 s30, s29, 20
	ds_write_b32 v37, v34 offset:4096
	s_waitcnt lgkmcnt(2)
	v_fma_f32 v37, -v9, v47, v41
	v_mov_b32_e32 v41, s30
	ds_read2_b32 v[42:43], v41 offset1:1
	s_sub_i32 s30, s29, 28
	v_fma_f32 v37, -v10, v46, v37
	v_mov_b32_e32 v44, s30
	s_sub_i32 s30, s29, 36
	s_waitcnt lgkmcnt(2)
	v_fma_f32 v37, -v11, v49, v37
	v_mov_b32_e32 v46, s30
	s_sub_i32 s30, s29, 44
	v_fma_f32 v37, -v12, v48, v37
	v_mov_b32_e32 v41, s30
	ds_read2_b32 v[44:45], v44 offset1:1
	ds_read2_b32 v[46:47], v46 offset1:1
	ds_read2_b32 v[48:49], v41 offset1:1
	s_waitcnt lgkmcnt(3)
	v_fma_f32 v37, -v14, v43, v37
	v_fma_f32 v37, -v16, v42, v37
	s_sub_i32 s29, s29, 52
	s_waitcnt lgkmcnt(2)
	v_fma_f32 v37, -v17, v45, v37
	v_mov_b32_e32 v41, s29
	v_fma_f32 v37, -v18, v44, v37
	ds_read2_b32 v[42:43], v41 offset1:1
	s_waitcnt lgkmcnt(2)
	v_fma_f32 v37, -v21, v47, v37
	s_add_i32 s28, s28, s8
	v_fma_f32 v37, -v22, v46, v37
	s_add_i32 s29, s15, 0xfffff844
	s_lshl_b32 s28, s28, 2
	s_waitcnt lgkmcnt(1)
	v_fma_f32 v37, -v25, v49, v37
	v_mov_b32_e32 v44, s29
	v_mov_b32_e32 v46, s28
	s_add_i32 s29, s28, -8
	v_fma_f32 v37, -v26, v48, v37
	v_mov_b32_e32 v41, s29
	ds_read2_b32 v[44:45], v44 offset1:1
	ds_read_b32 v48, v46
	ds_read2_b32 v[46:47], v41 offset1:1
	s_waitcnt lgkmcnt(3)
	v_fma_f32 v37, -v29, v43, v37
	v_fma_f32 v37, -v32, v42, v37
	s_waitcnt lgkmcnt(2)
	v_fma_f32 v37, -v34, v45, v37
	v_mul_f32_e32 v37, v44, v37
	s_add_i32 s29, s28, -16
	ds_write_b32 v39, v37 offset:4096
	s_waitcnt lgkmcnt(2)
	v_fma_f32 v39, -v9, v48, v40
	v_mov_b32_e32 v40, s29
	s_sub_i32 s29, s28, 24
	ds_read2_b32 v[40:41], v40 offset1:1
	v_mov_b32_e32 v42, s29
	s_sub_i32 s29, s28, 32
	s_waitcnt lgkmcnt(2)
	v_fma_f32 v39, -v10, v47, v39
	v_mov_b32_e32 v44, s29
	s_sub_i32 s29, s28, 40
	v_fma_f32 v39, -v11, v46, v39
	v_mov_b32_e32 v46, s29
	ds_read2_b32 v[42:43], v42 offset1:1
	ds_read2_b32 v[44:45], v44 offset1:1
	;; [unrolled: 1-line block ×3, first 2 shown]
	s_waitcnt lgkmcnt(3)
	v_fma_f32 v39, -v12, v41, v39
	v_fma_f32 v39, -v14, v40, v39
	s_waitcnt lgkmcnt(2)
	v_fma_f32 v39, -v16, v43, v39
	s_sub_i32 s29, s28, 48
	v_fma_f32 v39, -v17, v42, v39
	v_mov_b32_e32 v40, s29
	s_waitcnt lgkmcnt(1)
	v_fma_f32 v39, -v18, v45, v39
	s_sub_i32 s28, s28, 56
	s_add_i32 s27, s27, s8
	ds_read2_b32 v[40:41], v40 offset1:1
	v_fma_f32 v39, -v21, v44, v39
	v_mov_b32_e32 v42, s28
	s_add_i32 s28, s15, 0xfffff7c0
	s_lshl_b32 s27, s27, 2
	s_waitcnt lgkmcnt(1)
	v_fma_f32 v39, -v22, v47, v39
	v_mov_b32_e32 v44, s28
	s_add_i32 s28, s27, -4
	v_fma_f32 v39, -v25, v46, v39
	v_mov_b32_e32 v46, s28
	ds_read2_b32 v[42:43], v42 offset1:1
	ds_read2_b32 v[44:45], v44 offset1:1
	;; [unrolled: 1-line block ×3, first 2 shown]
	s_waitcnt lgkmcnt(3)
	v_fma_f32 v39, -v26, v41, v39
	v_fma_f32 v39, -v29, v40, v39
	s_waitcnt lgkmcnt(2)
	v_fma_f32 v39, -v32, v43, v39
	v_fma_f32 v39, -v34, v42, v39
	s_waitcnt lgkmcnt(1)
	v_fma_f32 v39, -v37, v45, v39
	v_mul_f32_e32 v39, v44, v39
	s_add_i32 s28, s27, -12
	ds_write_b32 v36, v39 offset:4096
	s_waitcnt lgkmcnt(1)
	v_fma_f32 v36, -v9, v47, v38
	v_mov_b32_e32 v38, s28
	ds_read2_b32 v[40:41], v38 offset1:1
	s_sub_i32 s28, s27, 20
	v_mov_b32_e32 v42, s28
	s_sub_i32 s28, s27, 28
	v_mov_b32_e32 v44, s28
	s_sub_i32 s28, s27, 36
	v_fma_f32 v36, -v10, v46, v36
	v_mov_b32_e32 v38, s28
	ds_read2_b32 v[42:43], v42 offset1:1
	ds_read2_b32 v[44:45], v44 offset1:1
	ds_read2_b32 v[46:47], v38 offset1:1
	s_waitcnt lgkmcnt(3)
	v_fma_f32 v36, -v11, v41, v36
	v_fma_f32 v36, -v12, v40, v36
	s_sub_i32 s28, s27, 44
	s_waitcnt lgkmcnt(2)
	v_fma_f32 v36, -v14, v43, v36
	v_mov_b32_e32 v38, s28
	v_fma_f32 v36, -v16, v42, v36
	ds_read2_b32 v[40:41], v38 offset1:1
	s_waitcnt lgkmcnt(2)
	v_fma_f32 v36, -v17, v45, v36
	v_fma_f32 v36, -v18, v44, v36
	s_sub_i32 s28, s27, 52
	s_sub_i32 s27, s27, 60
	s_waitcnt lgkmcnt(1)
	v_fma_f32 v36, -v21, v47, v36
	v_mov_b32_e32 v42, s28
	v_mov_b32_e32 v44, s27
	s_add_i32 s27, s15, 0xfffff73c
	v_fma_f32 v36, -v22, v46, v36
	v_mov_b32_e32 v38, s27
	ds_read2_b32 v[42:43], v42 offset1:1
	ds_read2_b32 v[44:45], v44 offset1:1
	;; [unrolled: 1-line block ×3, first 2 shown]
	s_waitcnt lgkmcnt(3)
	v_fma_f32 v36, -v25, v41, v36
	v_fma_f32 v36, -v26, v40, v36
	s_waitcnt lgkmcnt(2)
	v_fma_f32 v36, -v29, v43, v36
	v_fma_f32 v36, -v32, v42, v36
	;; [unrolled: 3-line block ×3, first 2 shown]
	s_waitcnt lgkmcnt(0)
	v_fma_f32 v36, -v39, v47, v36
	s_add_i32 s25, s25, s8
	v_mul_f32_e32 v36, v46, v36
	s_lshl_b32 s25, s25, 2
	ds_write_b32 v33, v36 offset:4096
	v_mov_b32_e32 v33, s25
	s_add_i32 s27, s25, -8
	v_mov_b32_e32 v38, s27
	ds_read_b32 v33, v33
	ds_read2_b32 v[40:41], v38 offset1:1
	s_add_i32 s27, s25, -16
	v_mov_b32_e32 v42, s27
	s_sub_i32 s27, s25, 24
	v_mov_b32_e32 v38, s27
	ds_read2_b32 v[42:43], v42 offset1:1
	ds_read2_b32 v[44:45], v38 offset1:1
	s_waitcnt lgkmcnt(3)
	v_fma_f32 v33, -v9, v33, v35
	s_waitcnt lgkmcnt(2)
	v_fma_f32 v33, -v10, v41, v33
	s_sub_i32 s27, s25, 32
	v_fma_f32 v33, -v11, v40, v33
	v_mov_b32_e32 v35, s27
	s_waitcnt lgkmcnt(1)
	v_fma_f32 v33, -v12, v43, v33
	ds_read2_b32 v[40:41], v35 offset1:1
	v_fma_f32 v33, -v14, v42, v33
	s_sub_i32 s27, s25, 40
	s_waitcnt lgkmcnt(1)
	v_fma_f32 v33, -v16, v45, v33
	v_mov_b32_e32 v38, s27
	s_sub_i32 s27, s25, 48
	v_fma_f32 v33, -v17, v44, v33
	v_mov_b32_e32 v44, s27
	s_sub_i32 s27, s25, 56
	v_mov_b32_e32 v35, s27
	ds_read2_b32 v[42:43], v38 offset1:1
	ds_read2_b32 v[44:45], v44 offset1:1
	ds_read2_b32 v[46:47], v35 offset1:1
	s_waitcnt lgkmcnt(3)
	v_fma_f32 v33, -v18, v41, v33
	v_fma_f32 v33, -v21, v40, v33
	s_sub_i32 s25, s25, 64
	s_waitcnt lgkmcnt(2)
	v_fma_f32 v33, -v22, v43, v33
	v_mov_b32_e32 v35, s25
	v_fma_f32 v33, -v25, v42, v33
	s_add_i32 s24, s24, s8
	ds_read2_b32 v[40:41], v35 offset1:1
	s_waitcnt lgkmcnt(2)
	v_fma_f32 v33, -v26, v45, v33
	s_add_i32 s25, s15, 0xfffff6b8
	s_lshl_b32 s24, s24, 2
	v_fma_f32 v33, -v29, v44, v33
	v_mov_b32_e32 v38, s25
	s_add_i32 s25, s24, -4
	s_waitcnt lgkmcnt(1)
	v_fma_f32 v33, -v32, v47, v33
	v_mov_b32_e32 v44, s25
	s_add_i32 s25, s24, -12
	v_fma_f32 v33, -v34, v46, v33
	v_mov_b32_e32 v35, s25
	ds_read2_b32 v[42:43], v38 offset1:1
	ds_read2_b32 v[44:45], v44 offset1:1
	;; [unrolled: 1-line block ×3, first 2 shown]
	s_waitcnt lgkmcnt(3)
	v_fma_f32 v33, -v37, v41, v33
	v_fma_f32 v33, -v39, v40, v33
	s_waitcnt lgkmcnt(2)
	v_fma_f32 v33, -v36, v43, v33
	v_mul_f32_e32 v33, v42, v33
	ds_write_b32 v30, v33 offset:4096
	s_waitcnt lgkmcnt(2)
	v_fma_f32 v30, -v9, v45, v31
	v_fma_f32 v30, -v10, v44, v30
	s_waitcnt lgkmcnt(1)
	v_fma_f32 v30, -v11, v47, v30
	s_sub_i32 s25, s24, 20
	v_fma_f32 v35, -v12, v46, v30
	v_mov_b32_e32 v30, s25
	s_sub_i32 s25, s24, 28
	ds_read2_b32 v[30:31], v30 offset1:1
	v_mov_b32_e32 v38, s25
	s_sub_i32 s25, s24, 36
	v_mov_b32_e32 v42, s25
	s_sub_i32 s25, s24, 44
	v_mov_b32_e32 v44, s25
	ds_read2_b32 v[40:41], v38 offset1:1
	ds_read2_b32 v[42:43], v42 offset1:1
	ds_read2_b32 v[44:45], v44 offset1:1
	s_waitcnt lgkmcnt(3)
	v_fma_f32 v31, -v14, v31, v35
	v_fma_f32 v30, -v16, v30, v31
	s_waitcnt lgkmcnt(2)
	v_fma_f32 v30, -v17, v41, v30
	v_fma_f32 v30, -v18, v40, v30
	;; [unrolled: 3-line block ×3, first 2 shown]
	s_waitcnt lgkmcnt(0)
	v_fma_f32 v30, -v25, v45, v30
	s_sub_i32 s25, s24, 52
	v_fma_f32 v35, -v26, v44, v30
	v_mov_b32_e32 v30, s25
	ds_read2_b32 v[30:31], v30 offset1:1
	s_sub_i32 s25, s24, 60
	s_addk_i32 s24, 0xffbc
	v_mov_b32_e32 v42, s24
	s_add_i32 s24, s15, 0xfffff634
	v_mov_b32_e32 v38, s25
	v_mov_b32_e32 v44, s24
	ds_read2_b32 v[40:41], v38 offset1:1
	ds_read2_b32 v[42:43], v42 offset1:1
	;; [unrolled: 1-line block ×3, first 2 shown]
	s_waitcnt lgkmcnt(3)
	v_fma_f32 v31, -v29, v31, v35
	v_fma_f32 v30, -v32, v30, v31
	s_waitcnt lgkmcnt(2)
	v_fma_f32 v30, -v34, v41, v30
	v_fma_f32 v30, -v37, v40, v30
	;; [unrolled: 3-line block ×3, first 2 shown]
	s_waitcnt lgkmcnt(0)
	v_fma_f32 v30, -v33, v45, v30
	s_add_i32 s23, s23, s8
	v_mul_f32_e32 v30, v44, v30
	s_lshl_b32 s23, s23, 2
	ds_write_b32 v28, v30 offset:4096
	v_mov_b32_e32 v28, s23
	s_add_i32 s24, s23, -8
	v_mov_b32_e32 v31, s24
	ds_read_b32 v28, v28
	ds_read2_b32 v[40:41], v31 offset1:1
	s_add_i32 s24, s23, -16
	v_mov_b32_e32 v35, s24
	s_sub_i32 s24, s23, 24
	v_mov_b32_e32 v31, s24
	ds_read2_b32 v[42:43], v35 offset1:1
	ds_read2_b32 v[44:45], v31 offset1:1
	s_waitcnt lgkmcnt(3)
	v_fma_f32 v27, -v9, v28, v27
	s_sub_i32 s24, s23, 32
	s_waitcnt lgkmcnt(2)
	v_fma_f32 v27, -v10, v41, v27
	v_mov_b32_e32 v28, s24
	v_fma_f32 v27, -v11, v40, v27
	ds_read2_b32 v[40:41], v28 offset1:1
	s_waitcnt lgkmcnt(2)
	v_fma_f32 v27, -v12, v43, v27
	s_sub_i32 s24, s23, 40
	v_fma_f32 v27, -v14, v42, v27
	v_mov_b32_e32 v31, s24
	s_sub_i32 s24, s23, 48
	s_waitcnt lgkmcnt(1)
	v_fma_f32 v27, -v16, v45, v27
	v_mov_b32_e32 v35, s24
	s_sub_i32 s24, s23, 56
	v_fma_f32 v27, -v17, v44, v27
	v_mov_b32_e32 v28, s24
	ds_read2_b32 v[42:43], v31 offset1:1
	ds_read2_b32 v[44:45], v35 offset1:1
	;; [unrolled: 1-line block ×3, first 2 shown]
	s_waitcnt lgkmcnt(3)
	v_fma_f32 v27, -v18, v41, v27
	v_fma_f32 v27, -v21, v40, v27
	s_sub_i32 s24, s23, 64
	s_waitcnt lgkmcnt(2)
	v_fma_f32 v27, -v22, v43, v27
	v_mov_b32_e32 v28, s24
	v_fma_f32 v27, -v25, v42, v27
	ds_read2_b32 v[40:41], v28 offset1:1
	s_waitcnt lgkmcnt(2)
	v_fma_f32 v27, -v26, v45, v27
	s_addk_i32 s23, 0xffb8
	s_add_i32 s21, s21, s8
	v_fma_f32 v27, -v29, v44, v27
	v_mov_b32_e32 v31, s23
	s_add_i32 s23, s15, 0xfffff5b0
	s_lshl_b32 s21, s21, 2
	s_waitcnt lgkmcnt(1)
	v_fma_f32 v27, -v32, v47, v27
	v_mov_b32_e32 v35, s23
	s_add_i32 s23, s21, -4
	v_fma_f32 v27, -v34, v46, v27
	v_mov_b32_e32 v28, s23
	ds_read2_b32 v[42:43], v31 offset1:1
	ds_read2_b32 v[44:45], v35 offset1:1
	;; [unrolled: 1-line block ×3, first 2 shown]
	s_waitcnt lgkmcnt(3)
	v_fma_f32 v27, -v37, v41, v27
	v_fma_f32 v27, -v39, v40, v27
	s_waitcnt lgkmcnt(2)
	v_fma_f32 v27, -v36, v43, v27
	v_fma_f32 v27, -v33, v42, v27
	s_waitcnt lgkmcnt(1)
	v_fma_f32 v27, -v30, v45, v27
	v_mul_f32_e32 v27, v44, v27
	s_add_i32 s23, s21, -12
	ds_write_b32 v23, v27 offset:4096
	s_waitcnt lgkmcnt(1)
	v_fma_f32 v23, -v9, v47, v24
	v_mov_b32_e32 v24, s23
	ds_read2_b32 v[40:41], v24 offset1:1
	s_sub_i32 s23, s21, 20
	v_mov_b32_e32 v28, s23
	s_sub_i32 s23, s21, 28
	v_mov_b32_e32 v31, s23
	s_sub_i32 s23, s21, 36
	v_fma_f32 v23, -v10, v46, v23
	v_mov_b32_e32 v24, s23
	ds_read2_b32 v[42:43], v28 offset1:1
	ds_read2_b32 v[44:45], v31 offset1:1
	ds_read2_b32 v[46:47], v24 offset1:1
	s_waitcnt lgkmcnt(3)
	v_fma_f32 v23, -v11, v41, v23
	v_fma_f32 v23, -v12, v40, v23
	s_sub_i32 s23, s21, 44
	s_waitcnt lgkmcnt(2)
	v_fma_f32 v23, -v14, v43, v23
	v_mov_b32_e32 v24, s23
	v_fma_f32 v23, -v16, v42, v23
	ds_read2_b32 v[40:41], v24 offset1:1
	s_waitcnt lgkmcnt(2)
	v_fma_f32 v23, -v17, v45, v23
	s_sub_i32 s23, s21, 52
	v_fma_f32 v23, -v18, v44, v23
	v_mov_b32_e32 v28, s23
	s_sub_i32 s23, s21, 60
	s_waitcnt lgkmcnt(1)
	v_fma_f32 v23, -v21, v47, v23
	v_mov_b32_e32 v31, s23
	s_add_i32 s23, s21, 0xffffffbc
	v_fma_f32 v23, -v22, v46, v23
	v_mov_b32_e32 v24, s23
	ds_read2_b32 v[42:43], v28 offset1:1
	ds_read2_b32 v[44:45], v31 offset1:1
	;; [unrolled: 1-line block ×3, first 2 shown]
	s_waitcnt lgkmcnt(3)
	v_fma_f32 v23, -v25, v41, v23
	v_fma_f32 v23, -v26, v40, v23
	s_addk_i32 s21, 0xffb4
	s_waitcnt lgkmcnt(2)
	v_fma_f32 v23, -v29, v43, v23
	v_mov_b32_e32 v24, s21
	v_fma_f32 v23, -v32, v42, v23
	ds_read2_b32 v[40:41], v24 offset1:1
	s_waitcnt lgkmcnt(2)
	v_fma_f32 v23, -v34, v45, v23
	s_add_i32 s20, s20, s8
	v_fma_f32 v23, -v37, v44, v23
	s_add_i32 s21, s15, 0xfffff52c
	s_lshl_b32 s20, s20, 2
	s_waitcnt lgkmcnt(1)
	v_fma_f32 v23, -v39, v47, v23
	v_mov_b32_e32 v28, s21
	s_add_i32 s21, s20, -8
	v_fma_f32 v23, -v36, v46, v23
	v_mov_b32_e32 v31, s20
	v_mov_b32_e32 v24, s21
	ds_read2_b32 v[42:43], v28 offset1:1
	ds_read_b32 v28, v31
	ds_read2_b32 v[44:45], v24 offset1:1
	s_waitcnt lgkmcnt(3)
	v_fma_f32 v23, -v33, v41, v23
	v_fma_f32 v23, -v30, v40, v23
	s_waitcnt lgkmcnt(2)
	v_fma_f32 v23, -v27, v43, v23
	v_mul_f32_e32 v23, v42, v23
	s_add_i32 s21, s20, -16
	ds_write_b32 v19, v23 offset:4096
	s_waitcnt lgkmcnt(2)
	v_fma_f32 v19, -v9, v28, v20
	v_mov_b32_e32 v20, s21
	ds_read2_b32 v[40:41], v20 offset1:1
	s_sub_i32 s21, s20, 24
	v_mov_b32_e32 v24, s21
	s_sub_i32 s21, s20, 32
	s_waitcnt lgkmcnt(2)
	v_fma_f32 v19, -v10, v45, v19
	v_mov_b32_e32 v28, s21
	s_sub_i32 s21, s20, 40
	v_fma_f32 v19, -v11, v44, v19
	v_mov_b32_e32 v20, s21
	ds_read2_b32 v[42:43], v24 offset1:1
	ds_read2_b32 v[44:45], v28 offset1:1
	;; [unrolled: 1-line block ×3, first 2 shown]
	s_waitcnt lgkmcnt(3)
	v_fma_f32 v19, -v12, v41, v19
	v_fma_f32 v19, -v14, v40, v19
	s_sub_i32 s21, s20, 48
	s_waitcnt lgkmcnt(2)
	v_fma_f32 v19, -v16, v43, v19
	v_mov_b32_e32 v20, s21
	v_fma_f32 v19, -v17, v42, v19
	ds_read2_b32 v[40:41], v20 offset1:1
	s_waitcnt lgkmcnt(2)
	v_fma_f32 v19, -v18, v45, v19
	s_sub_i32 s21, s20, 56
	v_fma_f32 v19, -v21, v44, v19
	v_mov_b32_e32 v24, s21
	s_sub_i32 s21, s20, 64
	s_waitcnt lgkmcnt(1)
	v_fma_f32 v19, -v22, v47, v19
	v_mov_b32_e32 v28, s21
	s_add_i32 s21, s20, 0xffffffb8
	v_fma_f32 v19, -v25, v46, v19
	v_mov_b32_e32 v20, s21
	ds_read2_b32 v[42:43], v24 offset1:1
	ds_read2_b32 v[44:45], v28 offset1:1
	;; [unrolled: 1-line block ×3, first 2 shown]
	s_waitcnt lgkmcnt(3)
	v_fma_f32 v19, -v26, v41, v19
	v_fma_f32 v19, -v29, v40, v19
	s_addk_i32 s20, 0xffb0
	s_waitcnt lgkmcnt(2)
	v_fma_f32 v19, -v32, v43, v19
	v_mov_b32_e32 v20, s20
	v_fma_f32 v19, -v34, v42, v19
	s_add_i32 s19, s19, s8
	ds_read2_b32 v[40:41], v20 offset1:1
	s_waitcnt lgkmcnt(2)
	v_fma_f32 v19, -v37, v45, v19
	s_add_i32 s20, s15, 0xfffff4a8
	s_lshl_b32 s19, s19, 2
	v_fma_f32 v19, -v39, v44, v19
	v_mov_b32_e32 v24, s20
	s_add_i32 s20, s19, -4
	s_waitcnt lgkmcnt(1)
	v_fma_f32 v19, -v36, v47, v19
	v_mov_b32_e32 v28, s20
	s_add_i32 s20, s19, -12
	v_fma_f32 v19, -v33, v46, v19
	v_mov_b32_e32 v20, s20
	ds_read2_b32 v[42:43], v24 offset1:1
	ds_read2_b32 v[44:45], v28 offset1:1
	;; [unrolled: 1-line block ×3, first 2 shown]
	s_waitcnt lgkmcnt(3)
	v_fma_f32 v19, -v30, v41, v19
	v_fma_f32 v19, -v27, v40, v19
	s_waitcnt lgkmcnt(2)
	v_fma_f32 v19, -v23, v43, v19
	v_mul_f32_e32 v19, v42, v19
	s_sub_i32 s20, s19, 20
	ds_write_b32 v13, v19 offset:4096
	s_waitcnt lgkmcnt(2)
	v_fma_f32 v13, -v9, v45, v15
	v_mov_b32_e32 v15, s20
	ds_read2_b32 v[40:41], v15 offset1:1
	s_sub_i32 s20, s19, 28
	v_fma_f32 v13, -v10, v44, v13
	v_mov_b32_e32 v20, s20
	s_sub_i32 s20, s19, 36
	s_waitcnt lgkmcnt(2)
	v_fma_f32 v13, -v11, v47, v13
	v_mov_b32_e32 v24, s20
	s_sub_i32 s20, s19, 44
	v_fma_f32 v13, -v12, v46, v13
	v_mov_b32_e32 v15, s20
	ds_read2_b32 v[42:43], v20 offset1:1
	ds_read2_b32 v[44:45], v24 offset1:1
	;; [unrolled: 1-line block ×3, first 2 shown]
	s_waitcnt lgkmcnt(3)
	v_fma_f32 v13, -v14, v41, v13
	v_fma_f32 v13, -v16, v40, v13
	s_sub_i32 s20, s19, 52
	s_waitcnt lgkmcnt(2)
	v_fma_f32 v13, -v17, v43, v13
	v_mov_b32_e32 v15, s20
	v_fma_f32 v13, -v18, v42, v13
	ds_read2_b32 v[40:41], v15 offset1:1
	s_waitcnt lgkmcnt(2)
	v_fma_f32 v13, -v21, v45, v13
	s_sub_i32 s20, s19, 60
	v_fma_f32 v13, -v22, v44, v13
	v_mov_b32_e32 v20, s20
	s_add_i32 s20, s19, 0xffffffbc
	s_waitcnt lgkmcnt(1)
	v_fma_f32 v13, -v25, v47, v13
	v_mov_b32_e32 v24, s20
	s_add_i32 s20, s19, 0xffffffb4
	v_fma_f32 v13, -v26, v46, v13
	v_mov_b32_e32 v15, s20
	ds_read2_b32 v[42:43], v20 offset1:1
	ds_read2_b32 v[44:45], v24 offset1:1
	;; [unrolled: 1-line block ×3, first 2 shown]
	s_waitcnt lgkmcnt(3)
	v_fma_f32 v13, -v29, v41, v13
	v_fma_f32 v13, -v32, v40, v13
	s_addk_i32 s19, 0xffac
	s_waitcnt lgkmcnt(2)
	v_fma_f32 v13, -v34, v43, v13
	v_mov_b32_e32 v15, s19
	v_fma_f32 v13, -v37, v42, v13
	ds_read2_b32 v[40:41], v15 offset1:1
	s_waitcnt lgkmcnt(2)
	v_fma_f32 v13, -v39, v45, v13
	s_add_i32 s18, s18, s8
	v_fma_f32 v13, -v36, v44, v13
	s_add_i32 s19, s15, 0xfffff424
	s_lshl_b32 s18, s18, 2
	s_waitcnt lgkmcnt(1)
	v_fma_f32 v13, -v33, v47, v13
	v_mov_b32_e32 v20, s19
	s_add_i32 s19, s18, -8
	v_fma_f32 v13, -v30, v46, v13
	v_mov_b32_e32 v24, s18
	v_mov_b32_e32 v15, s19
	ds_read2_b32 v[42:43], v20 offset1:1
	ds_read_b32 v20, v24
	ds_read2_b32 v[44:45], v15 offset1:1
	s_waitcnt lgkmcnt(3)
	v_fma_f32 v13, -v27, v41, v13
	v_fma_f32 v13, -v23, v40, v13
	s_waitcnt lgkmcnt(2)
	v_fma_f32 v13, -v19, v43, v13
	v_mul_f32_e32 v13, v42, v13
	s_add_i32 s19, s18, -16
	ds_write_b32 v7, v13 offset:4096
	s_waitcnt lgkmcnt(2)
	v_fma_f32 v7, -v9, v20, v8
	v_mov_b32_e32 v8, s19
	ds_read2_b32 v[40:41], v8 offset1:1
	s_sub_i32 s19, s18, 24
	v_mov_b32_e32 v15, s19
	s_sub_i32 s19, s18, 32
	s_waitcnt lgkmcnt(2)
	v_fma_f32 v7, -v10, v45, v7
	v_mov_b32_e32 v20, s19
	s_sub_i32 s19, s18, 40
	v_fma_f32 v7, -v11, v44, v7
	v_mov_b32_e32 v8, s19
	ds_read2_b32 v[42:43], v15 offset1:1
	ds_read2_b32 v[44:45], v20 offset1:1
	;; [unrolled: 1-line block ×3, first 2 shown]
	s_waitcnt lgkmcnt(3)
	v_fma_f32 v7, -v12, v41, v7
	v_fma_f32 v7, -v14, v40, v7
	s_sub_i32 s19, s18, 48
	s_waitcnt lgkmcnt(2)
	v_fma_f32 v7, -v16, v43, v7
	v_mov_b32_e32 v8, s19
	v_fma_f32 v7, -v17, v42, v7
	ds_read2_b32 v[40:41], v8 offset1:1
	s_waitcnt lgkmcnt(2)
	v_fma_f32 v7, -v18, v45, v7
	s_sub_i32 s19, s18, 56
	v_fma_f32 v7, -v21, v44, v7
	v_mov_b32_e32 v15, s19
	s_sub_i32 s19, s18, 64
	s_waitcnt lgkmcnt(1)
	v_fma_f32 v7, -v22, v47, v7
	v_mov_b32_e32 v20, s19
	s_add_i32 s19, s18, 0xffffffb8
	v_fma_f32 v7, -v25, v46, v7
	v_mov_b32_e32 v8, s19
	ds_read2_b32 v[42:43], v15 offset1:1
	ds_read2_b32 v[44:45], v20 offset1:1
	;; [unrolled: 1-line block ×3, first 2 shown]
	s_waitcnt lgkmcnt(3)
	v_fma_f32 v7, -v26, v41, v7
	v_fma_f32 v7, -v29, v40, v7
	s_add_i32 s19, s18, 0xffffffb0
	s_waitcnt lgkmcnt(2)
	v_fma_f32 v7, -v32, v43, v7
	v_mov_b32_e32 v8, s19
	v_fma_f32 v7, -v34, v42, v7
	ds_read2_b32 v[40:41], v8 offset1:1
	s_waitcnt lgkmcnt(2)
	v_fma_f32 v7, -v37, v45, v7
	s_addk_i32 s18, 0xffa8
	s_add_i32 s14, s14, s8
	v_fma_f32 v7, -v39, v44, v7
	v_mov_b32_e32 v15, s18
	s_add_i32 s18, s15, 0xfffff3a0
	s_lshl_b32 s14, s14, 2
	s_waitcnt lgkmcnt(1)
	v_fma_f32 v7, -v36, v47, v7
	v_mov_b32_e32 v20, s18
	s_add_i32 s18, s14, -4
	v_fma_f32 v7, -v33, v46, v7
	v_mov_b32_e32 v8, s18
	ds_read2_b32 v[42:43], v15 offset1:1
	ds_read2_b32 v[44:45], v20 offset1:1
	;; [unrolled: 1-line block ×3, first 2 shown]
	s_waitcnt lgkmcnt(3)
	v_fma_f32 v7, -v30, v41, v7
	v_fma_f32 v7, -v27, v40, v7
	s_waitcnt lgkmcnt(2)
	v_fma_f32 v7, -v23, v43, v7
	v_fma_f32 v7, -v19, v42, v7
	s_waitcnt lgkmcnt(1)
	v_fma_f32 v7, -v13, v45, v7
	v_mul_f32_e32 v15, v44, v7
	s_add_i32 s18, s14, -12
	ds_write_b32 v5, v15 offset:4096
	s_waitcnt lgkmcnt(1)
	v_fma_f32 v5, -v9, v47, v6
	v_mov_b32_e32 v6, s18
	ds_read2_b32 v[6:7], v6 offset1:1
	s_sub_i32 s18, s14, 20
	v_mov_b32_e32 v8, s18
	s_sub_i32 s18, s14, 28
	v_mov_b32_e32 v20, s18
	s_sub_i32 s18, s14, 36
	v_fma_f32 v5, -v10, v46, v5
	v_mov_b32_e32 v24, s18
	ds_read2_b32 v[40:41], v8 offset1:1
	ds_read2_b32 v[42:43], v20 offset1:1
	;; [unrolled: 1-line block ×3, first 2 shown]
	s_waitcnt lgkmcnt(3)
	v_fma_f32 v5, -v11, v7, v5
	v_fma_f32 v5, -v12, v6, v5
	s_sub_i32 s18, s14, 44
	s_waitcnt lgkmcnt(2)
	v_fma_f32 v5, -v14, v41, v5
	v_mov_b32_e32 v6, s18
	v_fma_f32 v5, -v16, v40, v5
	ds_read2_b32 v[6:7], v6 offset1:1
	s_waitcnt lgkmcnt(2)
	v_fma_f32 v5, -v17, v43, v5
	s_sub_i32 s18, s14, 52
	v_fma_f32 v5, -v18, v42, v5
	v_mov_b32_e32 v8, s18
	s_sub_i32 s18, s14, 60
	s_waitcnt lgkmcnt(1)
	v_fma_f32 v5, -v21, v45, v5
	v_mov_b32_e32 v20, s18
	s_add_i32 s18, s14, 0xffffffbc
	v_fma_f32 v5, -v22, v44, v5
	v_mov_b32_e32 v24, s18
	ds_read2_b32 v[40:41], v8 offset1:1
	ds_read2_b32 v[42:43], v20 offset1:1
	;; [unrolled: 1-line block ×3, first 2 shown]
	s_waitcnt lgkmcnt(3)
	v_fma_f32 v5, -v25, v7, v5
	v_fma_f32 v5, -v26, v6, v5
	s_add_i32 s18, s14, 0xffffffb4
	s_waitcnt lgkmcnt(2)
	v_fma_f32 v5, -v29, v41, v5
	v_mov_b32_e32 v6, s18
	v_fma_f32 v5, -v32, v40, v5
	ds_read2_b32 v[6:7], v6 offset1:1
	s_waitcnt lgkmcnt(2)
	v_fma_f32 v5, -v34, v43, v5
	v_fma_f32 v5, -v37, v42, v5
	s_add_i32 s18, s14, 0xffffffac
	s_addk_i32 s14, 0xffa4
	s_waitcnt lgkmcnt(1)
	v_fma_f32 v5, -v39, v45, v5
	v_mov_b32_e32 v8, s18
	v_mov_b32_e32 v20, s14
	s_add_i32 s14, s15, 0xfffff31c
	v_fma_f32 v5, -v36, v44, v5
	v_mov_b32_e32 v24, s14
	ds_read2_b32 v[40:41], v8 offset1:1
	ds_read2_b32 v[42:43], v20 offset1:1
	;; [unrolled: 1-line block ×3, first 2 shown]
	s_waitcnt lgkmcnt(3)
	v_fma_f32 v5, -v33, v7, v5
	v_fma_f32 v5, -v30, v6, v5
	s_waitcnt lgkmcnt(2)
	v_fma_f32 v5, -v27, v41, v5
	v_fma_f32 v5, -v23, v40, v5
	;; [unrolled: 3-line block ×3, first 2 shown]
	s_add_i32 s9, s9, s8
	s_waitcnt lgkmcnt(0)
	v_fma_f32 v5, -v15, v45, v5
	s_lshl_b32 s9, s9, 2
	v_mul_f32_e32 v20, v44, v5
	s_add_i32 s14, s9, -8
	ds_write_b32 v4, v20 offset:4096
	v_mov_b32_e32 v4, s9
	v_mov_b32_e32 v5, s14
	ds_read_b32 v8, v4
	ds_read2_b32 v[4:5], v5 offset1:1
	s_add_i32 s14, s9, -16
	v_mov_b32_e32 v6, s14
	s_sub_i32 s14, s9, 24
	v_mov_b32_e32 v24, s14
	ds_read2_b32 v[6:7], v6 offset1:1
	ds_read2_b32 v[40:41], v24 offset1:1
	s_waitcnt lgkmcnt(3)
	v_fma_f32 v3, -v9, v8, v3
	s_waitcnt lgkmcnt(2)
	v_fma_f32 v3, -v10, v5, v3
	s_sub_i32 s14, s9, 32
	v_fma_f32 v3, -v11, v4, v3
	v_mov_b32_e32 v4, s14
	ds_read2_b32 v[4:5], v4 offset1:1
	s_waitcnt lgkmcnt(2)
	v_fma_f32 v3, -v12, v7, v3
	s_sub_i32 s14, s9, 40
	v_fma_f32 v3, -v14, v6, v3
	v_mov_b32_e32 v6, s14
	s_sub_i32 s14, s9, 48
	s_waitcnt lgkmcnt(1)
	v_fma_f32 v3, -v16, v41, v3
	v_mov_b32_e32 v8, s14
	s_sub_i32 s14, s9, 56
	v_fma_f32 v3, -v17, v40, v3
	v_mov_b32_e32 v24, s14
	ds_read2_b32 v[6:7], v6 offset1:1
	ds_read2_b32 v[40:41], v8 offset1:1
	;; [unrolled: 1-line block ×3, first 2 shown]
	s_waitcnt lgkmcnt(3)
	v_fma_f32 v3, -v18, v5, v3
	v_fma_f32 v3, -v21, v4, v3
	s_sub_i32 s14, s9, 64
	s_waitcnt lgkmcnt(2)
	v_fma_f32 v3, -v22, v7, v3
	v_mov_b32_e32 v4, s14
	v_fma_f32 v3, -v25, v6, v3
	ds_read2_b32 v[4:5], v4 offset1:1
	s_waitcnt lgkmcnt(2)
	v_fma_f32 v3, -v26, v41, v3
	s_add_i32 s14, s9, 0xffffffb8
	v_fma_f32 v3, -v29, v40, v3
	v_mov_b32_e32 v6, s14
	s_add_i32 s14, s9, 0xffffffb0
	s_waitcnt lgkmcnt(1)
	v_fma_f32 v3, -v32, v43, v3
	v_mov_b32_e32 v8, s14
	s_add_i32 s14, s9, 0xffffffa8
	v_fma_f32 v3, -v34, v42, v3
	v_mov_b32_e32 v24, s14
	ds_read2_b32 v[6:7], v6 offset1:1
	ds_read2_b32 v[40:41], v8 offset1:1
	;; [unrolled: 1-line block ×3, first 2 shown]
	s_waitcnt lgkmcnt(3)
	v_fma_f32 v3, -v37, v5, v3
	v_fma_f32 v3, -v39, v4, v3
	s_addk_i32 s9, 0xffa0
	s_waitcnt lgkmcnt(2)
	v_fma_f32 v3, -v36, v7, v3
	v_mov_b32_e32 v4, s9
	s_add_i32 s9, s15, 0xfffff298
	v_fma_f32 v3, -v33, v6, v3
	v_mov_b32_e32 v6, s9
	s_sub_i32 s9, s8, 27
	s_lshl_b32 s9, s9, 5
	s_add_i32 s14, s9, s8
	ds_read2_b32 v[4:5], v4 offset1:1
	s_waitcnt lgkmcnt(2)
	v_fma_f32 v3, -v30, v41, v3
	s_lshl_b32 s14, s14, 2
	v_fma_f32 v3, -v27, v40, v3
	s_add_i32 s18, s14, -4
	s_waitcnt lgkmcnt(1)
	v_fma_f32 v3, -v23, v43, v3
	v_mov_b32_e32 v8, s18
	s_add_i32 s18, s14, -12
	v_fma_f32 v3, -v19, v42, v3
	v_mov_b32_e32 v24, s18
	ds_read2_b32 v[6:7], v6 offset1:1
	ds_read2_b32 v[40:41], v8 offset1:1
	;; [unrolled: 1-line block ×3, first 2 shown]
	s_waitcnt lgkmcnt(3)
	v_fma_f32 v3, -v13, v5, v3
	v_fma_f32 v3, -v15, v4, v3
	s_waitcnt lgkmcnt(2)
	v_fma_f32 v3, -v20, v7, v3
	v_mul_f32_e32 v24, v6, v3
	s_sub_i32 s18, s14, 20
	ds_write_b32 v1, v24 offset:4096
	s_waitcnt lgkmcnt(2)
	v_fma_f32 v1, -v9, v41, v2
	v_mov_b32_e32 v2, s18
	s_sub_i32 s18, s14, 28
	ds_read2_b32 v[2:3], v2 offset1:1
	v_mov_b32_e32 v4, s18
	s_sub_i32 s18, s14, 36
	v_fma_f32 v1, -v10, v40, v1
	v_mov_b32_e32 v6, s18
	s_sub_i32 s18, s14, 44
	s_waitcnt lgkmcnt(2)
	v_fma_f32 v1, -v11, v43, v1
	v_mov_b32_e32 v8, s18
	v_fma_f32 v1, -v12, v42, v1
	ds_read2_b32 v[4:5], v4 offset1:1
	ds_read2_b32 v[6:7], v6 offset1:1
	;; [unrolled: 1-line block ×3, first 2 shown]
	s_waitcnt lgkmcnt(3)
	v_fma_f32 v1, -v14, v3, v1
	v_fma_f32 v1, -v16, v2, v1
	s_waitcnt lgkmcnt(2)
	v_fma_f32 v1, -v17, v5, v1
	s_sub_i32 s18, s14, 52
	v_fma_f32 v1, -v18, v4, v1
	v_mov_b32_e32 v2, s18
	s_waitcnt lgkmcnt(1)
	v_fma_f32 v1, -v21, v7, v1
	s_sub_i32 s18, s14, 60
	ds_read2_b32 v[2:3], v2 offset1:1
	v_fma_f32 v1, -v22, v6, v1
	v_mov_b32_e32 v4, s18
	s_add_i32 s18, s14, 0xffffffbc
	s_waitcnt lgkmcnt(1)
	v_fma_f32 v1, -v25, v9, v1
	v_mov_b32_e32 v6, s18
	s_add_i32 s18, s14, 0xffffffb4
	v_fma_f32 v1, -v26, v8, v1
	v_mov_b32_e32 v8, s18
	ds_read2_b32 v[4:5], v4 offset1:1
	ds_read2_b32 v[6:7], v6 offset1:1
	;; [unrolled: 1-line block ×3, first 2 shown]
	s_waitcnt lgkmcnt(3)
	v_fma_f32 v1, -v29, v3, v1
	v_fma_f32 v1, -v32, v2, v1
	s_waitcnt lgkmcnt(2)
	v_fma_f32 v1, -v34, v5, v1
	s_add_i32 s18, s14, 0xffffffac
	v_fma_f32 v1, -v37, v4, v1
	v_mov_b32_e32 v2, s18
	s_waitcnt lgkmcnt(1)
	v_fma_f32 v1, -v39, v7, v1
	ds_read2_b32 v[2:3], v2 offset1:1
	v_fma_f32 v1, -v36, v6, v1
	s_add_i32 s18, s14, 0xffffffa4
	s_addk_i32 s14, 0xff9c
	s_waitcnt lgkmcnt(1)
	v_fma_f32 v1, -v33, v9, v1
	v_mov_b32_e32 v6, s14
	s_add_i32 s14, s15, 0xfffff214
	v_fma_f32 v1, -v30, v8, v1
	v_mov_b32_e32 v4, s18
	v_mov_b32_e32 v8, s14
	ds_read2_b32 v[4:5], v4 offset1:1
	ds_read2_b32 v[6:7], v6 offset1:1
	;; [unrolled: 1-line block ×3, first 2 shown]
	s_waitcnt lgkmcnt(3)
	v_fma_f32 v1, -v27, v3, v1
	v_fma_f32 v1, -v23, v2, v1
	s_waitcnt lgkmcnt(2)
	v_fma_f32 v1, -v19, v5, v1
	v_fma_f32 v1, -v13, v4, v1
	;; [unrolled: 3-line block ×3, first 2 shown]
	s_waitcnt lgkmcnt(0)
	v_fma_f32 v1, -v24, v9, v1
	v_or_b32_e32 v2, s9, v0
	v_mul_f32_e32 v1, v8, v1
	v_lshlrev_b32_e32 v2, 2, v2
	s_sub_i32 s8, s8, 28
	ds_write_b32 v2, v1 offset:4096
.LBB38_36:
	s_cmp_lt_i32 s8, 0
	s_cbranch_scc1 .LBB38_49
; %bb.37:
	s_bitcmp1_b32 s8, 0
	s_cselect_b64 s[14:15], -1, 0
	s_and_b64 vcc, exec, s[14:15]
	s_mov_b32 s9, s8
	s_cbranch_vccnz .LBB38_42
; %bb.38:
	v_lshlrev_b32_e32 v3, 2, v0
	v_lshl_or_b32 v2, s8, 7, v3
	ds_read_b32 v1, v2 offset:4096
	s_cmp_le_i32 s6, s8
	s_cbranch_scc1 .LBB38_41
; %bb.39:
	s_lshl_b32 s9, s8, 7
	s_lshl_b32 s14, s26, 2
	s_add_i32 s9, s9, s14
	v_lshl_or_b32 v3, s26, 7, v3
	s_add_i32 s9, s9, -4
	v_add_u32_e32 v3, 0xf80, v3
	s_mov_b32 s14, s6
.LBB38_40:                              ; =>This Inner Loop Header: Depth=1
	v_mov_b32_e32 v5, s9
	ds_read_b32 v4, v3
	ds_read_b32 v5, v5
	s_add_i32 s14, s14, -1
	s_add_i32 s9, s9, -4
	v_add_u32_e32 v3, 0xffffff80, v3
	s_cmp_gt_i32 s14, s8
	s_waitcnt lgkmcnt(0)
	v_fma_f32 v1, -v4, v5, v1
	s_cbranch_scc1 .LBB38_40
.LBB38_41:
	s_mul_i32 s9, s8, 0x84
	v_mov_b32_e32 v3, s9
	ds_read_b32 v3, v3
	v_add_u32_e32 v2, 0x1000, v2
	s_add_i32 s9, s8, -1
	s_waitcnt lgkmcnt(0)
	v_mul_f32_e32 v1, v3, v1
	ds_write_b32 v2, v1
.LBB38_42:
	s_cmp_eq_u32 s8, 0
	s_cbranch_scc1 .LBB38_49
; %bb.43:
	s_lshl_b32 s8, s9, 7
	s_lshl_b32 s14, s26, 2
	v_lshlrev_b32_e32 v1, 2, v0
	s_add_i32 s14, s8, s14
	v_lshl_or_b32 v2, s26, 7, v1
	s_add_i32 s8, s14, -4
	v_add_u32_e32 v2, 0xf80, v2
	s_addk_i32 s14, 0xff7c
	s_branch .LBB38_45
.LBB38_44:                              ;   in Loop: Header=BB38_45 Depth=1
	s_addk_i32 s15, 0xff7c
	v_add_u32_e32 v4, 0x1000, v5
	v_mov_b32_e32 v5, s15
	ds_read_b32 v5, v5
	s_add_i32 s15, s9, -2
	s_addk_i32 s8, 0xff00
	s_addk_i32 s14, 0xff00
	s_cmp_lt_i32 s9, 2
	s_waitcnt lgkmcnt(0)
	v_mul_f32_e32 v3, v5, v3
	s_mov_b32 s9, s15
	ds_write_b32 v4, v3
	s_cbranch_scc1 .LBB38_49
.LBB38_45:                              ; =>This Loop Header: Depth=1
                                        ;     Child Loop BB38_46 Depth 2
                                        ;     Child Loop BB38_48 Depth 2
	v_lshl_or_b32 v3, s9, 7, v1
	ds_read_b32 v4, v3 offset:4096
	s_cmp_le_i32 s6, s9
	v_mov_b32_e32 v5, v2
	s_mov_b32 s15, s8
	s_mov_b32 s18, s6
	s_cbranch_scc1 .LBB38_47
.LBB38_46:                              ;   Parent Loop BB38_45 Depth=1
                                        ; =>  This Inner Loop Header: Depth=2
	v_mov_b32_e32 v7, s15
	ds_read_b32 v6, v5
	ds_read_b32 v7, v7
	s_add_i32 s18, s18, -1
	s_add_i32 s15, s15, -4
	v_add_u32_e32 v5, 0xffffff80, v5
	s_cmp_gt_i32 s18, s9
	s_waitcnt lgkmcnt(0)
	v_fma_f32 v4, -v6, v7, v4
	s_cbranch_scc1 .LBB38_46
.LBB38_47:                              ;   in Loop: Header=BB38_45 Depth=1
	s_mul_i32 s15, s9, 0x84
	v_add_u32_e32 v6, 0x1000, v3
	v_mov_b32_e32 v3, s15
	s_lshl_b32 s18, s9, 7
	ds_read_b32 v7, v3
	s_addk_i32 s18, 0xff80
	v_lshl_or_b32 v5, v0, 2, s18
	ds_read_b32 v3, v5 offset:4096
	s_cmp_le_i32 s26, s9
	s_waitcnt lgkmcnt(1)
	v_mul_f32_e32 v4, v7, v4
	ds_write_b32 v6, v4
	v_mov_b32_e32 v4, v2
	s_mov_b32 s18, s14
	s_mov_b32 s19, s26
	s_cbranch_scc1 .LBB38_44
.LBB38_48:                              ;   Parent Loop BB38_45 Depth=1
                                        ; =>  This Inner Loop Header: Depth=2
	v_mov_b32_e32 v7, s18
	ds_read_b32 v6, v4
	ds_read_b32 v7, v7
	s_add_i32 s19, s19, -1
	s_add_i32 s18, s18, -4
	v_add_u32_e32 v4, 0xffffff80, v4
	s_cmp_gt_i32 s19, s9
	s_waitcnt lgkmcnt(0)
	v_fma_f32 v3, -v6, v7, v3
	s_cbranch_scc1 .LBB38_48
	s_branch .LBB38_44
.LBB38_49:
	s_mov_b64 s[8:9], 0
.LBB38_50:
	s_and_b64 vcc, exec, s[8:9]
	s_cbranch_vccz .LBB38_75
; %bb.51:
	s_cmp_gt_i32 s10, 31
	s_cselect_b64 s[8:9], -1, 0
	s_mov_b32 s6, 0
	s_and_b64 vcc, exec, s[8:9]
	s_cbranch_vccz .LBB38_53
; %bb.52:
	v_lshlrev_b32_e32 v1, 2, v0
	v_add_u32_e32 v49, 0x1000, v1
	ds_read2_b32 v[6:7], v49 offset1:32
	ds_read2_b32 v[8:9], v49 offset0:64 offset1:96
	ds_read2_b32 v[64:65], v49 offset0:128 offset1:160
	;; [unrolled: 1-line block ×3, first 2 shown]
	v_add_u32_e32 v48, 0x1400, v1
	v_add_u32_e32 v80, 0x1800, v1
	;; [unrolled: 1-line block ×3, first 2 shown]
	v_mov_b32_e32 v74, 0
	ds_read2_b32 v[38:39], v48 offset1:32
	ds_read2_b32 v[36:37], v48 offset0:64 offset1:96
	ds_read2_b32 v[34:35], v48 offset0:128 offset1:160
	ds_read2_b32 v[32:33], v48 offset0:192 offset1:224
	ds_read2_b32 v[30:31], v80 offset1:32
	ds_read2_b32 v[28:29], v80 offset0:64 offset1:96
	ds_read2_b32 v[26:27], v80 offset0:128 offset1:160
	;; [unrolled: 1-line block ×3, first 2 shown]
	ds_read2_b32 v[56:57], v1 offset1:32
	ds_read_b128 v[2:5], v74
	ds_read2_b32 v[54:55], v1 offset0:64 offset1:96
	ds_read2_b32 v[52:53], v1 offset0:128 offset1:160
	;; [unrolled: 1-line block ×3, first 2 shown]
	ds_read_b128 v[14:17], v74 offset:16
	ds_read2_b32 v[10:11], v74 offset0:33 offset1:34
	s_waitcnt lgkmcnt(5)
	v_mul_f32_e32 v75, v2, v6
	v_fma_f32 v6, -v75, v3, v7
	ds_read2_b32 v[2:3], v74 offset0:35 offset1:36
	ds_read2_b32 v[22:23], v74 offset0:37 offset1:38
	;; [unrolled: 1-line block ×3, first 2 shown]
	ds_read2_b64 v[60:63], v74 offset0:33 offset1:34
	s_waitcnt lgkmcnt(4)
	v_mul_f32_e32 v76, v10, v6
	v_fma_f32 v4, -v75, v4, v8
	v_fma_f32 v4, -v76, v11, v4
	ds_read2_b64 v[10:13], v74 offset0:35 offset1:36
	s_waitcnt lgkmcnt(1)
	v_mul_f32_e32 v77, v60, v4
	v_fma_f32 v4, -v75, v5, v9
	v_fma_f32 v2, -v76, v2, v4
	ds_read2_b32 v[4:5], v74 offset0:99 offset1:100
	ds_write2_b32 v49, v75, v76 offset1:32
	v_fma_f32 v2, -v77, v61, v2
	ds_read2_b32 v[24:25], v74 offset0:101 offset1:102
	ds_read2_b32 v[44:45], v74 offset0:103 offset1:104
	;; [unrolled: 1-line block ×3, first 2 shown]
	ds_read_b128 v[18:21], v74 offset:528
	ds_read_b128 v[6:9], v74 offset:544
	s_waitcnt lgkmcnt(6)
	v_mul_f32_e32 v78, v4, v2
	v_fma_f32 v2, -v75, v14, v64
	v_fma_f32 v2, -v76, v3, v2
	;; [unrolled: 1-line block ×4, first 2 shown]
	s_waitcnt lgkmcnt(1)
	v_mul_f32_e32 v79, v18, v2
	v_fma_f32 v2, -v75, v15, v65
	ds_read2_b32 v[14:15], v74 offset0:165 offset1:166
	v_fma_f32 v2, -v76, v22, v2
	v_fma_f32 v2, -v77, v63, v2
	;; [unrolled: 1-line block ×4, first 2 shown]
	ds_read_b128 v[2:5], v74 offset:624
	s_waitcnt lgkmcnt(1)
	v_mul_f32_e32 v81, v14, v18
	v_fma_f32 v14, -v75, v16, v46
	v_fma_f32 v14, -v76, v23, v14
	ds_read2_b64 v[60:63], v74 offset0:99 offset1:100
	v_fma_f32 v10, -v77, v10, v14
	v_fma_f32 v10, -v78, v25, v10
	v_fma_f32 v10, -v79, v20, v10
	v_fma_f32 v10, -v81, v15, v10
	s_waitcnt lgkmcnt(0)
	v_mul_f32_e32 v82, v60, v10
	v_fma_f32 v10, -v75, v17, v47
	v_fma_f32 v10, -v76, v42, v10
	;; [unrolled: 1-line block ×3, first 2 shown]
	ds_read2_b64 v[22:25], v74 offset0:101 offset1:102
	v_fma_f32 v14, -v78, v44, v10
	ds_read2_b32 v[10:11], v74 offset0:167 offset1:168
	v_fma_f32 v18, -v79, v21, v14
	ds_write2_b32 v49, v77, v78 offset0:64 offset1:96
	ds_write2_b32 v49, v79, v81 offset0:128 offset1:160
	ds_read2_b32 v[46:47], v74 offset0:169 offset1:170
	ds_read2_b32 v[16:17], v74 offset0:171 offset1:172
	;; [unrolled: 1-line block ×3, first 2 shown]
	s_waitcnt lgkmcnt(5)
	v_fma_f32 v10, -v81, v10, v18
	v_fma_f32 v10, -v82, v61, v10
	ds_read2_b32 v[64:65], v74 offset0:231 offset1:232
	ds_read_b128 v[18:21], v74 offset:32
	ds_read2_b32 v[66:67], v74 offset0:233 offset1:234
	ds_read2_b32 v[72:73], v74 offset0:235 offset1:236
	ds_read_b64 v[60:61], v74 offset:888
	s_waitcnt lgkmcnt(4)
	v_mul_f32_e32 v83, v64, v10
	s_waitcnt lgkmcnt(3)
	v_fma_f32 v10, -v75, v18, v38
	v_fma_f32 v10, -v76, v43, v10
	;; [unrolled: 1-line block ×5, first 2 shown]
	ds_read_b128 v[42:45], v74 offset:1056
	ds_read_b128 v[68:71], v74 offset:48
	v_fma_f32 v6, -v81, v11, v6
	ds_read2_b32 v[10:11], v74 offset0:41 offset1:42
	v_fma_f32 v6, -v82, v62, v6
	v_fma_f32 v6, -v83, v65, v6
	ds_read2_b32 v[64:65], v74 offset0:253 offset1:254
	s_waitcnt lgkmcnt(3)
	v_mul_f32_e32 v84, v42, v6
	v_fma_f32 v6, -v75, v19, v39
	s_waitcnt lgkmcnt(1)
	v_fma_f32 v6, -v76, v10, v6
	v_fma_f32 v6, -v77, v13, v6
	;; [unrolled: 1-line block ×7, first 2 shown]
	ds_write2_b32 v49, v82, v83 offset0:192 offset1:224
	v_fma_f32 v10, -v84, v43, v6
	v_mov_b32_e32 v6, 0x4a4
	ds_read2_b32 v[18:19], v74 offset0:43 offset1:44
	ds_read2_b32 v[100:101], v74 offset0:45 offset1:46
	;; [unrolled: 1-line block ×3, first 2 shown]
	ds_read2_b32 v[6:7], v6 offset1:1
	v_mov_b32_e32 v12, 0x4ac
	ds_read2_b32 v[102:103], v12 offset1:1
	ds_read_b64 v[62:63], v74 offset:3960
	ds_read_b32 v85, v74 offset:4092
	ds_read2_b64 v[88:91], v74 offset0:37 offset1:38
	ds_read2_b64 v[92:95], v74 offset0:39 offset1:40
	s_waitcnt lgkmcnt(5)
	v_mul_f32_e32 v86, v6, v10
	v_fma_f32 v6, -v75, v20, v36
	v_fma_f32 v6, -v76, v11, v6
	s_waitcnt lgkmcnt(1)
	v_fma_f32 v6, -v77, v88, v6
	v_fma_f32 v6, -v78, v41, v6
	;; [unrolled: 1-line block ×4, first 2 shown]
	ds_read2_b64 v[38:41], v74 offset0:165 offset1:166
	v_fma_f32 v6, -v82, v22, v6
	v_fma_f32 v6, -v83, v67, v6
	;; [unrolled: 1-line block ×4, first 2 shown]
	ds_read_b128 v[10:13], v74 offset:1136
	s_waitcnt lgkmcnt(1)
	v_mul_f32_e32 v87, v38, v6
	v_fma_f32 v6, -v75, v21, v37
	ds_read2_b32 v[20:21], v74 offset0:107 offset1:108
	v_fma_f32 v6, -v76, v18, v6
	v_fma_f32 v6, -v77, v89, v6
	ds_write2_b32 v48, v84, v86 offset1:32
	v_mov_b32_e32 v7, 0x5ac
	s_waitcnt lgkmcnt(1)
	v_fma_f32 v6, -v78, v20, v6
	v_fma_f32 v6, -v79, v9, v6
	;; [unrolled: 1-line block ×3, first 2 shown]
	ds_read2_b32 v[46:47], v74 offset0:109 offset1:110
	ds_read2_b32 v[114:115], v74 offset0:111 offset1:112
	;; [unrolled: 1-line block ×3, first 2 shown]
	v_fma_f32 v6, -v82, v23, v6
	ds_read2_b32 v[22:23], v7 offset1:1
	v_fma_f32 v6, -v83, v72, v6
	v_fma_f32 v6, -v84, v45, v6
	v_fma_f32 v6, -v86, v102, v6
	v_fma_f32 v6, -v87, v39, v6
	v_mov_b32_e32 v8, 0x4b4
	v_mov_b32_e32 v9, 0x5b4
	;; [unrolled: 1-line block ×3, first 2 shown]
	ds_read2_b32 v[104:105], v8 offset1:1
	ds_read2_b32 v[108:109], v9 offset1:1
	;; [unrolled: 1-line block ×3, first 2 shown]
	s_waitcnt lgkmcnt(3)
	v_mul_f32_e32 v88, v22, v6
	ds_read_b128 v[6:9], v74 offset:560
	v_fma_f32 v16, -v75, v68, v34
	v_fma_f32 v16, -v76, v19, v16
	v_fma_f32 v16, -v77, v90, v16
	v_fma_f32 v16, -v78, v21, v16
	ds_read_b128 v[18:21], v74 offset:576
	ds_read_b128 v[36:39], v74 offset:1072
	ds_read_b64 v[66:67], v74 offset:1400
	s_waitcnt lgkmcnt(3)
	v_fma_f32 v6, -v79, v6, v16
	v_fma_f32 v6, -v81, v17, v6
	;; [unrolled: 1-line block ×4, first 2 shown]
	ds_read_b128 v[96:99], v74 offset:1584
	s_waitcnt lgkmcnt(2)
	v_fma_f32 v6, -v84, v36, v6
	v_fma_f32 v6, -v86, v103, v6
	;; [unrolled: 1-line block ×4, first 2 shown]
	s_waitcnt lgkmcnt(0)
	v_mul_f32_e32 v89, v96, v6
	v_fma_f32 v6, -v75, v69, v35
	v_fma_f32 v6, -v76, v100, v6
	;; [unrolled: 1-line block ×5, first 2 shown]
	ds_read_b128 v[42:45], v74 offset:1088
	v_fma_f32 v14, -v81, v14, v6
	ds_read2_b32 v[6:7], v74 offset0:237 offset1:238
	v_fma_f32 v14, -v82, v25, v14
	ds_write2_b32 v48, v87, v88 offset0:64 offset1:96
	ds_read2_b32 v[68:69], v74 offset0:239 offset1:240
	ds_read2_b32 v[72:73], v74 offset0:241 offset1:242
	;; [unrolled: 1-line block ×3, first 2 shown]
	ds_read2_b64 v[22:25], v74 offset0:103 offset1:104
	s_waitcnt lgkmcnt(5)
	v_fma_f32 v6, -v83, v6, v14
	v_fma_f32 v6, -v84, v37, v6
	ds_read2_b64 v[34:37], v74 offset0:167 offset1:168
	v_fma_f32 v6, -v86, v104, v6
	v_fma_f32 v6, -v87, v41, v6
	;; [unrolled: 1-line block ×4, first 2 shown]
	v_mul_f32_e32 v90, v110, v6
	v_fma_f32 v6, -v75, v70, v32
	v_fma_f32 v6, -v76, v101, v6
	;; [unrolled: 1-line block ×6, first 2 shown]
	s_waitcnt lgkmcnt(1)
	v_fma_f32 v6, -v82, v22, v6
	v_fma_f32 v6, -v83, v7, v6
	v_fma_f32 v6, -v84, v38, v6
	v_fma_f32 v6, -v86, v105, v6
	ds_read2_b64 v[100:103], v74 offset0:169 offset1:170
	ds_read2_b64 v[104:107], v74 offset0:231 offset1:232
	s_waitcnt lgkmcnt(2)
	v_fma_f32 v6, -v87, v34, v6
	v_fma_f32 v6, -v88, v109, v6
	;; [unrolled: 1-line block ×4, first 2 shown]
	ds_read2_b64 v[14:17], v74 offset0:105 offset1:106
	s_waitcnt lgkmcnt(1)
	v_mul_f32_e32 v91, v104, v6
	v_fma_f32 v6, -v75, v71, v33
	ds_read2_b32 v[32:33], v74 offset0:175 offset1:176
	v_fma_f32 v6, -v76, v112, v6
	v_fma_f32 v6, -v77, v93, v6
	;; [unrolled: 1-line block ×4, first 2 shown]
	ds_write2_b32 v48, v89, v90 offset0:128 offset1:160
	s_waitcnt lgkmcnt(1)
	v_fma_f32 v6, -v81, v32, v6
	v_mov_b32_e32 v7, 0x4bc
	ds_read2_b64 v[108:111], v74 offset0:233 offset1:234
	ds_read2_b32 v[46:47], v74 offset0:177 offset1:178
	ds_read2_b32 v[70:71], v74 offset0:179 offset1:180
	;; [unrolled: 1-line block ×3, first 2 shown]
	v_fma_f32 v6, -v82, v23, v6
	ds_read2_b32 v[22:23], v7 offset1:1
	v_fma_f32 v6, -v83, v68, v6
	v_mov_b32_e32 v8, 0x5bc
	v_fma_f32 v6, -v84, v39, v6
	v_mov_b32_e32 v9, 0x6bc
	v_mov_b32_e32 v7, 0x7bc
	ds_read2_b32 v[38:39], v8 offset1:1
	ds_read2_b32 v[92:93], v9 offset1:1
	;; [unrolled: 1-line block ×3, first 2 shown]
	s_waitcnt lgkmcnt(3)
	v_fma_f32 v6, -v86, v22, v6
	v_fma_f32 v6, -v87, v35, v6
	s_waitcnt lgkmcnt(2)
	v_fma_f32 v6, -v88, v38, v6
	v_fma_f32 v6, -v89, v99, v6
	s_waitcnt lgkmcnt(1)
	v_fma_f32 v22, -v90, v92, v6
	ds_read_b128 v[6:9], v74 offset:64
	ds_read_b128 v[96:99], v74 offset:80
	v_fma_f32 v22, -v91, v105, v22
	s_waitcnt lgkmcnt(2)
	v_mul_f32_e32 v92, v120, v22
	ds_write2_b32 v48, v91, v92 offset0:192 offset1:224
	s_waitcnt lgkmcnt(2)
	v_fma_f32 v6, -v75, v6, v30
	v_fma_f32 v6, -v76, v113, v6
	v_fma_f32 v6, -v77, v94, v6
	v_fma_f32 v6, -v78, v115, v6
	v_fma_f32 v6, -v79, v18, v6
	v_fma_f32 v6, -v81, v33, v6
	v_fma_f32 v6, -v82, v24, v6
	v_fma_f32 v6, -v83, v69, v6
	ds_read_b128 v[32:35], v74 offset:1600
	ds_read2_b32 v[48:49], v74 offset0:49 offset1:50
	v_fma_f32 v6, -v84, v42, v6
	v_fma_f32 v6, -v86, v23, v6
	;; [unrolled: 1-line block ×4, first 2 shown]
	ds_read_b128 v[38:41], v74 offset:2112
	s_waitcnt lgkmcnt(2)
	v_fma_f32 v6, -v89, v32, v6
	v_fma_f32 v6, -v90, v93, v6
	;; [unrolled: 1-line block ×4, first 2 shown]
	s_waitcnt lgkmcnt(0)
	v_mul_f32_e32 v93, v38, v6
	v_fma_f32 v6, -v75, v7, v31
	v_fma_f32 v6, -v76, v48, v6
	;; [unrolled: 1-line block ×9, first 2 shown]
	v_mov_b32_e32 v6, 0x4c4
	ds_read_b128 v[112:115], v74 offset:1616
	ds_read_b64 v[68:69], v74 offset:1912
	ds_read2_b32 v[120:121], v74 offset0:51 offset1:52
	ds_read2_b32 v[126:127], v74 offset0:53 offset1:54
	;; [unrolled: 1-line block ×3, first 2 shown]
	ds_read2_b32 v[6:7], v6 offset1:1
	v_mov_b32_e32 v18, 0x5c4
	v_mov_b32_e32 v23, 0x6c4
	;; [unrolled: 1-line block ×3, first 2 shown]
	ds_read2_b32 v[18:19], v18 offset1:1
	ds_read2_b32 v[42:43], v23 offset1:1
	;; [unrolled: 1-line block ×3, first 2 shown]
	s_waitcnt lgkmcnt(3)
	v_fma_f32 v6, -v86, v6, v22
	v_fma_f32 v6, -v87, v37, v6
	s_waitcnt lgkmcnt(2)
	v_fma_f32 v6, -v88, v18, v6
	v_mov_b32_e32 v18, 0x8c4
	v_fma_f32 v6, -v89, v33, v6
	ds_read2_b32 v[36:37], v18 offset1:1
	ds_read2_b64 v[30:33], v74 offset0:41 offset1:42
	s_waitcnt lgkmcnt(3)
	v_fma_f32 v6, -v90, v42, v6
	v_fma_f32 v6, -v91, v107, v6
	s_waitcnt lgkmcnt(2)
	v_fma_f32 v6, -v92, v94, v6
	v_fma_f32 v6, -v93, v39, v6
	s_waitcnt lgkmcnt(1)
	v_mul_f32_e32 v94, v36, v6
	v_fma_f32 v6, -v75, v8, v28
	v_fma_f32 v6, -v76, v49, v6
	s_waitcnt lgkmcnt(0)
	v_fma_f32 v6, -v77, v30, v6
	v_fma_f32 v6, -v78, v117, v6
	;; [unrolled: 1-line block ×10, first 2 shown]
	v_mov_b32_e32 v18, 0x948
	v_fma_f32 v6, -v89, v34, v6
	ds_read2_b64 v[22:25], v18 offset1:1
	ds_read2_b64 v[104:107], v74 offset0:43 offset1:44
	v_fma_f32 v6, -v90, v43, v6
	v_fma_f32 v6, -v91, v108, v6
	;; [unrolled: 1-line block ×4, first 2 shown]
	ds_read2_b32 v[18:19], v74 offset0:115 offset1:116
	v_fma_f32 v6, -v94, v37, v6
	s_waitcnt lgkmcnt(2)
	v_mul_f32_e32 v95, v22, v6
	v_fma_f32 v6, -v75, v9, v29
	v_fma_f32 v6, -v76, v120, v6
	;; [unrolled: 1-line block ×3, first 2 shown]
	s_waitcnt lgkmcnt(0)
	v_fma_f32 v6, -v78, v18, v6
	v_fma_f32 v6, -v79, v21, v6
	ds_write2_b32 v80, v93, v94 offset1:32
	v_fma_f32 v6, -v81, v70, v6
	v_mov_b32_e32 v7, 0x4cc
	ds_read2_b32 v[28:29], v74 offset0:117 offset1:118
	ds_read2_b32 v[138:139], v74 offset0:119 offset1:120
	;; [unrolled: 1-line block ×3, first 2 shown]
	v_fma_f32 v6, -v82, v15, v6
	ds_read2_b32 v[14:15], v7 offset1:1
	v_fma_f32 v6, -v83, v118, v6
	v_mov_b32_e32 v8, 0x5cc
	v_fma_f32 v6, -v84, v45, v6
	v_mov_b32_e32 v9, 0x6cc
	v_mov_b32_e32 v7, 0x7cc
	ds_read2_b32 v[30:31], v8 offset1:1
	ds_read2_b32 v[36:37], v9 offset1:1
	;; [unrolled: 1-line block ×3, first 2 shown]
	s_waitcnt lgkmcnt(3)
	v_fma_f32 v6, -v86, v14, v6
	v_fma_f32 v6, -v87, v101, v6
	s_waitcnt lgkmcnt(2)
	v_fma_f32 v6, -v88, v30, v6
	v_mov_b32_e32 v7, 0x8cc
	v_fma_f32 v6, -v89, v35, v6
	ds_read2_b32 v[34:35], v7 offset1:1
	s_waitcnt lgkmcnt(2)
	v_fma_f32 v6, -v90, v36, v6
	v_fma_f32 v6, -v91, v109, v6
	s_waitcnt lgkmcnt(1)
	v_fma_f32 v6, -v92, v38, v6
	v_mov_b32_e32 v8, 0x9cc
	v_fma_f32 v6, -v93, v41, v6
	v_mov_b32_e32 v9, 0x4d4
	v_mov_b32_e32 v7, 0x5d4
	ds_read2_b32 v[100:101], v8 offset1:1
	ds_read2_b32 v[128:129], v9 offset1:1
	ds_read2_b32 v[132:133], v7 offset1:1
	s_waitcnt lgkmcnt(3)
	v_fma_f32 v6, -v94, v34, v6
	v_fma_f32 v6, -v95, v23, v6
	s_waitcnt lgkmcnt(2)
	v_mul_f32_e32 v146, v100, v6
	ds_read_b128 v[6:9], v74 offset:592
	ds_read_b128 v[42:45], v74 offset:608
	v_fma_f32 v14, -v75, v96, v26
	v_fma_f32 v14, -v76, v121, v14
	;; [unrolled: 1-line block ×4, first 2 shown]
	ds_read_b128 v[18:21], v74 offset:1104
	s_waitcnt lgkmcnt(2)
	v_fma_f32 v6, -v79, v6, v14
	v_fma_f32 v6, -v81, v71, v6
	;; [unrolled: 1-line block ×4, first 2 shown]
	ds_read_b128 v[116:119], v74 offset:2128
	s_waitcnt lgkmcnt(1)
	v_fma_f32 v6, -v84, v18, v6
	v_fma_f32 v6, -v86, v15, v6
	;; [unrolled: 1-line block ×8, first 2 shown]
	ds_read_b128 v[38:41], v74 offset:2144
	ds_read_b128 v[120:123], v74 offset:2640
	s_waitcnt lgkmcnt(2)
	v_fma_f32 v6, -v93, v116, v6
	v_fma_f32 v6, -v94, v35, v6
	;; [unrolled: 1-line block ×4, first 2 shown]
	s_waitcnt lgkmcnt(0)
	v_mul_f32_e32 v147, v120, v6
	v_fma_f32 v6, -v75, v97, v27
	v_fma_f32 v6, -v76, v126, v6
	;; [unrolled: 1-line block ×5, first 2 shown]
	ds_read_b128 v[46:49], v74 offset:1120
	v_fma_f32 v14, -v81, v124, v6
	ds_read2_b32 v[6:7], v74 offset0:245 offset1:246
	v_fma_f32 v16, -v82, v17, v14
	ds_write2_b32 v80, v95, v146 offset0:64 offset1:96
	ds_read_b128 v[34:37], v74 offset:2656
	ds_read2_b32 v[14:15], v74 offset0:247 offset1:248
	ds_read2_b32 v[140:141], v74 offset0:249 offset1:250
	;; [unrolled: 1-line block ×3, first 2 shown]
	s_waitcnt lgkmcnt(5)
	v_fma_f32 v6, -v83, v6, v16
	v_mov_b32_e32 v16, 0x6d4
	v_fma_f32 v6, -v84, v19, v6
	ds_read2_b32 v[16:17], v16 offset1:1
	v_fma_f32 v6, -v86, v128, v6
	v_fma_f32 v6, -v87, v103, v6
	;; [unrolled: 1-line block ×3, first 2 shown]
	v_mov_b32_e32 v18, 0x7d4
	v_fma_f32 v6, -v89, v113, v6
	v_mov_b32_e32 v22, 0x8d4
	v_mov_b32_e32 v23, 0x9d4
	ds_read2_b32 v[18:19], v18 offset1:1
	ds_read2_b32 v[96:97], v22 offset1:1
	;; [unrolled: 1-line block ×3, first 2 shown]
	s_waitcnt lgkmcnt(3)
	v_fma_f32 v6, -v90, v16, v6
	v_fma_f32 v6, -v91, v111, v6
	s_waitcnt lgkmcnt(2)
	v_fma_f32 v6, -v92, v18, v6
	v_mov_b32_e32 v16, 0xad4
	v_fma_f32 v6, -v93, v117, v6
	ds_read2_b32 v[116:117], v16 offset1:1
	ds_read2_b64 v[108:111], v74 offset0:107 offset1:108
	s_waitcnt lgkmcnt(3)
	v_fma_f32 v6, -v94, v96, v6
	v_fma_f32 v6, -v95, v25, v6
	s_waitcnt lgkmcnt(2)
	v_fma_f32 v6, -v146, v112, v6
	v_fma_f32 v6, -v147, v121, v6
	s_waitcnt lgkmcnt(1)
	v_mul_f32_e32 v148, v116, v6
	v_fma_f32 v6, -v75, v98, v58
	v_fma_f32 v6, -v76, v127, v6
	;; [unrolled: 1-line block ×6, first 2 shown]
	ds_read2_b64 v[22:25], v74 offset0:109 offset1:110
	ds_read2_b64 v[124:127], v74 offset0:171 offset1:172
	s_waitcnt lgkmcnt(2)
	v_fma_f32 v6, -v82, v108, v6
	v_fma_f32 v6, -v83, v7, v6
	;; [unrolled: 1-line block ×4, first 2 shown]
	ds_read2_b64 v[26:29], v74 offset0:173 offset1:174
	ds_read2_b64 v[128:131], v74 offset0:235 offset1:236
	s_waitcnt lgkmcnt(2)
	v_fma_f32 v6, -v87, v124, v6
	v_fma_f32 v6, -v88, v133, v6
	v_mov_b32_e32 v16, 0x958
	v_fma_f32 v6, -v89, v114, v6
	ds_read2_b64 v[100:103], v16 offset1:1
	v_fma_f32 v6, -v90, v17, v6
	s_waitcnt lgkmcnt(1)
	v_fma_f32 v6, -v91, v128, v6
	v_fma_f32 v6, -v92, v19, v6
	;; [unrolled: 1-line block ×3, first 2 shown]
	v_mov_b32_e32 v7, 0xb58
	ds_read2_b64 v[132:135], v7 offset1:1
	v_fma_f32 v6, -v94, v97, v6
	s_waitcnt lgkmcnt(1)
	v_fma_f32 v6, -v95, v100, v6
	v_fma_f32 v6, -v146, v113, v6
	;; [unrolled: 1-line block ×4, first 2 shown]
	v_mov_b32_e32 v6, 0x4dc
	ds_read2_b32 v[6:7], v6 offset1:1
	ds_read2_b32 v[16:17], v74 offset0:183 offset1:184
	s_waitcnt lgkmcnt(2)
	v_mul_f32_e32 v132, v132, v8
	v_fma_f32 v8, -v75, v99, v59
	v_fma_f32 v8, -v76, v136, v8
	v_fma_f32 v8, -v77, v105, v8
	v_fma_f32 v8, -v78, v138, v8
	v_fma_f32 v8, -v79, v9, v8
	s_waitcnt lgkmcnt(0)
	v_fma_f32 v8, -v81, v16, v8
	v_fma_f32 v8, -v82, v109, v8
	;; [unrolled: 1-line block ×4, first 2 shown]
	ds_write2_b32 v80, v147, v148 offset0:128 offset1:160
	v_fma_f32 v6, -v86, v6, v8
	v_mov_b32_e32 v8, 0x5dc
	ds_read2_b64 v[30:33], v74 offset0:237 offset1:238
	ds_read2_b32 v[104:105], v74 offset0:185 offset1:186
	ds_read2_b32 v[142:143], v74 offset0:187 offset1:188
	;; [unrolled: 1-line block ×3, first 2 shown]
	ds_read2_b32 v[8:9], v8 offset1:1
	v_mov_b32_e32 v14, 0x6dc
	v_fma_f32 v6, -v87, v125, v6
	v_mov_b32_e32 v16, 0x7dc
	v_mov_b32_e32 v18, 0x8dc
	ds_read2_b32 v[108:109], v14 offset1:1
	ds_read2_b32 v[116:117], v16 offset1:1
	;; [unrolled: 1-line block ×3, first 2 shown]
	s_waitcnt lgkmcnt(3)
	v_fma_f32 v6, -v88, v8, v6
	v_fma_f32 v6, -v89, v115, v6
	s_waitcnt lgkmcnt(2)
	v_fma_f32 v6, -v90, v108, v6
	v_fma_f32 v6, -v91, v129, v6
	;; [unrolled: 3-line block ×3, first 2 shown]
	s_waitcnt lgkmcnt(0)
	v_fma_f32 v6, -v94, v120, v6
	v_mov_b32_e32 v8, 0x9dc
	v_fma_f32 v6, -v95, v101, v6
	ds_read2_b32 v[100:101], v8 offset1:1
	v_mov_b32_e32 v14, 0xadc
	v_mov_b32_e32 v16, 0xbdc
	v_mov_b32_e32 v8, 0x4e4
	ds_read2_b32 v[124:125], v14 offset1:1
	ds_read2_b32 v[128:129], v16 offset1:1
	;; [unrolled: 1-line block ×3, first 2 shown]
	ds_read_b128 v[96:99], v74 offset:96
	ds_read_b128 v[18:21], v74 offset:112
	s_waitcnt lgkmcnt(5)
	v_fma_f32 v6, -v146, v100, v6
	v_fma_f32 v6, -v147, v123, v6
	s_waitcnt lgkmcnt(4)
	v_fma_f32 v6, -v148, v124, v6
	v_fma_f32 v6, -v132, v133, v6
	s_waitcnt lgkmcnt(3)
	v_mul_f32_e32 v128, v128, v6
	s_waitcnt lgkmcnt(1)
	v_fma_f32 v6, -v75, v96, v56
	v_fma_f32 v6, -v76, v137, v6
	;; [unrolled: 1-line block ×8, first 2 shown]
	ds_read_b128 v[112:115], v74 offset:1632
	v_fma_f32 v6, -v84, v46, v6
	v_fma_f32 v6, -v86, v7, v6
	;; [unrolled: 1-line block ×4, first 2 shown]
	s_waitcnt lgkmcnt(0)
	v_fma_f32 v14, -v89, v112, v14
	v_fma_f32 v14, -v90, v109, v14
	;; [unrolled: 1-line block ×8, first 2 shown]
	ds_read_b128 v[116:119], v74 offset:3168
	ds_read_b128 v[6:9], v74 offset:1648
	ds_read2_b32 v[108:109], v74 offset0:57 offset1:58
	v_fma_f32 v14, -v147, v34, v14
	v_fma_f32 v14, -v148, v125, v14
	;; [unrolled: 1-line block ×4, first 2 shown]
	ds_write2_b32 v80, v132, v128 offset0:192 offset1:224
	ds_read_b128 v[14:17], v74 offset:3184
	s_waitcnt lgkmcnt(4)
	v_mul_f32_e32 v80, v116, v34
	v_fma_f32 v34, -v75, v97, v57
	s_waitcnt lgkmcnt(2)
	v_fma_f32 v34, -v76, v108, v34
	v_fma_f32 v34, -v77, v107, v34
	;; [unrolled: 1-line block ×5, first 2 shown]
	v_mov_b32_e32 v38, 0x5e4
	ds_read2_b32 v[56:57], v74 offset0:59 offset1:60
	ds_read2_b32 v[96:97], v74 offset0:61 offset1:62
	ds_read_b32 v126, v74 offset:252
	v_fma_f32 v34, -v82, v111, v34
	ds_read2_b32 v[42:43], v38 offset1:1
	v_fma_f32 v34, -v83, v140, v34
	v_fma_f32 v34, -v84, v47, v34
	;; [unrolled: 1-line block ×3, first 2 shown]
	v_mov_b32_e32 v46, 0x6e4
	v_fma_f32 v34, -v87, v127, v34
	v_mov_b32_e32 v72, 0x7e4
	v_mov_b32_e32 v38, 0x8e4
	ds_read2_b32 v[46:47], v46 offset1:1
	ds_read2_b32 v[106:107], v72 offset1:1
	;; [unrolled: 1-line block ×3, first 2 shown]
	s_waitcnt lgkmcnt(3)
	v_fma_f32 v34, -v88, v42, v34
	v_fma_f32 v34, -v89, v113, v34
	s_waitcnt lgkmcnt(2)
	v_fma_f32 v34, -v90, v46, v34
	v_fma_f32 v34, -v91, v131, v34
	s_waitcnt lgkmcnt(1)
	v_fma_f32 v34, -v92, v106, v34
	v_mov_b32_e32 v38, 0x9e4
	v_fma_f32 v34, -v93, v39, v34
	ds_read2_b32 v[38:39], v38 offset1:1
	s_waitcnt lgkmcnt(1)
	v_fma_f32 v34, -v94, v110, v34
	v_mov_b32_e32 v42, 0xae4
	v_fma_f32 v34, -v95, v103, v34
	v_mov_b32_e32 v46, 0xbe4
	v_mov_b32_e32 v72, 0xce4
	ds_read2_b32 v[112:113], v42 offset1:1
	ds_read2_b32 v[120:121], v46 offset1:1
	;; [unrolled: 1-line block ×3, first 2 shown]
	s_waitcnt lgkmcnt(3)
	v_fma_f32 v34, -v146, v38, v34
	v_fma_f32 v34, -v147, v35, v34
	s_waitcnt lgkmcnt(2)
	v_fma_f32 v34, -v148, v112, v34
	v_fma_f32 v34, -v132, v135, v34
	ds_read2_b64 v[100:103], v74 offset0:45 offset1:46
	s_waitcnt lgkmcnt(2)
	v_fma_f32 v34, -v128, v120, v34
	v_fma_f32 v34, -v80, v117, v34
	s_waitcnt lgkmcnt(1)
	v_mul_f32_e32 v112, v124, v34
	v_fma_f32 v34, -v75, v98, v54
	v_fma_f32 v34, -v76, v109, v34
	s_waitcnt lgkmcnt(0)
	v_fma_f32 v34, -v77, v100, v34
	v_fma_f32 v34, -v78, v73, v34
	;; [unrolled: 1-line block ×13, first 2 shown]
	v_mov_b32_e32 v26, 0x968
	v_fma_f32 v22, -v92, v107, v22
	ds_read2_b64 v[104:107], v26 offset1:1
	ds_read2_b32 v[46:47], v74 offset0:125 offset1:126
	v_fma_f32 v22, -v93, v40, v22
	v_mov_b32_e32 v26, 0xb68
	v_fma_f32 v22, -v94, v111, v22
	ds_read2_b64 v[108:111], v26 offset1:1
	s_waitcnt lgkmcnt(2)
	v_fma_f32 v22, -v95, v104, v22
	v_fma_f32 v22, -v146, v39, v22
	ds_read2_b32 v[38:39], v74 offset0:123 offset1:124
	v_fma_f32 v22, -v147, v36, v22
	v_fma_f32 v22, -v148, v113, v22
	s_waitcnt lgkmcnt(1)
	v_fma_f32 v22, -v132, v108, v22
	v_mov_b32_e32 v26, 0xd68
	v_fma_f32 v22, -v128, v121, v22
	ds_read2_b64 v[120:123], v26 offset1:1
	v_fma_f32 v22, -v80, v118, v22
	v_fma_f32 v22, -v112, v125, v22
	v_mov_b32_e32 v26, 0x4ec
	ds_read2_b32 v[34:35], v26 offset1:1
	s_waitcnt lgkmcnt(1)
	v_mul_f32_e32 v113, v120, v22
	v_fma_f32 v22, -v75, v99, v55
	v_fma_f32 v22, -v76, v56, v22
	;; [unrolled: 1-line block ×9, first 2 shown]
	s_waitcnt lgkmcnt(0)
	v_fma_f32 v22, -v86, v34, v22
	v_fma_f32 v30, -v87, v27, v22
	v_mov_b32_e32 v22, 0x5ec
	ds_read_b64 v[116:117], v74 offset:376
	ds_read2_b32 v[22:23], v22 offset1:1
	ds_write2_b32 v1, v80, v112 offset1:32
	v_mov_b32_e32 v26, 0x6ec
	v_mov_b32_e32 v34, 0x7ec
	;; [unrolled: 1-line block ×3, first 2 shown]
	ds_read2_b32 v[26:27], v26 offset1:1
	ds_read2_b32 v[42:43], v34 offset1:1
	;; [unrolled: 1-line block ×3, first 2 shown]
	s_waitcnt lgkmcnt(4)
	v_fma_f32 v22, -v88, v22, v30
	v_fma_f32 v18, -v75, v18, v52
	;; [unrolled: 1-line block ×4, first 2 shown]
	s_waitcnt lgkmcnt(2)
	v_fma_f32 v22, -v90, v26, v22
	v_mov_b32_e32 v26, 0x9ec
	v_fma_f32 v18, -v77, v102, v18
	v_fma_f32 v22, -v91, v31, v22
	ds_read2_b32 v[30:31], v26 offset1:1
	v_fma_f32 v18, -v78, v39, v18
	s_waitcnt lgkmcnt(2)
	v_fma_f32 v22, -v92, v42, v22
	v_fma_f32 v2, -v79, v2, v18
	;; [unrolled: 1-line block ×4, first 2 shown]
	s_waitcnt lgkmcnt(1)
	v_fma_f32 v22, -v94, v44, v22
	v_mov_b32_e32 v34, 0xaec
	v_fma_f32 v2, -v82, v24, v2
	v_fma_f32 v22, -v95, v105, v22
	v_mov_b32_e32 v36, 0xbec
	v_mov_b32_e32 v26, 0xcec
	ds_read2_b32 v[48:49], v34 offset1:1
	ds_read2_b32 v[54:55], v36 offset1:1
	;; [unrolled: 1-line block ×3, first 2 shown]
	v_fma_f32 v2, -v83, v71, v2
	s_waitcnt lgkmcnt(3)
	v_fma_f32 v22, -v146, v30, v22
	v_fma_f32 v2, -v84, v10, v2
	;; [unrolled: 1-line block ×4, first 2 shown]
	s_waitcnt lgkmcnt(2)
	v_fma_f32 v22, -v148, v48, v22
	v_mov_b32_e32 v26, 0xdec
	v_mov_b32_e32 v30, 0x4f4
	v_mov_b32_e32 v34, 0x5f4
	v_fma_f32 v2, -v87, v28, v2
	v_fma_f32 v22, -v132, v109, v22
	ds_read2_b32 v[98:99], v26 offset1:1
	v_mov_b32_e32 v26, 0x6f4
	ds_read2_b32 v[100:101], v30 offset1:1
	ds_read2_b32 v[104:105], v34 offset1:1
	;; [unrolled: 1-line block ×3, first 2 shown]
	v_fma_f32 v2, -v88, v23, v2
	ds_read_b128 v[34:37], v74 offset:2160
	ds_read_b128 v[38:41], v74 offset:2672
	v_fma_f32 v2, -v89, v6, v2
	v_fma_f32 v2, -v90, v27, v2
	;; [unrolled: 1-line block ×4, first 2 shown]
	s_waitcnt lgkmcnt(1)
	v_fma_f32 v2, -v93, v34, v2
	v_fma_f32 v2, -v94, v45, v2
	;; [unrolled: 1-line block ×4, first 2 shown]
	s_waitcnt lgkmcnt(0)
	v_fma_f32 v2, -v147, v38, v2
	v_fma_f32 v2, -v148, v49, v2
	;; [unrolled: 1-line block ×6, first 2 shown]
	ds_read_b128 v[42:45], v74 offset:3696
	v_fma_f32 v22, -v112, v72, v22
	v_fma_f32 v2, -v80, v14, v2
	;; [unrolled: 1-line block ×4, first 2 shown]
	v_mul_f32_e32 v48, v98, v22
	v_fma_f32 v2, -v113, v122, v2
	v_fma_f32 v2, -v48, v99, v2
	s_waitcnt lgkmcnt(0)
	v_mul_f32_e32 v14, v42, v2
	v_fma_f32 v2, -v75, v19, v53
	v_fma_f32 v2, -v76, v96, v2
	;; [unrolled: 1-line block ×15, first 2 shown]
	v_mov_b32_e32 v2, 0x7f4
	ds_read_b64 v[22:23], v74 offset:2424
	ds_read_b64 v[26:27], v74 offset:2936
	;; [unrolled: 1-line block ×3, first 2 shown]
	ds_read2_b32 v[2:3], v2 offset1:1
	ds_write2_b32 v1, v113, v48 offset0:64 offset1:96
	v_mov_b32_e32 v6, 0x8f4
	v_mov_b32_e32 v10, 0x9f4
	;; [unrolled: 1-line block ×3, first 2 shown]
	ds_read2_b32 v[6:7], v6 offset1:1
	ds_read2_b32 v[10:11], v10 offset1:1
	;; [unrolled: 1-line block ×3, first 2 shown]
	s_waitcnt lgkmcnt(4)
	v_fma_f32 v2, -v92, v2, v24
	v_fma_f32 v2, -v93, v35, v2
	s_waitcnt lgkmcnt(2)
	v_fma_f32 v2, -v94, v6, v2
	v_mov_b32_e32 v6, 0xbf4
	v_fma_f32 v2, -v95, v107, v2
	ds_read2_b32 v[24:25], v6 offset1:1
	s_waitcnt lgkmcnt(2)
	v_fma_f32 v2, -v146, v10, v2
	v_fma_f32 v2, -v147, v39, v2
	s_waitcnt lgkmcnt(1)
	v_fma_f32 v2, -v148, v18, v2
	v_mov_b32_e32 v10, 0xcf4
	v_fma_f32 v2, -v132, v111, v2
	v_mov_b32_e32 v18, 0xdf4
	v_mov_b32_e32 v6, 0xef4
	ds_read2_b32 v[28:29], v10 offset1:1
	ds_read2_b32 v[32:33], v18 offset1:1
	;; [unrolled: 1-line block ×3, first 2 shown]
	s_waitcnt lgkmcnt(3)
	v_fma_f32 v2, -v128, v24, v2
	v_fma_f32 v2, -v80, v15, v2
	s_waitcnt lgkmcnt(2)
	v_fma_f32 v2, -v112, v28, v2
	v_fma_f32 v2, -v113, v123, v2
	;; [unrolled: 3-line block ×3, first 2 shown]
	s_waitcnt lgkmcnt(0)
	v_mul_f32_e32 v15, v34, v2
	v_fma_f32 v2, -v75, v20, v50
	v_fma_f32 v2, -v76, v97, v2
	v_fma_f32 v2, -v77, v116, v2
	v_fma_f32 v2, -v78, v47, v2
	v_fma_f32 v2, -v79, v4, v2
	v_fma_f32 v2, -v81, v59, v2
	v_fma_f32 v2, -v82, v60, v2
	v_fma_f32 v2, -v83, v65, v2
	v_fma_f32 v2, -v84, v12, v2
	v_fma_f32 v2, -v86, v101, v2
	v_fma_f32 v2, -v87, v66, v2
	v_fma_f32 v2, -v88, v105, v2
	v_fma_f32 v2, -v89, v8, v2
	v_fma_f32 v2, -v90, v109, v2
	v_fma_f32 v2, -v91, v68, v2
	v_fma_f32 v2, -v92, v3, v2
	v_fma_f32 v2, -v93, v36, v2
	v_fma_f32 v2, -v94, v7, v2
	v_fma_f32 v2, -v95, v22, v2
	v_fma_f32 v2, -v146, v11, v2
	v_fma_f32 v2, -v147, v40, v2
	v_fma_f32 v2, -v148, v19, v2
	v_fma_f32 v2, -v132, v26, v2
	v_fma_f32 v2, -v128, v25, v2
	v_fma_f32 v2, -v80, v16, v2
	v_fma_f32 v2, -v112, v29, v2
	v_fma_f32 v2, -v113, v30, v2
	v_fma_f32 v2, -v48, v33, v2
	v_fma_f32 v2, -v14, v44, v2
	v_fma_f32 v4, -v15, v35, v2
	ds_read2_b32 v[2:3], v74 offset0:127 offset1:191
	v_mul_f32_e32 v8, v62, v4
	v_fma_f32 v4, -v75, v21, v51
	v_fma_f32 v4, -v76, v126, v4
	;; [unrolled: 1-line block ×3, first 2 shown]
	s_waitcnt lgkmcnt(0)
	v_fma_f32 v2, -v78, v2, v4
	s_movk_i32 s6, 0xfc
	v_fma_f32 v2, -v79, v5, v2
	v_add_u32_e64 v12, s6, 0
	v_fma_f32 v4, -v81, v3, v2
	ds_read2st64_b32 v[2:3], v12 offset0:3 offset1:4
	v_fma_f32 v16, -v82, v61, v4
	ds_write2_b32 v1, v14, v15 offset0:128 offset1:160
	ds_read2st64_b32 v[4:5], v12 offset0:5 offset1:6
	ds_read2st64_b32 v[6:7], v12 offset0:7 offset1:8
	;; [unrolled: 1-line block ×3, first 2 shown]
	s_mov_b32 s6, 32
	s_waitcnt lgkmcnt(4)
	v_fma_f32 v2, -v83, v2, v16
	v_fma_f32 v2, -v84, v13, v2
	v_fma_f32 v2, -v86, v3, v2
	v_fma_f32 v2, -v87, v67, v2
	s_waitcnt lgkmcnt(2)
	v_fma_f32 v2, -v88, v4, v2
	v_fma_f32 v2, -v89, v9, v2
	v_fma_f32 v2, -v90, v5, v2
	v_fma_f32 v2, -v91, v69, v2
	s_waitcnt lgkmcnt(1)
	v_fma_f32 v2, -v92, v6, v2
	v_fma_f32 v2, -v93, v37, v2
	v_fma_f32 v2, -v94, v7, v2
	v_fma_f32 v2, -v95, v23, v2
	s_waitcnt lgkmcnt(0)
	v_fma_f32 v4, -v146, v10, v2
	ds_read2st64_b32 v[2:3], v12 offset0:11 offset1:12
	v_fma_f32 v4, -v147, v41, v4
	v_fma_f32 v4, -v148, v11, v4
	;; [unrolled: 1-line block ×3, first 2 shown]
	ds_read2st64_b32 v[4:5], v12 offset0:13 offset1:14
	s_waitcnt lgkmcnt(1)
	v_fma_f32 v2, -v128, v2, v6
	v_fma_f32 v2, -v80, v17, v2
	;; [unrolled: 1-line block ×4, first 2 shown]
	s_waitcnt lgkmcnt(0)
	v_fma_f32 v2, -v48, v4, v2
	v_fma_f32 v2, -v14, v45, v2
	;; [unrolled: 1-line block ×4, first 2 shown]
	v_mul_f32_e32 v2, v85, v2
	ds_write2_b32 v1, v8, v2 offset0:192 offset1:224
.LBB38_53:
	s_cmp_lt_i32 s6, s26
	s_cbranch_scc0 .LBB38_75
; %bb.54:
	s_or_b32 s14, s6, 27
	s_cmp_ge_u32 s14, s26
	s_cbranch_scc1 .LBB38_64
; %bb.55:
	s_lshl_b32 s15, s6, 5
	v_or_b32_e32 v1, s15, v0
	v_lshlrev_b32_e32 v6, 2, v1
	v_add_u32_e32 v4, 0x1000, v6
	v_add_u32_e32 v1, 0x1400, v6
	ds_read2_b32 v[2:3], v4 offset1:32
	ds_read2_b32 v[10:11], v4 offset0:64 offset1:96
	ds_read2_b32 v[26:27], v4 offset0:128 offset1:160
	;; [unrolled: 1-line block ×3, first 2 shown]
	ds_read2_b32 v[16:17], v1 offset1:32
	ds_read2_b32 v[14:15], v1 offset0:64 offset1:96
	ds_read2_b32 v[20:21], v1 offset0:128 offset1:160
	;; [unrolled: 1-line block ×3, first 2 shown]
	v_add_u32_e32 v1, 0x1800, v6
	ds_read2_b32 v[22:23], v1 offset1:32
	ds_read2_b32 v[30:31], v1 offset0:64 offset1:96
	ds_read2_b32 v[52:53], v1 offset0:128 offset1:160
	;; [unrolled: 1-line block ×3, first 2 shown]
	v_add_u32_e32 v1, 0x1c00, v6
	ds_read2_b32 v[48:49], v1 offset1:32
	v_lshlrev_b32_e32 v1, 2, v0
	v_lshl_or_b32 v5, s14, 7, v1
	ds_read_b32 v46, v6 offset:7424
	ds_read_b32 v47, v5 offset:4096
	s_andn2_b64 vcc, exec, s[8:9]
	s_cbranch_vccnz .LBB38_63
; %bb.56:
	s_max_u32 s8, s6, 1
	s_cmp_eq_u32 s8, 1
	s_cbranch_scc1 .LBB38_60
; %bb.57:
	v_mov_b32_e32 v6, 0x1000
	s_and_b32 s9, s8, 32
	s_lshl_b32 s18, s6, 2
	v_lshl_or_b32 v6, v0, 2, v6
	s_mov_b32 s19, 0
.LBB38_58:                              ; =>This Inner Loop Header: Depth=1
	ds_read2_b32 v[8:9], v6 offset1:32
	v_mov_b32_e32 v7, s18
	ds_read_b128 v[32:35], v7
	ds_read_b128 v[36:39], v7 offset:16
	ds_read_b128 v[40:43], v7 offset:32
	;; [unrolled: 1-line block ×13, first 2 shown]
	s_add_i32 s19, s19, 2
	s_addk_i32 s18, 0x100
	s_waitcnt lgkmcnt(14)
	v_mov_b32_e32 v12, v9
	s_waitcnt lgkmcnt(13)
	v_pk_fma_f32 v[2:3], v[8:9], v[32:33], v[2:3] op_sel_hi:[0,1,1] neg_lo:[1,0,0] neg_hi:[1,0,0]
	v_pk_fma_f32 v[10:11], v[8:9], v[34:35], v[10:11] op_sel_hi:[0,1,1] neg_lo:[1,0,0] neg_hi:[1,0,0]
	s_waitcnt lgkmcnt(12)
	v_pk_fma_f32 v[26:27], v[8:9], v[36:37], v[26:27] op_sel_hi:[0,1,1] neg_lo:[1,0,0] neg_hi:[1,0,0]
	v_pk_fma_f32 v[24:25], v[8:9], v[38:39], v[24:25] op_sel_hi:[0,1,1] neg_lo:[1,0,0] neg_hi:[1,0,0]
	;; [unrolled: 3-line block ×7, first 2 shown]
	v_add_u32_e32 v6, 0x100, v6
	s_cmp_lg_u32 s9, s19
	s_waitcnt lgkmcnt(6)
	v_pk_fma_f32 v[2:3], v[12:13], v[70:71], v[2:3] op_sel_hi:[0,1,1] neg_lo:[1,0,0] neg_hi:[1,0,0]
	v_pk_fma_f32 v[10:11], v[12:13], v[72:73], v[10:11] op_sel_hi:[0,1,1] neg_lo:[1,0,0] neg_hi:[1,0,0]
	s_waitcnt lgkmcnt(5)
	v_pk_fma_f32 v[26:27], v[12:13], v[74:75], v[26:27] op_sel_hi:[0,1,1] neg_lo:[1,0,0] neg_hi:[1,0,0]
	v_pk_fma_f32 v[24:25], v[12:13], v[76:77], v[24:25] op_sel_hi:[0,1,1] neg_lo:[1,0,0] neg_hi:[1,0,0]
	;; [unrolled: 3-line block ×7, first 2 shown]
	s_cbranch_scc1 .LBB38_58
; %bb.59:
	s_lshl_b32 s9, s9, 5
	s_branch .LBB38_61
.LBB38_60:
	s_mov_b32 s9, 0
.LBB38_61:
	s_bitcmp0_b32 s8, 0
	s_cbranch_scc1 .LBB38_63
; %bb.62:
	s_add_i32 s8, s9, s6
	v_add_lshl_u32 v6, s9, v0, 2
	s_lshl_b32 s8, s8, 2
	v_mov_b32_e32 v13, s8
	ds_read_b32 v12, v6 offset:4096
	ds_read_b128 v[6:9], v13
	ds_read_b128 v[32:35], v13 offset:16
	ds_read_b128 v[36:39], v13 offset:32
	s_waitcnt lgkmcnt(2)
	v_pk_fma_f32 v[2:3], v[12:13], v[6:7], v[2:3] op_sel_hi:[0,1,1] neg_lo:[1,0,0] neg_hi:[1,0,0]
	v_pk_fma_f32 v[10:11], v[12:13], v[8:9], v[10:11] op_sel_hi:[0,1,1] neg_lo:[1,0,0] neg_hi:[1,0,0]
	ds_read_b128 v[6:9], v13 offset:48
	s_waitcnt lgkmcnt(2)
	v_pk_fma_f32 v[26:27], v[12:13], v[32:33], v[26:27] op_sel_hi:[0,1,1] neg_lo:[1,0,0] neg_hi:[1,0,0]
	v_pk_fma_f32 v[24:25], v[12:13], v[34:35], v[24:25] op_sel_hi:[0,1,1] neg_lo:[1,0,0] neg_hi:[1,0,0]
	ds_read_b128 v[32:35], v13 offset:64
	s_waitcnt lgkmcnt(2)
	v_pk_fma_f32 v[16:17], v[12:13], v[36:37], v[16:17] op_sel_hi:[0,1,1] neg_lo:[1,0,0] neg_hi:[1,0,0]
	v_pk_fma_f32 v[14:15], v[12:13], v[38:39], v[14:15] op_sel_hi:[0,1,1] neg_lo:[1,0,0] neg_hi:[1,0,0]
	s_waitcnt lgkmcnt(1)
	v_pk_fma_f32 v[20:21], v[12:13], v[6:7], v[20:21] op_sel_hi:[0,1,1] neg_lo:[1,0,0] neg_hi:[1,0,0]
	ds_read_b128 v[36:39], v13 offset:80
	v_pk_fma_f32 v[18:19], v[12:13], v[8:9], v[18:19] op_sel_hi:[0,1,1] neg_lo:[1,0,0] neg_hi:[1,0,0]
	ds_read_b128 v[6:9], v13 offset:96
	s_waitcnt lgkmcnt(2)
	v_pk_fma_f32 v[22:23], v[12:13], v[32:33], v[22:23] op_sel_hi:[0,1,1] neg_lo:[1,0,0] neg_hi:[1,0,0]
	v_pk_fma_f32 v[30:31], v[12:13], v[34:35], v[30:31] op_sel_hi:[0,1,1] neg_lo:[1,0,0] neg_hi:[1,0,0]
	s_waitcnt lgkmcnt(1)
	v_pk_fma_f32 v[52:53], v[12:13], v[36:37], v[52:53] op_sel_hi:[0,1,1] neg_lo:[1,0,0] neg_hi:[1,0,0]
	v_pk_fma_f32 v[50:51], v[12:13], v[38:39], v[50:51] op_sel_hi:[0,1,1] neg_lo:[1,0,0] neg_hi:[1,0,0]
	s_waitcnt lgkmcnt(0)
	v_pk_fma_f32 v[48:49], v[12:13], v[6:7], v[48:49] op_sel_hi:[0,1,1] neg_lo:[1,0,0] neg_hi:[1,0,0]
	v_pk_fma_f32 v[46:47], v[12:13], v[8:9], v[46:47] op_sel_hi:[0,1,1] neg_lo:[1,0,0] neg_hi:[1,0,0]
.LBB38_63:
	s_mul_i32 s8, s6, 0x84
	v_mov_b32_e32 v40, s8
	ds_read_b128 v[32:35], v40
	ds_read_b128 v[6:9], v40 offset:16
	ds_read2_b32 v[12:13], v40 offset0:33 offset1:34
	s_or_b32 s9, s15, 32
	v_add_u32_e32 v86, 0x1000, v5
	s_waitcnt lgkmcnt(2)
	v_mul_f32_e32 v87, v32, v2
	v_fma_f32 v28, -v87, v33, v3
	ds_write_b32 v4, v87
	ds_read_b128 v[2:5], v40 offset:32
	s_waitcnt lgkmcnt(2)
	v_mul_f32_e32 v88, v12, v28
	v_or_b32_e32 v12, s9, v0
	s_add_i32 s9, s6, s9
	ds_read2_b64 v[42:45], v40 offset0:33 offset1:34
	ds_read2_b32 v[36:37], v40 offset0:99 offset1:100
	s_lshl_b32 s9, s9, 2
	v_lshlrev_b32_e32 v12, 2, v12
	v_fma_f32 v10, -v87, v34, v10
	v_mov_b32_e32 v72, s9
	ds_write_b32 v12, v88 offset:4096
	v_fma_f32 v10, -v88, v13, v10
	ds_read2_b32 v[12:13], v72 offset0:3 offset1:4
	s_or_b32 s18, s15, 64
	s_waitcnt lgkmcnt(3)
	v_mul_f32_e32 v89, v42, v10
	v_or_b32_e32 v10, s18, v0
	v_lshlrev_b32_e32 v10, 2, v10
	ds_write_b32 v10, v89 offset:4096
	v_fma_f32 v10, -v87, v35, v11
	s_waitcnt lgkmcnt(1)
	v_fma_f32 v10, -v88, v12, v10
	s_add_i32 s9, s6, s18
	v_fma_f32 v10, -v89, v43, v10
	s_or_b32 s18, s15, 0x60
	v_mul_f32_e32 v90, v36, v10
	v_or_b32_e32 v10, s18, v0
	v_lshlrev_b32_e32 v10, 2, v10
	v_fma_f32 v6, -v87, v6, v26
	ds_read2_b32 v[34:35], v72 offset0:5 offset1:6
	ds_read2_b32 v[32:33], v72 offset0:7 offset1:8
	;; [unrolled: 1-line block ×3, first 2 shown]
	ds_write_b32 v10, v90 offset:4096
	v_fma_f32 v6, -v88, v13, v6
	ds_read_b128 v[10:13], v40 offset:528
	s_add_i32 s18, s6, s18
	v_fma_f32 v6, -v89, v44, v6
	s_lshl_b32 s19, s18, 2
	v_fma_f32 v6, -v90, v37, v6
	ds_read2_b32 v[36:37], v40 offset0:165 offset1:166
	s_or_b32 s18, s15, 0x80
	v_mov_b32_e32 v78, s19
	s_waitcnt lgkmcnt(1)
	v_mul_f32_e32 v91, v10, v6
	v_or_b32_e32 v6, s18, v0
	ds_read2_b32 v[38:39], v78 offset0:5 offset1:6
	v_lshlrev_b32_e32 v6, 2, v6
	ds_write_b32 v6, v91 offset:4096
	v_fma_f32 v6, -v87, v7, v27
	s_lshl_b32 s9, s9, 2
	v_fma_f32 v6, -v88, v34, v6
	v_fma_f32 v10, -v89, v45, v6
	v_mov_b32_e32 v73, s9
	ds_read2_b32 v[6:7], v78 offset0:7 offset1:8
	ds_read2_b32 v[26:27], v78 offset0:9 offset1:10
	ds_read_b32 v92, v72 offset:108
	s_waitcnt lgkmcnt(4)
	v_fma_f32 v10, -v90, v38, v10
	ds_read2_b64 v[42:45], v73 offset0:3 offset1:4
	ds_read_b32 v94, v78 offset:108
	v_fma_f32 v10, -v91, v11, v10
	s_or_b32 s19, s15, 0xa0
	v_mul_f32_e32 v93, v36, v10
	v_or_b32_e32 v10, s19, v0
	v_lshlrev_b32_e32 v10, 2, v10
	v_fma_f32 v8, -v87, v8, v24
	ds_write_b32 v10, v93 offset:4096
	v_fma_f32 v8, -v88, v35, v8
	ds_read2_b32 v[10:11], v40 offset0:198 offset1:231
	s_waitcnt lgkmcnt(3)
	v_fma_f32 v8, -v89, v42, v8
	v_fma_f32 v8, -v90, v39, v8
	;; [unrolled: 1-line block ×3, first 2 shown]
	s_add_i32 s9, s6, s19
	v_fma_f32 v8, -v93, v37, v8
	s_or_b32 s19, s15, 0xc0
	s_waitcnt lgkmcnt(0)
	v_mul_f32_e32 v95, v10, v8
	v_or_b32_e32 v8, s19, v0
	v_lshlrev_b32_e32 v8, 2, v8
	s_lshl_b32 s9, s9, 2
	ds_write_b32 v8, v95 offset:4096
	v_fma_f32 v8, -v87, v9, v25
	v_fma_f32 v8, -v88, v32, v8
	v_mov_b32_e32 v105, s9
	s_add_i32 s9, s6, s19
	v_fma_f32 v8, -v89, v43, v8
	s_lshl_b32 s9, s9, 2
	v_fma_f32 v6, -v90, v6, v8
	v_mov_b32_e32 v103, s9
	ds_read2_b32 v[8:9], v105 offset0:7 offset1:8
	ds_read2_b32 v[24:25], v105 offset0:9 offset1:10
	;; [unrolled: 1-line block ×3, first 2 shown]
	ds_read_b64 v[54:55], v73 offset:104
	ds_read2_b32 v[42:43], v103 offset0:7 offset1:8
	s_add_i32 s18, s6, s18
	v_fma_f32 v6, -v91, v13, v6
	s_lshl_b32 s18, s18, 2
	s_waitcnt lgkmcnt(4)
	v_fma_f32 v6, -v93, v8, v6
	s_waitcnt lgkmcnt(0)
	v_fma_f32 v6, -v95, v42, v6
	v_mov_b32_e32 v79, s18
	ds_read2_b32 v[60:61], v103 offset0:9 offset1:10
	ds_read2_b32 v[66:67], v103 offset0:11 offset1:12
	;; [unrolled: 1-line block ×3, first 2 shown]
	s_or_b32 s9, s15, 0xe0
	v_mul_f32_e32 v96, v11, v6
	ds_read_b128 v[10:13], v79 offset:32
	v_or_b32_e32 v6, s9, v0
	v_fma_f32 v2, -v87, v2, v16
	s_add_i32 s9, s6, s9
	v_fma_f32 v2, -v88, v33, v2
	ds_read_b128 v[32:35], v79 offset:48
	s_lshl_b32 s9, s9, 2
	v_fma_f32 v2, -v89, v44, v2
	v_mov_b32_e32 v150, s9
	v_fma_f32 v2, -v90, v7, v2
	ds_read_b128 v[36:39], v150 offset:32
	s_waitcnt lgkmcnt(2)
	v_fma_f32 v2, -v91, v10, v2
	ds_read_b32 v10, v40 offset:1056
	v_fma_f32 v2, -v93, v9, v2
	v_lshlrev_b32_e32 v6, 2, v6
	v_fma_f32 v2, -v95, v43, v2
	ds_write_b32 v6, v96 offset:4096
	ds_read_b128 v[6:9], v79 offset:96
	s_waitcnt lgkmcnt(3)
	v_fma_f32 v2, -v96, v36, v2
	s_or_b32 s9, s15, 0x100
	s_waitcnt lgkmcnt(2)
	v_mul_f32_e32 v97, v10, v2
	v_or_b32_e32 v2, s9, v0
	v_lshlrev_b32_e32 v2, 2, v2
	ds_write_b32 v2, v97 offset:4096
	v_fma_f32 v2, -v87, v3, v17
	v_fma_f32 v2, -v88, v28, v2
	;; [unrolled: 1-line block ×4, first 2 shown]
	s_add_i32 s9, s6, s9
	s_or_b32 s18, s6, 9
	v_fma_f32 v2, -v91, v11, v2
	s_lshl_b32 s9, s9, 2
	v_fma_f32 v2, -v93, v24, v2
	v_mov_b32_e32 v144, s9
	s_mul_i32 s9, s18, 0x84
	v_fma_f32 v2, -v95, v60, v2
	v_mov_b32_e32 v10, s9
	v_fma_f32 v16, -v96, v37, v2
	ds_read2_b32 v[2:3], v144 offset0:9 offset1:10
	ds_read2_b32 v[44:45], v144 offset0:11 offset1:12
	;; [unrolled: 1-line block ×4, first 2 shown]
	ds_read2_b32 v[10:11], v10 offset1:1
	s_waitcnt lgkmcnt(4)
	v_fma_f32 v2, -v97, v2, v16
	s_lshl_b32 s9, s18, 5
	ds_read2_b32 v[56:57], v144 offset0:25 offset1:26
	ds_read_b32 v99, v144 offset:108
	ds_read2_b64 v[40:43], v73 offset0:5 offset1:6
	ds_read2_b64 v[62:65], v73 offset0:7 offset1:8
	s_waitcnt lgkmcnt(4)
	v_mul_f32_e32 v98, v10, v2
	v_or_b32_e32 v2, s9, v0
	v_lshlrev_b32_e32 v2, 2, v2
	ds_write_b32 v2, v98 offset:4096
	v_fma_f32 v2, -v87, v4, v14
	v_fma_f32 v2, -v88, v29, v2
	s_waitcnt lgkmcnt(2)
	v_fma_f32 v2, -v89, v40, v2
	v_fma_f32 v2, -v90, v27, v2
	;; [unrolled: 1-line block ×4, first 2 shown]
	s_or_b32 s18, s6, 10
	v_fma_f32 v2, -v95, v61, v2
	v_fma_f32 v2, -v96, v38, v2
	s_mul_i32 s19, s18, 0x84
	v_fma_f32 v2, -v97, v3, v2
	v_mov_b32_e32 v3, s19
	ds_read2_b64 v[24:27], v3 offset1:1
	ds_read2_b32 v[16:17], v72 offset0:11 offset1:12
	v_fma_f32 v4, -v98, v11, v2
	s_lshl_b32 s18, s18, 5
	s_add_i32 s9, s6, s9
	s_waitcnt lgkmcnt(1)
	v_mul_f32_e32 v100, v24, v4
	v_or_b32_e32 v4, s18, v0
	s_lshl_b32 s9, s9, 2
	v_lshlrev_b32_e32 v4, 2, v4
	v_mov_b32_e32 v151, s9
	ds_write_b32 v4, v100 offset:4096
	v_fma_f32 v4, -v87, v5, v15
	ds_read2_b32 v[2:3], v151 offset0:11 offset1:12
	ds_read2_b32 v[28:29], v72 offset0:13 offset1:14
	;; [unrolled: 1-line block ×4, first 2 shown]
	s_waitcnt lgkmcnt(5)
	v_fma_f32 v10, -v88, v16, v4
	ds_read2_b32 v[4:5], v78 offset0:11 offset1:12
	v_fma_f32 v10, -v89, v41, v10
	s_or_b32 s9, s6, 11
	s_mul_i32 s19, s9, 0x84
	s_add_i32 s15, s6, s15
	s_waitcnt lgkmcnt(0)
	v_fma_f32 v4, -v90, v4, v10
	v_fma_f32 v4, -v91, v13, v4
	;; [unrolled: 1-line block ×7, first 2 shown]
	v_mov_b32_e32 v4, s19
	s_lshl_b32 s15, s15, 2
	ds_read2_b32 v[74:75], v78 offset0:13 offset1:14
	ds_read2_b32 v[118:119], v78 offset0:15 offset1:16
	;; [unrolled: 1-line block ×3, first 2 shown]
	ds_read2_b32 v[40:41], v4 offset1:1
	v_mov_b32_e32 v114, s15
	ds_read_b128 v[10:13], v114 offset:48
	v_fma_f32 v2, -v100, v25, v2
	s_lshl_b32 s9, s9, 5
	s_waitcnt lgkmcnt(1)
	v_mul_f32_e32 v101, v40, v2
	v_or_b32_e32 v2, s9, v0
	v_lshlrev_b32_e32 v2, 2, v2
	ds_write_b32 v2, v101 offset:4096
	s_waitcnt lgkmcnt(1)
	v_fma_f32 v2, -v87, v10, v20
	v_fma_f32 v2, -v88, v17, v2
	;; [unrolled: 1-line block ×3, first 2 shown]
	ds_read_b128 v[36:39], v150 offset:48
	v_fma_f32 v2, -v90, v5, v2
	v_fma_f32 v2, -v91, v32, v2
	;; [unrolled: 1-line block ×4, first 2 shown]
	s_or_b32 s15, s6, 12
	s_waitcnt lgkmcnt(0)
	v_fma_f32 v2, -v96, v36, v2
	v_fma_f32 v2, -v97, v45, v2
	s_mul_i32 s19, s15, 0x84
	v_fma_f32 v2, -v98, v3, v2
	v_mov_b32_e32 v3, s19
	ds_read_b128 v[14:17], v150 offset:64
	ds_read_b128 v[58:61], v3
	v_fma_f32 v2, -v100, v26, v2
	v_fma_f32 v10, -v101, v41, v2
	s_lshl_b32 s15, s15, 5
	ds_read_b128 v[2:5], v114 offset:96
	s_waitcnt lgkmcnt(1)
	v_mul_f32_e32 v102, v58, v10
	v_or_b32_e32 v10, s15, v0
	v_lshlrev_b32_e32 v10, 2, v10
	ds_write_b32 v10, v102 offset:4096
	v_fma_f32 v10, -v87, v11, v21
	v_fma_f32 v10, -v88, v28, v10
	;; [unrolled: 1-line block ×4, first 2 shown]
	ds_read2_b32 v[10:11], v105 offset0:13 offset1:14
	v_fma_f32 v20, -v91, v33, v20
	ds_read2_b32 v[24:25], v105 offset0:15 offset1:16
	ds_read2_b32 v[44:45], v105 offset0:17 offset1:18
	;; [unrolled: 1-line block ×3, first 2 shown]
	s_add_i32 s9, s6, s9
	s_lshl_b32 s9, s9, 2
	s_waitcnt lgkmcnt(3)
	v_fma_f32 v10, -v93, v10, v20
	ds_read2_b32 v[20:21], v151 offset0:13 offset1:14
	v_fma_f32 v10, -v95, v68, v10
	s_or_b32 s19, s6, 13
	v_fma_f32 v10, -v96, v37, v10
	v_mov_b32_e32 v152, s9
	v_fma_f32 v10, -v97, v70, v10
	ds_read2_b32 v[36:37], v151 offset0:15 offset1:16
	ds_read2_b32 v[130:131], v151 offset0:17 offset1:18
	;; [unrolled: 1-line block ×4, first 2 shown]
	s_add_i32 s9, s6, s15
	s_mul_i32 s15, s19, 0x84
	s_waitcnt lgkmcnt(4)
	v_fma_f32 v10, -v98, v20, v10
	v_mov_b32_e32 v20, s15
	v_fma_f32 v10, -v100, v27, v10
	ds_read2_b32 v[122:123], v152 offset0:15 offset1:16
	ds_read2_b32 v[134:135], v152 offset0:17 offset1:18
	;; [unrolled: 1-line block ×3, first 2 shown]
	ds_read2_b32 v[26:27], v20 offset1:1
	s_add_i32 s18, s6, s18
	s_lshl_b32 s18, s18, 2
	s_waitcnt lgkmcnt(4)
	v_fma_f32 v10, -v101, v66, v10
	v_fma_f32 v10, -v102, v59, v10
	s_lshl_b32 s15, s19, 5
	v_mov_b32_e32 v146, s18
	ds_read_b64 v[58:59], v146 offset:104
	s_waitcnt lgkmcnt(1)
	v_mul_f32_e32 v104, v26, v10
	v_or_b32_e32 v10, s15, v0
	v_lshlrev_b32_e32 v10, 2, v10
	ds_write_b32 v10, v104 offset:4096
	v_fma_f32 v10, -v87, v12, v18
	v_fma_f32 v10, -v88, v29, v10
	;; [unrolled: 1-line block ×5, first 2 shown]
	ds_read2_b64 v[40:43], v146 offset0:7 offset1:8
	v_fma_f32 v10, -v93, v11, v10
	s_or_b32 s18, s6, 14
	v_fma_f32 v10, -v95, v69, v10
	v_fma_f32 v10, -v96, v38, v10
	s_mul_i32 s19, s18, 0x84
	v_fma_f32 v10, -v97, v71, v10
	v_mov_b32_e32 v11, s19
	ds_read2_b64 v[106:109], v11 offset1:1
	v_fma_f32 v10, -v98, v21, v10
	s_waitcnt lgkmcnt(1)
	v_fma_f32 v10, -v100, v40, v10
	v_fma_f32 v10, -v101, v67, v10
	;; [unrolled: 1-line block ×4, first 2 shown]
	s_lshl_b32 s18, s18, 5
	s_waitcnt lgkmcnt(0)
	v_mul_f32_e32 v153, v106, v10
	v_or_b32_e32 v10, s18, v0
	v_lshlrev_b32_e32 v10, 2, v10
	ds_write_b32 v10, v153 offset:4096
	v_fma_f32 v10, -v87, v13, v19
	v_fma_f32 v10, -v88, v80, v10
	;; [unrolled: 1-line block ×5, first 2 shown]
	ds_read2_b32 v[10:11], v103 offset0:15 offset1:16
	s_add_i32 s15, s6, s15
	v_fma_f32 v12, -v93, v24, v12
	s_lshl_b32 s15, s15, 2
	v_mov_b32_e32 v18, s15
	s_waitcnt lgkmcnt(0)
	v_fma_f32 v10, -v95, v10, v12
	v_fma_f32 v10, -v96, v39, v10
	ds_read2_b32 v[132:133], v103 offset0:17 offset1:18
	ds_read2_b32 v[138:139], v103 offset0:19 offset1:20
	;; [unrolled: 1-line block ×3, first 2 shown]
	v_fma_f32 v10, -v97, v76, v10
	ds_read2_b32 v[12:13], v18 offset0:15 offset1:16
	v_fma_f32 v10, -v98, v36, v10
	v_fma_f32 v10, -v100, v41, v10
	s_or_b32 s19, s6, 15
	v_fma_f32 v10, -v101, v122, v10
	v_fma_f32 v10, -v102, v61, v10
	s_add_i32 s15, s6, s18
	s_mul_i32 s18, s19, 0x84
	s_waitcnt lgkmcnt(0)
	v_fma_f32 v10, -v104, v12, v10
	v_mov_b32_e32 v12, s18
	ds_read2_b32 v[136:137], v18 offset0:17 offset1:18
	ds_read2_b32 v[140:141], v18 offset0:19 offset1:20
	;; [unrolled: 1-line block ×3, first 2 shown]
	ds_read2_b32 v[38:39], v12 offset1:1
	ds_read2_b32 v[62:63], v18 offset0:23 offset1:24
	ds_read2_b32 v[60:61], v18 offset0:25 offset1:26
	ds_read_b32 v154, v18 offset:108
	ds_read_b128 v[110:113], v114 offset:64
	ds_read_b128 v[18:21], v114 offset:80
	v_fma_f32 v10, -v153, v107, v10
	s_lshl_b32 s18, s19, 5
	s_waitcnt lgkmcnt(5)
	v_mul_f32_e32 v155, v38, v10
	v_or_b32_e32 v10, s18, v0
	v_lshlrev_b32_e32 v10, 2, v10
	ds_read_b128 v[114:117], v79 offset:64
	ds_write_b32 v10, v155 offset:4096
	s_waitcnt lgkmcnt(3)
	v_fma_f32 v10, -v87, v110, v22
	v_fma_f32 v10, -v88, v81, v10
	;; [unrolled: 1-line block ×4, first 2 shown]
	s_waitcnt lgkmcnt(1)
	v_fma_f32 v10, -v91, v114, v10
	s_lshl_b32 s9, s9, 2
	v_fma_f32 v10, -v93, v25, v10
	v_fma_f32 v10, -v95, v11, v10
	v_mov_b32_e32 v11, s9
	v_fma_f32 v10, -v96, v14, v10
	ds_read_b128 v[118:121], v11 offset:64
	s_or_b32 s19, s6, 16
	v_fma_f32 v10, -v97, v77, v10
	v_fma_f32 v10, -v98, v37, v10
	ds_read_b128 v[34:37], v11 offset:80
	s_add_i32 s9, s6, s18
	s_mul_i32 s18, s19, 0x84
	v_fma_f32 v10, -v100, v42, v10
	v_mov_b32_e32 v12, s18
	v_fma_f32 v10, -v101, v123, v10
	ds_read_b128 v[122:125], v12
	s_waitcnt lgkmcnt(2)
	v_fma_f32 v10, -v102, v118, v10
	v_fma_f32 v10, -v104, v13, v10
	;; [unrolled: 1-line block ×4, first 2 shown]
	ds_read2_b32 v[38:39], v144 offset0:17 offset1:18
	s_lshl_b32 s18, s19, 5
	s_waitcnt lgkmcnt(1)
	v_mul_f32_e32 v156, v122, v14
	v_or_b32_e32 v14, s18, v0
	v_lshlrev_b32_e32 v14, 2, v14
	ds_write_b32 v14, v156 offset:4096
	v_fma_f32 v14, -v87, v111, v23
	v_fma_f32 v14, -v88, v126, v14
	;; [unrolled: 1-line block ×8, first 2 shown]
	s_waitcnt lgkmcnt(1)
	v_fma_f32 v14, -v97, v38, v14
	v_fma_f32 v14, -v98, v130, v14
	v_fma_f32 v14, -v100, v43, v14
	s_lshl_b32 s9, s9, 2
	v_fma_f32 v14, -v101, v134, v14
	v_fma_f32 v14, -v102, v119, v14
	v_mov_b32_e32 v23, s9
	ds_read_b128 v[26:29], v79 offset:80
	ds_read_b128 v[10:13], v11 offset:96
	ds_read2_b32 v[114:115], v144 offset0:19 offset1:20
	ds_read2_b32 v[142:143], v144 offset0:21 offset1:22
	;; [unrolled: 1-line block ×3, first 2 shown]
	v_fma_f32 v22, -v104, v136, v14
	ds_read2_b32 v[14:15], v23 offset0:17 offset1:18
	s_or_b32 s19, s6, 17
	v_fma_f32 v22, -v153, v109, v22
	s_add_i32 s9, s6, s18
	s_mul_i32 s18, s19, 0x84
	s_waitcnt lgkmcnt(0)
	v_fma_f32 v14, -v155, v14, v22
	v_mov_b32_e32 v22, s18
	ds_read2_b32 v[118:119], v23 offset0:19 offset1:20
	ds_read2_b32 v[144:145], v23 offset0:21 offset1:22
	;; [unrolled: 1-line block ×3, first 2 shown]
	ds_read2_b32 v[64:65], v22 offset1:1
	v_fma_f32 v14, -v156, v123, v14
	s_lshl_b32 s18, s19, 5
	ds_read2_b32 v[66:67], v23 offset0:25 offset1:26
	ds_read_b32 v157, v23 offset:108
	ds_read2_b64 v[106:109], v73 offset0:9 offset1:10
	s_waitcnt lgkmcnt(3)
	v_mul_f32_e32 v158, v64, v14
	v_or_b32_e32 v14, s18, v0
	v_lshlrev_b32_e32 v14, 2, v14
	ds_write_b32 v14, v158 offset:4096
	v_fma_f32 v14, -v87, v112, v30
	v_fma_f32 v14, -v88, v127, v14
	s_waitcnt lgkmcnt(1)
	v_fma_f32 v14, -v89, v106, v14
	v_fma_f32 v14, -v90, v129, v14
	;; [unrolled: 1-line block ×4, first 2 shown]
	ds_read2_b64 v[126:129], v146 offset0:9 offset1:10
	v_fma_f32 v14, -v95, v133, v14
	s_lshl_b32 s15, s15, 2
	v_fma_f32 v14, -v96, v16, v14
	v_fma_f32 v14, -v97, v39, v14
	ds_read2_b64 v[38:41], v146 offset0:11 offset1:12
	v_mov_b32_e32 v16, s15
	ds_read2_b64 v[22:25], v73 offset0:11 offset1:12
	v_fma_f32 v14, -v98, v131, v14
	ds_read2_b64 v[130:133], v16 offset0:9 offset1:10
	s_waitcnt lgkmcnt(3)
	v_fma_f32 v14, -v100, v126, v14
	v_fma_f32 v14, -v101, v135, v14
	v_fma_f32 v14, -v102, v120, v14
	s_or_b32 s19, s6, 18
	v_fma_f32 v14, -v104, v137, v14
	s_waitcnt lgkmcnt(0)
	v_fma_f32 v14, -v153, v130, v14
	s_add_i32 s15, s6, s18
	s_mul_i32 s18, s19, 0x84
	v_fma_f32 v14, -v155, v15, v14
	v_mov_b32_e32 v15, s18
	ds_read2_b64 v[42:45], v16 offset0:11 offset1:12
	ds_read2_b64 v[134:137], v15 offset1:1
	v_fma_f32 v14, -v156, v124, v14
	v_fma_f32 v14, -v158, v65, v14
	s_lshl_b32 s18, s19, 5
	ds_read_b64 v[64:65], v16 offset:104
	s_waitcnt lgkmcnt(1)
	v_mul_f32_e32 v159, v134, v14
	v_or_b32_e32 v14, s18, v0
	v_lshlrev_b32_e32 v14, 2, v14
	ds_write_b32 v14, v159 offset:4096
	ds_read2_b32 v[14:15], v72 offset0:19 offset1:20
	v_fma_f32 v16, -v87, v113, v31
	ds_read2_b32 v[122:123], v72 offset0:21 offset1:22
	ds_read2_b32 v[146:147], v72 offset0:23 offset1:24
	;; [unrolled: 1-line block ×4, first 2 shown]
	s_lshl_b32 s15, s15, 2
	s_waitcnt lgkmcnt(4)
	v_fma_f32 v14, -v88, v14, v16
	v_fma_f32 v14, -v89, v107, v14
	s_or_b32 s19, s6, 19
	s_waitcnt lgkmcnt(0)
	v_fma_f32 v14, -v90, v30, v14
	v_fma_f32 v14, -v91, v117, v14
	;; [unrolled: 1-line block ×11, first 2 shown]
	v_mov_b32_e32 v16, s15
	ds_read2_b32 v[106:107], v78 offset0:21 offset1:22
	ds_read2_b32 v[148:149], v78 offset0:23 offset1:24
	;; [unrolled: 1-line block ×3, first 2 shown]
	v_fma_f32 v14, -v153, v131, v14
	ds_read2_b32 v[116:117], v16 offset0:19 offset1:20
	s_add_i32 s15, s6, s18
	s_mul_i32 s18, s19, 0x84
	v_fma_f32 v14, -v155, v118, v14
	v_mov_b32_e32 v17, s18
	v_fma_f32 v14, -v156, v125, v14
	ds_read2_b32 v[120:121], v16 offset0:21 offset1:22
	ds_read2_b32 v[124:125], v16 offset0:23 offset1:24
	;; [unrolled: 1-line block ×3, first 2 shown]
	ds_read2_b32 v[126:127], v17 offset1:1
	ds_read_b32 v138, v16 offset:108
	s_waitcnt lgkmcnt(5)
	v_fma_f32 v14, -v158, v116, v14
	v_fma_f32 v14, -v159, v135, v14
	s_lshl_b32 s18, s19, 5
	s_waitcnt lgkmcnt(1)
	v_mul_f32_e32 v140, v126, v14
	v_or_b32_e32 v14, s18, v0
	v_lshlrev_b32_e32 v14, 2, v14
	ds_write_b32 v14, v140 offset:4096
	v_fma_f32 v14, -v87, v18, v52
	v_fma_f32 v14, -v88, v15, v14
	;; [unrolled: 1-line block ×3, first 2 shown]
	ds_read_b128 v[110:113], v150 offset:80
	v_fma_f32 v14, -v90, v31, v14
	v_fma_f32 v14, -v91, v26, v14
	v_fma_f32 v14, -v93, v33, v14
	v_fma_f32 v18, -v95, v139, v14
	s_waitcnt lgkmcnt(0)
	v_fma_f32 v18, -v96, v110, v18
	v_fma_f32 v18, -v97, v115, v18
	s_lshl_b32 s9, s9, 2
	v_fma_f32 v18, -v98, v83, v18
	v_fma_f32 v18, -v100, v128, v18
	v_mov_b32_e32 v26, s9
	v_fma_f32 v18, -v101, v85, v18
	ds_read_b128 v[82:85], v26 offset:80
	ds_read_b128 v[30:33], v26 offset:96
	v_fma_f32 v18, -v102, v34, v18
	v_fma_f32 v18, -v104, v141, v18
	s_or_b32 s19, s6, 20
	v_fma_f32 v18, -v153, v132, v18
	v_fma_f32 v18, -v155, v119, v18
	s_add_i32 s9, s6, s18
	s_mul_i32 s18, s19, 0x84
	s_waitcnt lgkmcnt(1)
	v_fma_f32 v18, -v156, v82, v18
	v_mov_b32_e32 v26, s18
	v_fma_f32 v18, -v158, v117, v18
	ds_read_b128 v[114:117], v26
	v_fma_f32 v18, -v159, v136, v18
	s_lshl_b32 s9, s9, 2
	v_fma_f32 v18, -v140, v127, v18
	s_lshl_b32 s18, s19, 5
	v_mov_b32_e32 v132, s9
	ds_read2_b32 v[118:119], v132 offset0:21 offset1:22
	s_waitcnt lgkmcnt(1)
	v_mul_f32_e32 v136, v114, v18
	v_or_b32_e32 v18, s18, v0
	v_lshlrev_b32_e32 v18, 2, v18
	ds_write_b32 v18, v136 offset:4096
	v_fma_f32 v18, -v87, v19, v53
	v_fma_f32 v18, -v88, v122, v18
	;; [unrolled: 1-line block ×3, first 2 shown]
	ds_read_b128 v[14:17], v150 offset:96
	v_fma_f32 v26, -v90, v106, v18
	ds_read2_b32 v[18:19], v105 offset0:21 offset1:22
	v_fma_f32 v34, -v91, v27, v26
	ds_read2_b32 v[26:27], v105 offset0:23 offset1:24
	ds_read2_b32 v[52:53], v105 offset0:25 offset1:26
	ds_read_b32 v105, v105 offset:108
	ds_read2_b32 v[108:109], v151 offset0:21 offset1:22
	s_or_b32 s9, s6, 21
	s_waitcnt lgkmcnt(4)
	v_fma_f32 v18, -v93, v18, v34
	v_fma_f32 v18, -v95, v68, v18
	;; [unrolled: 1-line block ×3, first 2 shown]
	ds_read2_b32 v[110:111], v151 offset0:23 offset1:24
	ds_read2_b32 v[126:127], v151 offset0:25 offset1:26
	ds_read_b32 v122, v151 offset:108
	ds_read2_b32 v[130:131], v152 offset0:21 offset1:22
	v_fma_f32 v18, -v97, v142, v18
	s_waitcnt lgkmcnt(4)
	v_fma_f32 v18, -v98, v108, v18
	v_fma_f32 v18, -v100, v129, v18
	s_mul_i32 s19, s9, 0x84
	s_waitcnt lgkmcnt(0)
	v_fma_f32 v18, -v101, v130, v18
	v_fma_f32 v18, -v102, v35, v18
	;; [unrolled: 1-line block ×5, first 2 shown]
	v_mov_b32_e32 v34, s19
	ds_read2_b32 v[128:129], v152 offset0:23 offset1:24
	ds_read2_b32 v[134:135], v152 offset0:25 offset1:26
	ds_read_b32 v139, v152 offset:108
	v_fma_f32 v18, -v156, v83, v18
	ds_read2_b32 v[34:35], v34 offset1:1
	v_fma_f32 v18, -v158, v120, v18
	v_fma_f32 v18, -v159, v137, v18
	;; [unrolled: 1-line block ×4, first 2 shown]
	s_lshl_b32 s9, s9, 5
	s_waitcnt lgkmcnt(0)
	v_mul_f32_e32 v130, v34, v18
	v_or_b32_e32 v18, s9, v0
	v_lshlrev_b32_e32 v18, 2, v18
	ds_read2_b32 v[82:83], v132 offset0:23 offset1:24
	ds_read2_b32 v[114:115], v132 offset0:25 offset1:26
	ds_read_b32 v74, v132 offset:108
	ds_write_b32 v18, v130 offset:4096
	v_fma_f32 v18, -v87, v20, v50
	v_fma_f32 v18, -v88, v123, v18
	;; [unrolled: 1-line block ×11, first 2 shown]
	s_lshl_b32 s15, s15, 2
	v_fma_f32 v18, -v101, v131, v18
	v_fma_f32 v18, -v102, v36, v18
	v_mov_b32_e32 v19, s15
	v_fma_f32 v18, -v104, v75, v18
	ds_read2_b64 v[106:109], v19 offset0:11 offset1:12
	ds_read_b64 v[68:69], v19 offset:104
	v_fma_f32 v18, -v153, v42, v18
	v_fma_f32 v18, -v155, v145, v18
	s_or_b32 s19, s6, 22
	v_fma_f32 v18, -v156, v84, v18
	v_fma_f32 v18, -v158, v121, v18
	s_mul_i32 s15, s19, 0x84
	s_waitcnt lgkmcnt(1)
	v_fma_f32 v18, -v159, v106, v18
	v_mov_b32_e32 v19, s15
	v_fma_f32 v18, -v140, v119, v18
	ds_read2_b64 v[118:121], v19 offset1:1
	s_add_i32 s9, s6, s9
	v_fma_f32 v18, -v136, v116, v18
	s_lshl_b32 s9, s9, 2
	v_fma_f32 v18, -v130, v35, v18
	s_lshl_b32 s15, s19, 5
	v_mov_b32_e32 v20, s9
	ds_read2_b32 v[34:35], v20 offset0:23 offset1:24
	s_waitcnt lgkmcnt(1)
	v_mul_f32_e32 v42, v118, v18
	v_or_b32_e32 v18, s15, v0
	v_lshlrev_b32_e32 v18, 2, v18
	ds_write_b32 v18, v42 offset:4096
	v_fma_f32 v18, -v87, v21, v51
	v_fma_f32 v18, -v88, v146, v18
	v_fma_f32 v18, -v89, v23, v18
	v_fma_f32 v21, -v90, v148, v18
	ds_read2_b32 v[18:19], v103 offset0:23 offset1:24
	v_fma_f32 v21, -v91, v29, v21
	v_fma_f32 v21, -v93, v26, v21
	;; [unrolled: 1-line block ×4, first 2 shown]
	s_waitcnt lgkmcnt(0)
	v_fma_f32 v18, -v95, v18, v21
	v_fma_f32 v18, -v96, v113, v18
	;; [unrolled: 1-line block ×12, first 2 shown]
	s_or_b32 s9, s6, 23
	v_fma_f32 v18, -v155, v76, v18
	v_fma_f32 v2, -v93, v27, v2
	;; [unrolled: 1-line block ×3, first 2 shown]
	s_mul_i32 s19, s9, 0x84
	v_fma_f32 v2, -v95, v19, v2
	v_fma_f32 v18, -v158, v124, v18
	v_mov_b32_e32 v21, s19
	v_fma_f32 v2, -v96, v14, v2
	ds_read2_b32 v[22:23], v103 offset0:25 offset1:26
	ds_read_b32 v50, v103 offset:108
	v_fma_f32 v18, -v159, v107, v18
	ds_read2_b32 v[36:37], v21 offset1:1
	v_fma_f32 v2, -v97, v71, v2
	v_fma_f32 v18, -v140, v82, v18
	;; [unrolled: 1-line block ×7, first 2 shown]
	s_add_i32 s18, s6, s18
	v_fma_f32 v18, -v42, v119, v18
	s_lshl_b32 s9, s9, 5
	v_fma_f32 v2, -v102, v10, v2
	s_lshl_b32 s18, s18, 2
	s_waitcnt lgkmcnt(0)
	v_mul_f32_e32 v36, v36, v18
	v_or_b32_e32 v18, s9, v0
	v_fma_f32 v2, -v104, v63, v2
	v_lshlrev_b32_e32 v18, 2, v18
	v_fma_f32 v2, -v153, v44, v2
	v_mov_b32_e32 v6, s18
	ds_read2_b32 v[38:39], v20 offset0:25 offset1:26
	ds_read_b32 v34, v20 offset:108
	ds_write_b32 v18, v36 offset:4096
	v_fma_f32 v2, -v155, v77, v2
	ds_read_b128 v[18:21], v6 offset:96
	s_or_b32 s19, s6, 24
	v_fma_f32 v2, -v156, v30, v2
	v_fma_f32 v2, -v158, v125, v2
	s_mul_i32 s18, s19, 0x84
	v_fma_f32 v2, -v159, v108, v2
	v_mov_b32_e32 v6, s18
	v_fma_f32 v2, -v140, v83, v2
	ds_read_b128 v[26:29], v6
	s_waitcnt lgkmcnt(1)
	v_fma_f32 v2, -v136, v18, v2
	v_fma_f32 v2, -v130, v35, v2
	;; [unrolled: 1-line block ×4, first 2 shown]
	s_waitcnt lgkmcnt(0)
	v_mul_f32_e32 v14, v26, v2
	v_lshl_or_b32 v2, s19, 7, v1
	ds_write_b32 v2, v14 offset:4096
	v_fma_f32 v2, -v87, v3, v49
	v_fma_f32 v2, -v88, v72, v2
	;; [unrolled: 1-line block ×19, first 2 shown]
	s_add_i32 s9, s6, s9
	v_fma_f32 v2, -v140, v114, v2
	s_lshl_b32 s9, s9, 2
	v_fma_f32 v2, -v136, v19, v2
	v_fma_f32 v2, -v130, v38, v2
	v_mov_b32_e32 v18, s9
	s_add_i32 s15, s6, s15
	s_or_b32 s18, s6, 25
	v_fma_f32 v15, -v42, v121, v2
	ds_read2_b32 v[2:3], v18 offset0:25 offset1:26
	s_lshl_b32 s15, s15, 2
	s_mul_i32 s9, s18, 0x84
	v_mov_b32_e32 v10, s9
	v_mov_b32_e32 v6, s15
	ds_read_b64 v[6:7], v6 offset:104
	ds_read2_b32 v[10:11], v10 offset1:1
	ds_read_b32 v18, v18 offset:108
	s_waitcnt lgkmcnt(3)
	v_fma_f32 v2, -v36, v2, v15
	v_fma_f32 v2, -v14, v27, v2
	s_lshl_b32 s9, s18, 5
	s_waitcnt lgkmcnt(1)
	v_mul_f32_e32 v10, v10, v2
	v_or_b32_e32 v2, s9, v0
	v_lshlrev_b32_e32 v2, 2, v2
	ds_write_b32 v2, v10 offset:4096
	v_fma_f32 v2, -v87, v4, v46
	v_fma_f32 v2, -v88, v73, v2
	;; [unrolled: 1-line block ×23, first 2 shown]
	s_or_b32 s15, s6, 26
	v_fma_f32 v2, -v36, v3, v2
	s_or_b32 s8, s6, 28
	v_fma_f32 v2, -v14, v28, v2
	s_add_i32 s6, s6, s9
	s_mul_i32 s9, s15, 0x84
	v_fma_f32 v4, -v10, v11, v2
	v_mov_b32_e32 v2, s9
	ds_read_b64 v[2:3], v2
	s_lshl_b32 s6, s6, 2
	v_mov_b32_e32 v6, s6
	s_mul_i32 s6, s14, 0x84
	v_mov_b32_e32 v8, s6
	s_waitcnt lgkmcnt(0)
	v_mul_f32_e32 v2, v2, v4
	v_lshl_or_b32 v1, s15, 7, v1
	ds_read_b32 v6, v6 offset:108
	ds_read_b32 v8, v8
	ds_write_b32 v1, v2 offset:4096
	v_fma_f32 v1, -v87, v5, v47
	v_fma_f32 v1, -v88, v92, v1
	;; [unrolled: 1-line block ×25, first 2 shown]
	s_waitcnt lgkmcnt(2)
	v_fma_f32 v1, -v10, v6, v1
	v_fma_f32 v1, -v2, v3, v1
	s_waitcnt lgkmcnt(1)
	v_mul_f32_e32 v1, v8, v1
	s_mov_b32 s6, s8
	ds_write_b32 v86, v1
.LBB38_64:
	s_cmp_ge_i32 s6, s26
	s_cbranch_scc1 .LBB38_75
; %bb.65:
	v_mov_b32_e32 v1, 0x1000
	s_add_i32 s8, s6, -1
	s_lshl_b32 s9, s6, 2
	v_lshl_or_b32 v1, v0, 2, v1
	s_mov_b32 s14, 0
	v_lshlrev_b32_e32 v2, 2, v0
	s_mov_b32 s15, s6
	s_branch .LBB38_67
.LBB38_66:                              ;   in Loop: Header=BB38_67 Depth=1
	s_mul_i32 s18, s6, 0x84
	v_mov_b32_e32 v5, s18
	ds_read_b32 v5, v5
	s_add_i32 s6, s6, 1
	s_add_i32 s14, s14, 1
	;; [unrolled: 1-line block ×3, first 2 shown]
	v_add_u16_e64 v6, s15, 1
	v_add_u32_e32 v4, 0x1000, v4
	s_waitcnt lgkmcnt(0)
	v_mul_f32_e32 v3, v5, v3
	s_cmp_ge_i32 s6, s26
	v_readfirstlane_b32 s15, v6
	ds_write_b32 v4, v3
	s_cbranch_scc1 .LBB38_75
.LBB38_67:                              ; =>This Loop Header: Depth=1
                                        ;     Child Loop BB38_70 Depth 2
                                        ;     Child Loop BB38_74 Depth 2
	v_lshl_or_b32 v4, s6, 7, v2
	ds_read_b32 v3, v4 offset:4096
	s_cmp_eq_u32 s6, 0
	s_cbranch_scc1 .LBB38_66
; %bb.68:                               ;   in Loop: Header=BB38_67 Depth=1
	s_add_i32 s18, s8, s14
	s_cmp_lt_u32 s18, 7
	s_cbranch_scc1 .LBB38_72
; %bb.69:                               ;   in Loop: Header=BB38_67 Depth=1
	s_and_b32 s18, s6, -8
	s_mov_b32 s19, 0
	v_mov_b32_e32 v5, v1
	s_mov_b32 s20, s9
.LBB38_70:                              ;   Parent Loop BB38_67 Depth=1
                                        ; =>  This Inner Loop Header: Depth=2
	ds_read2_b32 v[6:7], v5 offset1:32
	v_mov_b32_e32 v20, s20
	ds_read2_b32 v[8:9], v5 offset0:64 offset1:96
	ds_read2_b32 v[10:11], v5 offset0:128 offset1:160
	;; [unrolled: 1-line block ×3, first 2 shown]
	ds_read2_b32 v[14:15], v20 offset1:32
	ds_read2_b32 v[16:17], v20 offset0:64 offset1:96
	ds_read2_b32 v[18:19], v20 offset0:128 offset1:160
	ds_read2_b32 v[20:21], v20 offset0:192 offset1:224
	s_add_i32 s19, s19, 8
	s_waitcnt lgkmcnt(3)
	v_fma_f32 v3, -v6, v14, v3
	v_fma_f32 v3, -v7, v15, v3
	s_waitcnt lgkmcnt(2)
	v_fma_f32 v3, -v8, v16, v3
	v_fma_f32 v3, -v9, v17, v3
	;; [unrolled: 3-line block ×3, first 2 shown]
	s_addk_i32 s20, 0x400
	s_waitcnt lgkmcnt(0)
	v_fma_f32 v3, -v12, v20, v3
	v_add_u32_e32 v5, 0x400, v5
	s_cmp_lg_u32 s18, s19
	v_fma_f32 v3, -v13, v21, v3
	s_cbranch_scc1 .LBB38_70
; %bb.71:                               ;   in Loop: Header=BB38_67 Depth=1
	s_and_b32 s19, s6, 7
	s_cmp_eq_u32 s19, 0
	s_cbranch_scc0 .LBB38_73
	s_branch .LBB38_66
.LBB38_72:                              ;   in Loop: Header=BB38_67 Depth=1
	s_mov_b32 s18, 0
	s_and_b32 s19, s6, 7
	s_cmp_eq_u32 s19, 0
	s_cbranch_scc1 .LBB38_66
.LBB38_73:                              ;   in Loop: Header=BB38_67 Depth=1
	s_and_b32 s19, s15, 7
	s_lshl_b32 s18, s18, 7
.LBB38_74:                              ;   Parent Loop BB38_67 Depth=1
                                        ; =>  This Inner Loop Header: Depth=2
	s_add_i32 s20, s9, s18
	v_add_u32_e32 v5, s18, v1
	v_mov_b32_e32 v6, s20
	ds_read_b32 v5, v5
	ds_read_b32 v6, v6
	s_addk_i32 s18, 0x80
	s_add_i32 s19, s19, -1
	s_cmp_lg_u32 s19, 0
	s_waitcnt lgkmcnt(0)
	v_fma_f32 v3, -v5, v6, v3
	s_cbranch_scc1 .LBB38_74
	s_branch .LBB38_66
.LBB38_75:
	s_waitcnt lgkmcnt(0)
	; wave barrier
	s_waitcnt lgkmcnt(0)
	s_and_saveexec_b64 s[8:9], s[12:13]
	s_cbranch_execz .LBB38_87
; %bb.76:
	s_cmp_lt_i32 s10, 2
	s_cbranch_scc1 .LBB38_84
; %bb.77:
	s_add_i32 s8, s26, -2
	s_lshr_b32 s9, s8, 1
	s_add_i32 s9, s9, 1
	s_mov_b32 s10, 0
	s_mov_b32 s6, 1
	s_cmp_lt_u32 s8, 14
	s_mov_b32 s8, s10
	s_cbranch_scc1 .LBB38_80
; %bb.78:
	s_mul_i32 s8, s1, s7
	s_mul_hi_u32 s10, s0, s7
	s_add_i32 s15, s10, s8
	s_mul_i32 s14, s0, s7
	s_lshl_b64 s[18:19], s[4:5], 2
	v_lshlrev_b32_e32 v1, 2, v0
	s_and_b32 s12, s9, -8
	s_lshl_b64 s[14:15], s[14:15], 2
	v_mov_b32_e32 v2, s19
	v_add_co_u32_e32 v1, vcc, s18, v1
	s_lshl_b64 s[18:19], s[16:17], 2
	s_add_u32 s8, s2, s18
	s_addc_u32 s10, s3, s19
	s_add_u32 s14, s8, s14
	s_addc_u32 s15, s10, s15
	v_addc_co_u32_e32 v4, vcc, 0, v2, vcc
	v_pk_mov_b32 v[2:3], s[14:15], s[14:15] op_sel:[0,1]
	v_mad_u64_u32 v[2:3], s[14:15], v1, s22, v[2:3]
	v_mul_lo_u32 v1, v1, s11
	v_mul_lo_u32 v4, v4, s22
	v_add3_u32 v1, v4, v3, v1
	v_add_co_u32_e32 v2, vcc, 56, v2
	v_addc_co_u32_e32 v3, vcc, 0, v1, vcc
	s_mov_b32 s8, 0
	s_mov_b32 s10, 0
.LBB38_79:                              ; =>This Inner Loop Header: Depth=1
	s_lshl_b32 s13, s10, 5
	s_lshl_b32 s14, s6, 5
	v_or_b32_e32 v4, s13, v0
	s_add_i32 s15, s13, 64
	s_add_i32 s18, s14, 64
	;; [unrolled: 1-line block ×7, first 2 shown]
	s_addk_i32 s13, 0x1c0
	v_or_b32_e32 v1, s14, v0
	s_add_i32 s20, s14, 0x80
	s_add_i32 s23, s14, 0xc0
	s_add_i32 s25, s14, 0x100
	s_add_i32 s28, s14, 0x140
	s_add_i32 s30, s14, 0x180
	s_addk_i32 s14, 0x1c0
	v_or_b32_e32 v5, s18, v0
	v_or_b32_e32 v6, s15, v0
	;; [unrolled: 1-line block ×8, first 2 shown]
	v_lshlrev_b32_e32 v4, 2, v4
	v_or_b32_e32 v7, s20, v0
	v_or_b32_e32 v9, s23, v0
	;; [unrolled: 1-line block ×6, first 2 shown]
	v_lshlrev_b32_e32 v6, 2, v6
	v_lshlrev_b32_e32 v19, 2, v5
	;; [unrolled: 1-line block ×15, first 2 shown]
	ds_read_b32 v4, v4 offset:4096
	ds_read_b32 v5, v1 offset:4096
	;; [unrolled: 1-line block ×16, first 2 shown]
	s_add_i32 s8, s8, 16
	s_add_i32 s6, s6, 16
	;; [unrolled: 1-line block ×3, first 2 shown]
	s_add_i32 s12, s12, -8
	s_waitcnt lgkmcnt(12)
	global_store_dwordx4 v[2:3], v[4:7], off offset:-56
	s_waitcnt lgkmcnt(8)
	global_store_dwordx4 v[2:3], v[8:11], off offset:-40
	;; [unrolled: 2-line block ×4, first 2 shown]
	v_add_co_u32_e32 v2, vcc, 64, v2
	s_cmp_lg_u32 s12, 0
	v_addc_co_u32_e32 v3, vcc, 0, v3, vcc
	s_cbranch_scc1 .LBB38_79
.LBB38_80:
	s_and_b32 s12, s9, 7
	s_cmp_eq_u32 s12, 0
	s_mov_b32 s9, 0
	s_cbranch_scc1 .LBB38_83
; %bb.81:
	s_mul_i32 s13, s1, s7
	s_mul_hi_u32 s14, s0, s7
	s_add_i32 s15, s14, s13
	s_mul_i32 s14, s0, s7
	s_lshl_b64 s[18:19], s[4:5], 2
	v_lshlrev_b32_e32 v1, 2, v0
	s_lshl_b64 s[14:15], s[14:15], 2
	v_mov_b32_e32 v2, s19
	v_add_co_u32_e32 v4, vcc, s18, v1
	s_lshl_b64 s[18:19], s[16:17], 2
	s_lshl_b64 s[8:9], s[8:9], 2
	s_add_u32 s8, s2, s8
	s_addc_u32 s9, s3, s9
	s_add_u32 s8, s8, s18
	s_addc_u32 s9, s9, s19
	;; [unrolled: 2-line block ×3, first 2 shown]
	v_addc_co_u32_e32 v5, vcc, 0, v2, vcc
	v_pk_mov_b32 v[2:3], s[8:9], s[8:9] op_sel:[0,1]
	v_mad_u64_u32 v[2:3], s[8:9], v4, s22, v[2:3]
	v_mul_lo_u32 v4, v4, s11
	v_mul_lo_u32 v5, v5, s22
	v_add3_u32 v3, v5, v3, v4
	s_lshl_b32 s8, s12, 3
.LBB38_82:                              ; =>This Inner Loop Header: Depth=1
	v_lshl_or_b32 v4, s10, 7, v1
	v_lshl_or_b32 v5, s6, 7, v1
	ds_read_b32 v4, v4 offset:4096
	ds_read_b32 v5, v5 offset:4096
	s_add_i32 s6, s6, 2
	s_add_i32 s10, s10, 2
	s_add_i32 s8, s8, -8
	s_cmp_lg_u32 s8, 0
	s_waitcnt lgkmcnt(0)
	global_store_dwordx2 v[2:3], v[4:5], off
	v_add_co_u32_e32 v2, vcc, 8, v2
	v_addc_co_u32_e32 v3, vcc, 0, v3, vcc
	s_cbranch_scc1 .LBB38_82
.LBB38_83:
	s_and_b32 s10, s26, 62
	s_cmp_lg_u32 s26, s10
	s_cselect_b64 s[8:9], -1, 0
	s_and_b64 vcc, exec, s[8:9]
	s_cbranch_vccnz .LBB38_85
	s_branch .LBB38_87
.LBB38_84:
	s_mov_b32 s10, 0
	s_cbranch_execz .LBB38_87
.LBB38_85:
	v_lshlrev_b32_e32 v0, 2, v0
	s_mul_i32 s1, s1, s7
	s_mul_hi_u32 s8, s0, s7
	v_lshl_or_b32 v1, s10, 7, v0
	s_add_i32 s1, s8, s1
	s_mul_i32 s0, s0, s7
	s_lshl_b64 s[4:5], s[4:5], 2
	v_add_u32_e32 v2, 0x1000, v1
	s_sub_i32 s6, s26, s10
	s_lshl_b64 s[0:1], s[0:1], 2
	v_mov_b32_e32 v1, s5
	v_add_co_u32_e32 v3, vcc, s4, v0
	s_lshl_b64 s[4:5], s[16:17], 2
	s_lshl_b32 s7, s10, 2
	s_add_u32 s2, s2, s7
	s_addc_u32 s3, s3, 0
	s_add_u32 s2, s2, s4
	s_addc_u32 s3, s3, s5
	s_add_u32 s0, s2, s0
	s_addc_u32 s1, s3, s1
	v_addc_co_u32_e32 v4, vcc, 0, v1, vcc
	v_pk_mov_b32 v[0:1], s[0:1], s[0:1] op_sel:[0,1]
	v_mad_u64_u32 v[0:1], s[0:1], v3, s22, v[0:1]
	v_mul_lo_u32 v3, v3, s11
	v_mul_lo_u32 v4, v4, s22
	v_add3_u32 v1, v4, v1, v3
.LBB38_86:                              ; =>This Inner Loop Header: Depth=1
	ds_read_b32 v3, v2
	s_add_i32 s6, s6, -1
	v_add_u32_e32 v2, 0x80, v2
	s_cmp_lg_u32 s6, 0
	s_waitcnt lgkmcnt(0)
	global_store_dword v[0:1], v3, off
	v_add_co_u32_e32 v0, vcc, 4, v0
	v_addc_co_u32_e32 v1, vcc, 0, v1, vcc
	s_cbranch_scc1 .LBB38_86
.LBB38_87:
	s_endpgm
	.section	.rodata,"a",@progbits
	.p2align	6, 0x0
	.amdhsa_kernel _ZL38rocblas_trsm_small_left_device_sharedBILi32ELi32ELb1EffPKfPfEv13rocblas_fill_18rocblas_operation_17rocblas_diagonal_iiT3_T4_lilT5_lili
		.amdhsa_group_segment_fixed_size 8192
		.amdhsa_private_segment_fixed_size 0
		.amdhsa_kernarg_size 352
		.amdhsa_user_sgpr_count 6
		.amdhsa_user_sgpr_private_segment_buffer 1
		.amdhsa_user_sgpr_dispatch_ptr 0
		.amdhsa_user_sgpr_queue_ptr 0
		.amdhsa_user_sgpr_kernarg_segment_ptr 1
		.amdhsa_user_sgpr_dispatch_id 0
		.amdhsa_user_sgpr_flat_scratch_init 0
		.amdhsa_user_sgpr_kernarg_preload_length 0
		.amdhsa_user_sgpr_kernarg_preload_offset 0
		.amdhsa_user_sgpr_private_segment_size 0
		.amdhsa_uses_dynamic_stack 0
		.amdhsa_system_sgpr_private_segment_wavefront_offset 0
		.amdhsa_system_sgpr_workgroup_id_x 1
		.amdhsa_system_sgpr_workgroup_id_y 0
		.amdhsa_system_sgpr_workgroup_id_z 1
		.amdhsa_system_sgpr_workgroup_info 0
		.amdhsa_system_vgpr_workitem_id 0
		.amdhsa_next_free_vgpr 160
		.amdhsa_next_free_sgpr 48
		.amdhsa_accum_offset 160
		.amdhsa_reserve_vcc 1
		.amdhsa_reserve_flat_scratch 0
		.amdhsa_float_round_mode_32 0
		.amdhsa_float_round_mode_16_64 0
		.amdhsa_float_denorm_mode_32 3
		.amdhsa_float_denorm_mode_16_64 3
		.amdhsa_dx10_clamp 1
		.amdhsa_ieee_mode 1
		.amdhsa_fp16_overflow 0
		.amdhsa_tg_split 0
		.amdhsa_exception_fp_ieee_invalid_op 0
		.amdhsa_exception_fp_denorm_src 0
		.amdhsa_exception_fp_ieee_div_zero 0
		.amdhsa_exception_fp_ieee_overflow 0
		.amdhsa_exception_fp_ieee_underflow 0
		.amdhsa_exception_fp_ieee_inexact 0
		.amdhsa_exception_int_div_zero 0
	.end_amdhsa_kernel
	.section	.text._ZL38rocblas_trsm_small_left_device_sharedBILi32ELi32ELb1EffPKfPfEv13rocblas_fill_18rocblas_operation_17rocblas_diagonal_iiT3_T4_lilT5_lili,"axG",@progbits,_ZL38rocblas_trsm_small_left_device_sharedBILi32ELi32ELb1EffPKfPfEv13rocblas_fill_18rocblas_operation_17rocblas_diagonal_iiT3_T4_lilT5_lili,comdat
.Lfunc_end38:
	.size	_ZL38rocblas_trsm_small_left_device_sharedBILi32ELi32ELb1EffPKfPfEv13rocblas_fill_18rocblas_operation_17rocblas_diagonal_iiT3_T4_lilT5_lili, .Lfunc_end38-_ZL38rocblas_trsm_small_left_device_sharedBILi32ELi32ELb1EffPKfPfEv13rocblas_fill_18rocblas_operation_17rocblas_diagonal_iiT3_T4_lilT5_lili
                                        ; -- End function
	.section	.AMDGPU.csdata,"",@progbits
; Kernel info:
; codeLenInByte = 38484
; NumSgprs: 52
; NumVgprs: 160
; NumAgprs: 0
; TotalNumVgprs: 160
; ScratchSize: 0
; MemoryBound: 0
; FloatMode: 240
; IeeeMode: 1
; LDSByteSize: 8192 bytes/workgroup (compile time only)
; SGPRBlocks: 6
; VGPRBlocks: 19
; NumSGPRsForWavesPerEU: 52
; NumVGPRsForWavesPerEU: 160
; AccumOffset: 160
; Occupancy: 2
; WaveLimiterHint : 0
; COMPUTE_PGM_RSRC2:SCRATCH_EN: 0
; COMPUTE_PGM_RSRC2:USER_SGPR: 6
; COMPUTE_PGM_RSRC2:TRAP_HANDLER: 0
; COMPUTE_PGM_RSRC2:TGID_X_EN: 1
; COMPUTE_PGM_RSRC2:TGID_Y_EN: 0
; COMPUTE_PGM_RSRC2:TGID_Z_EN: 1
; COMPUTE_PGM_RSRC2:TIDIG_COMP_CNT: 0
; COMPUTE_PGM_RSRC3_GFX90A:ACCUM_OFFSET: 39
; COMPUTE_PGM_RSRC3_GFX90A:TG_SPLIT: 0
	.section	.text._ZL30rocblas_trsm_small_left_deviceILi32ELi32ELb1EffPKfPfEv13rocblas_fill_18rocblas_operation_17rocblas_diagonal_iiT3_T4_lilT5_lili,"axG",@progbits,_ZL30rocblas_trsm_small_left_deviceILi32ELi32ELb1EffPKfPfEv13rocblas_fill_18rocblas_operation_17rocblas_diagonal_iiT3_T4_lilT5_lili,comdat
	.globl	_ZL30rocblas_trsm_small_left_deviceILi32ELi32ELb1EffPKfPfEv13rocblas_fill_18rocblas_operation_17rocblas_diagonal_iiT3_T4_lilT5_lili ; -- Begin function _ZL30rocblas_trsm_small_left_deviceILi32ELi32ELb1EffPKfPfEv13rocblas_fill_18rocblas_operation_17rocblas_diagonal_iiT3_T4_lilT5_lili
	.p2align	8
	.type	_ZL30rocblas_trsm_small_left_deviceILi32ELi32ELb1EffPKfPfEv13rocblas_fill_18rocblas_operation_17rocblas_diagonal_iiT3_T4_lilT5_lili,@function
_ZL30rocblas_trsm_small_left_deviceILi32ELi32ELb1EffPKfPfEv13rocblas_fill_18rocblas_operation_17rocblas_diagonal_iiT3_T4_lilT5_lili: ; @_ZL30rocblas_trsm_small_left_deviceILi32ELi32ELb1EffPKfPfEv13rocblas_fill_18rocblas_operation_17rocblas_diagonal_iiT3_T4_lilT5_lili
; %bb.0:
	s_load_dwordx4 s[8:11], s[4:5], 0x4
	s_load_dword s16, s[4:5], 0x14
	s_load_dwordx4 s[0:3], s[4:5], 0x30
	s_load_dwordx2 s[20:21], s[4:5], 0x40
	s_mov_b32 s19, 0
	s_waitcnt lgkmcnt(0)
	s_min_i32 s18, s10, 32
	v_cmp_gt_i32_e32 vcc, s18, v0
	s_and_saveexec_b64 s[22:23], vcc
	s_cbranch_execz .LBB39_15
; %bb.1:
	s_load_dword s24, s[4:5], 0x28
	s_load_dwordx4 s[12:15], s[4:5], 0x18
	s_cmp_gt_u32 s18, 1
	s_cselect_b64 s[26:27], -1, 0
	s_mov_b32 s17, 1
	s_waitcnt lgkmcnt(0)
	s_cmp_eq_u32 s24, 1
	s_cselect_b64 s[28:29], -1, 0
	s_and_b64 s[28:29], s[26:27], s[28:29]
	s_mov_b64 s[26:27], -1
	s_and_b64 vcc, exec, s[28:29]
	s_cbranch_vccz .LBB39_9
; %bb.2:
	s_add_i32 s26, s18, -2
	s_lshr_b32 s25, s26, 1
	s_add_i32 s25, s25, 1
	s_cmp_lt_u32 s26, 14
	s_mov_b32 s26, s19
	s_cbranch_scc1 .LBB39_5
; %bb.3:
	s_mul_i32 s17, s1, s7
	s_mul_hi_u32 s19, s0, s7
	s_add_i32 s29, s19, s17
	s_mul_i32 s28, s0, s7
	s_and_b32 s27, s25, -8
	s_lshl_b64 s[28:29], s[28:29], 2
	s_lshl_b64 s[30:31], s[14:15], 2
	s_add_u32 s17, s28, s30
	s_addc_u32 s19, s29, s31
	s_add_u32 s17, s12, s17
	v_lshlrev_b32_e32 v1, 2, v0
	s_addc_u32 s19, s13, s19
	v_mov_b32_e32 v2, s19
	v_add_co_u32_e32 v1, vcc, s17, v1
	v_addc_co_u32_e32 v3, vcc, 0, v2, vcc
	v_add_co_u32_e32 v2, vcc, 56, v1
	v_addc_co_u32_e32 v3, vcc, 0, v3, vcc
	s_mov_b32 s17, 1
	s_mov_b32 s26, 0
	;; [unrolled: 1-line block ×3, first 2 shown]
.LBB39_4:                               ; =>This Inner Loop Header: Depth=1
	global_load_dwordx4 v[4:7], v[2:3], off offset:-56
	global_load_dwordx4 v[8:11], v[2:3], off offset:-40
	global_load_dwordx4 v[12:15], v[2:3], off offset:-24
	global_load_dwordx4 v[16:19], v[2:3], off offset:-8
	s_lshl_b32 s28, s19, 5
	s_lshl_b32 s29, s17, 5
	s_add_i32 s26, s26, 16
	s_add_i32 s17, s17, 16
	;; [unrolled: 1-line block ×3, first 2 shown]
	s_add_i32 s27, s27, -8
	v_add_co_u32_e32 v2, vcc, 64, v2
	v_or_b32_e32 v1, s29, v0
	v_or_b32_e32 v20, s28, v0
	s_add_i32 s30, s28, 64
	s_add_i32 s31, s29, 64
	;; [unrolled: 1-line block ×12, first 2 shown]
	s_addk_i32 s28, 0x1c0
	s_addk_i32 s29, 0x1c0
	v_addc_co_u32_e32 v3, vcc, 0, v3, vcc
	v_lshlrev_b32_e32 v20, 2, v20
	v_or_b32_e32 v21, s31, v0
	v_or_b32_e32 v22, s30, v0
	;; [unrolled: 1-line block ×14, first 2 shown]
	s_cmp_lg_u32 s27, 0
	v_lshlrev_b32_e32 v1, 2, v1
	v_lshlrev_b32_e32 v22, 2, v22
	;; [unrolled: 1-line block ×15, first 2 shown]
	s_waitcnt vmcnt(3)
	ds_write_b32 v20, v4
	ds_write_b32 v1, v5
	ds_write_b32 v22, v6
	ds_write_b32 v21, v7
	s_waitcnt vmcnt(2)
	ds_write_b32 v24, v8
	ds_write_b32 v23, v9
	ds_write_b32 v26, v10
	ds_write_b32 v25, v11
	;; [unrolled: 5-line block ×4, first 2 shown]
	s_cbranch_scc1 .LBB39_4
.LBB39_5:
	s_and_b32 s25, s25, 7
	s_cmp_eq_u32 s25, 0
	s_mov_b32 s27, 0
	s_cbranch_scc1 .LBB39_8
; %bb.6:
	s_mul_i32 s28, s1, s7
	s_mul_hi_u32 s29, s0, s7
	s_add_i32 s29, s29, s28
	s_mul_i32 s28, s0, s7
	s_lshl_b64 s[28:29], s[28:29], 2
	s_lshl_b64 s[30:31], s[14:15], 2
	s_add_u32 s28, s28, s30
	s_addc_u32 s29, s29, s31
	s_lshl_b64 s[26:27], s[26:27], 2
	s_add_u32 s26, s12, s26
	s_addc_u32 s27, s13, s27
	s_add_u32 s26, s26, s28
	v_lshlrev_b32_e32 v1, 2, v0
	s_addc_u32 s27, s27, s29
	v_mov_b32_e32 v3, s27
	v_add_co_u32_e32 v2, vcc, s26, v1
	v_addc_co_u32_e32 v3, vcc, 0, v3, vcc
	s_lshl_b32 s25, s25, 3
.LBB39_7:                               ; =>This Inner Loop Header: Depth=1
	global_load_dwordx2 v[4:5], v[2:3], off
	v_lshl_or_b32 v6, s19, 7, v1
	v_lshl_or_b32 v7, s17, 7, v1
	s_add_i32 s17, s17, 2
	s_add_i32 s19, s19, 2
	v_add_co_u32_e32 v2, vcc, 8, v2
	s_add_i32 s25, s25, -8
	v_addc_co_u32_e32 v3, vcc, 0, v3, vcc
	s_cmp_lg_u32 s25, 0
	s_waitcnt vmcnt(0)
	ds_write_b32 v6, v4
	ds_write_b32 v7, v5
	s_cbranch_scc1 .LBB39_7
.LBB39_8:
	s_and_b32 s19, s18, -2
	s_cmp_lg_u32 s18, s19
	s_cselect_b64 s[26:27], -1, 0
.LBB39_9:
	s_and_b64 vcc, exec, s[26:27]
	s_cbranch_vccz .LBB39_12
; %bb.10:
	s_ashr_i32 s25, s24, 31
	s_mul_i32 s1, s1, s7
	s_mul_hi_u32 s17, s0, s7
	s_add_i32 s1, s17, s1
	s_mul_hi_u32 s17, s24, s19
	s_mul_i32 s26, s25, s19
	s_mul_i32 s0, s0, s7
	s_add_i32 s27, s17, s26
	s_mul_i32 s26, s24, s19
	s_lshl_b64 s[0:1], s[0:1], 2
	s_lshl_b64 s[26:27], s[26:27], 2
	s_add_u32 s17, s0, s26
	s_addc_u32 s26, s1, s27
	s_lshl_b64 s[0:1], s[14:15], 2
	s_add_u32 s0, s17, s0
	s_addc_u32 s1, s26, s1
	s_add_u32 s0, s12, s0
	v_lshlrev_b32_e32 v1, 2, v0
	s_addc_u32 s1, s13, s1
	v_mov_b32_e32 v3, s1
	v_add_co_u32_e32 v2, vcc, s0, v1
	s_lshl_b64 s[0:1], s[24:25], 2
	v_addc_co_u32_e32 v3, vcc, 0, v3, vcc
	v_lshl_or_b32 v1, s19, 7, v1
	s_sub_i32 s12, s18, s19
	v_mov_b32_e32 v4, s1
.LBB39_11:                              ; =>This Inner Loop Header: Depth=1
	global_load_dword v5, v[2:3], off
	v_add_co_u32_e32 v2, vcc, s0, v2
	s_add_i32 s12, s12, -1
	v_addc_co_u32_e32 v3, vcc, v3, v4, vcc
	s_cmp_eq_u32 s12, 0
	s_waitcnt vmcnt(0)
	ds_write_b32 v1, v5
	v_add_u32_e32 v1, 0x80, v1
	s_cbranch_scc0 .LBB39_11
.LBB39_12:
	v_mul_u32_u24_e32 v1, 33, v0
	s_cmpk_lg_i32 s9, 0x84
	v_lshlrev_b32_e32 v1, 2, v1
	v_mov_b32_e32 v2, 1.0
	s_cbranch_scc0 .LBB39_14
; %bb.13:
	ds_read_b32 v2, v1
	s_waitcnt lgkmcnt(0)
	v_div_scale_f32 v3, s[0:1], v2, v2, 1.0
	v_rcp_f32_e32 v4, v3
	v_div_scale_f32 v5, vcc, 1.0, v2, 1.0
	v_fma_f32 v6, -v3, v4, 1.0
	v_fmac_f32_e32 v4, v6, v4
	v_mul_f32_e32 v6, v5, v4
	v_fma_f32 v7, -v3, v6, v5
	v_fmac_f32_e32 v6, v7, v4
	v_fma_f32 v3, -v3, v6, v5
	v_div_fmas_f32 v3, v3, v4, v6
	v_div_fixup_f32 v2, v3, v2, 1.0
.LBB39_14:
	ds_write_b32 v1, v2
.LBB39_15:
	s_or_b64 exec, exec, s[22:23]
	s_load_dword s0, s[4:5], 0x60
	s_lshl_b32 s9, s6, 5
	s_sub_i32 s1, s11, s9
	s_waitcnt lgkmcnt(0)
	; wave barrier
	s_waitcnt lgkmcnt(0)
	s_add_i32 s0, s0, -1
	s_cmp_ge_u32 s6, s0
	s_cselect_b32 s0, s1, 32
	v_cmp_gt_i32_e32 vcc, s0, v0
	s_and_saveexec_b64 s[0:1], vcc
	s_cbranch_execz .LBB39_66
; %bb.16:
	s_load_dwordx2 s[0:1], s[4:5], 0x50
	s_load_dword s6, s[4:5], 0x48
	v_add_u32_e32 v0, s9, v0
	s_waitcnt lgkmcnt(0)
	s_mul_i32 s1, s7, s1
	s_mul_hi_u32 s4, s7, s0
	s_mul_i32 s0, s7, s0
	s_add_i32 s1, s4, s1
	s_lshl_b64 s[0:1], s[0:1], 2
	s_add_u32 s7, s2, s0
	s_addc_u32 s11, s3, s1
	s_lshl_b64 s[4:5], s[20:21], 2
	s_add_u32 s12, s7, s4
	v_mad_i64_i32 v[0:1], s[6:7], s6, v0, 0
	s_addc_u32 s11, s11, s5
	v_lshlrev_b64 v[74:75], 2, v[0:1]
	v_mov_b32_e32 v0, s11
	v_add_co_u32_e32 v72, vcc, s12, v74
	v_addc_co_u32_e32 v73, vcc, v0, v75, vcc
	s_cmpk_eq_i32 s8, 0x6f
	s_mov_b64 s[6:7], -1
	s_cbranch_scc1 .LBB39_43
; %bb.17:
	s_add_i32 s6, s18, -1
	s_cmp_gt_i32 s10, 31
	s_mov_b32 s8, s6
	s_cbranch_scc0 .LBB39_19
; %bb.18:
	s_ashr_i32 s19, s18, 31
	s_lshl_b64 s[8:9], s[18:19], 2
	v_mov_b32_e32 v0, s9
	v_add_co_u32_e32 v32, vcc, s8, v72
	v_addc_co_u32_e32 v33, vcc, v73, v0, vcc
	global_load_dword v7, v[32:33], off offset:-4
	s_mov_b32 s19, 0
	s_lshl_b64 s[8:9], s[18:19], 2
	v_mov_b32_e32 v0, s9
	v_add_co_u32_e32 v34, vcc, s8, v72
	v_addc_co_u32_e32 v35, vcc, v73, v0, vcc
	global_load_dwordx3 v[4:6], v[34:35], off offset:-16
	global_load_dwordx4 v[8:11], v[34:35], off offset:-32
	global_load_dwordx4 v[12:15], v[34:35], off offset:-48
	s_lshl_b32 s7, s18, 5
	s_mul_i32 s8, s6, 0x84
	s_add_i32 s7, s7, s6
	s_add_i32 s9, s8, 0xffffff7c
	;; [unrolled: 1-line block ×6, first 2 shown]
	s_lshl_b32 s7, s7, 2
	v_mov_b32_e32 v37, s9
	v_mov_b32_e32 v38, s11
	;; [unrolled: 1-line block ×5, first 2 shown]
	s_add_i32 s9, s7, 0xfffffe80
	s_add_i32 s11, s7, 0xfffffdfc
	;; [unrolled: 1-line block ×6, first 2 shown]
	v_mov_b32_e32 v36, s8
	v_mov_b32_e32 v39, s9
	;; [unrolled: 1-line block ×7, first 2 shown]
	global_load_dwordx4 v[0:3], v[34:35], off offset:-128
	global_load_dwordx4 v[20:23], v[34:35], off offset:-112
	;; [unrolled: 1-line block ×5, first 2 shown]
	ds_read_b32 v55, v36
	ds_read2_b32 v[34:35], v37 offset1:1
	ds_read_b32 v56, v39
	ds_read2_b32 v[36:37], v38 offset1:1
	ds_read2_b32 v[38:39], v41 offset1:1
	;; [unrolled: 1-line block ×3, first 2 shown]
	ds_read_b32 v57, v42
	ds_read2_b32 v[42:43], v43 offset1:1
	ds_read2_b32 v[44:45], v44 offset1:1
	ds_read2_b32 v[46:47], v46 offset1:1
	ds_read2_b32 v[48:49], v48 offset1:1
	ds_read2_b32 v[50:51], v50 offset1:1
	s_add_i32 s17, s7, 0xfffffc7c
	v_mov_b32_e32 v52, s17
	s_add_i32 s19, s7, 0xfffffc74
	s_add_i32 s20, s7, 0xfffffc6c
	v_mov_b32_e32 v53, s19
	v_mov_b32_e32 v54, s20
	s_add_i32 s9, s8, 0xfffffce8
	s_waitcnt vmcnt(8)
	v_mul_f32_e32 v7, s16, v7
	s_waitcnt lgkmcnt(11)
	v_mul_f32_e32 v7, v55, v7
	s_waitcnt lgkmcnt(10)
	;; [unrolled: 2-line block ×5, first 2 shown]
	v_mul_f32_e32 v56, v7, v57
	s_waitcnt vmcnt(7)
	v_fma_f32 v6, v6, s16, -v35
	v_fma_f32 v5, v5, s16, -v55
	v_mul_f32_e32 v6, v34, v6
	v_fma_f32 v4, v4, s16, -v39
	v_fma_f32 v5, -v6, v37, v5
	ds_read2_b32 v[34:35], v52 offset1:1
	v_fma_f32 v4, -v6, v38, v4
	v_mul_f32_e32 v5, v36, v5
	v_fma_f32 v4, -v5, v41, v4
	v_mul_f32_e32 v4, v40, v4
	global_store_dwordx4 v[32:33], v[4:7], off offset:-16
	s_waitcnt lgkmcnt(3)
	v_mul_f32_e32 v47, v7, v47
	s_waitcnt vmcnt(7)
	v_fma_f32 v11, v11, s16, -v56
	ds_read2_b32 v[36:37], v53 offset1:1
	ds_read2_b32 v[38:39], v54 offset1:1
	s_waitcnt lgkmcnt(2)
	v_mul_f32_e32 v35, v7, v35
	v_fma_f32 v10, v10, s16, -v47
	v_fma_f32 v11, -v6, v43, v11
	v_fma_f32 v9, v9, s16, -v35
	v_fma_f32 v10, -v6, v46, v10
	v_fma_f32 v11, -v5, v42, v11
	;; [unrolled: 1-line block ×3, first 2 shown]
	v_mov_b32_e32 v34, s9
	v_fma_f32 v10, -v5, v49, v10
	v_fma_f32 v11, -v4, v45, v11
	ds_read_b32 v34, v34
	v_fma_f32 v10, -v4, v48, v10
	v_mul_f32_e32 v11, v44, v11
	s_waitcnt lgkmcnt(2)
	v_fma_f32 v9, -v5, v37, v9
	v_fma_f32 v10, -v11, v51, v10
	;; [unrolled: 1-line block ×3, first 2 shown]
	v_mul_f32_e32 v10, v50, v10
	s_waitcnt lgkmcnt(1)
	v_fma_f32 v9, -v11, v39, v9
	v_fma_f32 v9, -v10, v38, v9
	s_add_i32 s9, s7, 0xfffffc00
	s_waitcnt lgkmcnt(0)
	v_mul_f32_e32 v9, v34, v9
	v_mov_b32_e32 v34, s9
	s_add_i32 s9, s7, 0xfffffbf8
	ds_read_b32 v40, v34
	v_mov_b32_e32 v35, s9
	s_add_i32 s9, s7, 0xfffffbf0
	v_mov_b32_e32 v36, s9
	s_add_i32 s9, s7, 0xfffffbe8
	v_mov_b32_e32 v38, s9
	ds_read2_b32 v[34:35], v35 offset1:1
	ds_read2_b32 v[36:37], v36 offset1:1
	;; [unrolled: 1-line block ×3, first 2 shown]
	s_waitcnt lgkmcnt(3)
	v_mul_f32_e32 v40, v7, v40
	v_fma_f32 v8, v8, s16, -v40
	s_waitcnt lgkmcnt(2)
	v_fma_f32 v8, -v6, v35, v8
	s_add_i32 s9, s8, 0xfffffc64
	v_fma_f32 v8, -v5, v34, v8
	v_mov_b32_e32 v34, s9
	ds_read_b32 v34, v34
	s_waitcnt lgkmcnt(2)
	v_fma_f32 v8, -v4, v37, v8
	v_fma_f32 v8, -v11, v36, v8
	s_waitcnt lgkmcnt(1)
	v_fma_f32 v8, -v10, v39, v8
	v_fma_f32 v8, -v9, v38, v8
	s_add_i32 s9, s7, 0xfffffb7c
	s_waitcnt lgkmcnt(0)
	v_mul_f32_e32 v8, v34, v8
	v_mov_b32_e32 v34, s9
	ds_read2_b32 v[34:35], v34 offset1:1
	s_add_i32 s9, s7, 0xfffffb74
	v_mov_b32_e32 v36, s9
	s_add_i32 s9, s7, 0xfffffb6c
	v_mov_b32_e32 v38, s9
	s_add_i32 s9, s7, 0xfffffb64
	global_store_dwordx4 v[32:33], v[8:11], off offset:-32
	v_mov_b32_e32 v40, s9
	ds_read2_b32 v[36:37], v36 offset1:1
	ds_read2_b32 v[38:39], v38 offset1:1
	;; [unrolled: 1-line block ×3, first 2 shown]
	s_waitcnt lgkmcnt(3)
	v_mul_f32_e32 v35, v7, v35
	s_waitcnt vmcnt(7)
	v_fma_f32 v15, v15, s16, -v35
	v_fma_f32 v15, -v6, v34, v15
	s_add_i32 s9, s8, 0xfffffbe0
	s_waitcnt lgkmcnt(2)
	v_fma_f32 v15, -v5, v37, v15
	v_mov_b32_e32 v34, s9
	v_fma_f32 v15, -v4, v36, v15
	ds_read_b32 v34, v34
	s_waitcnt lgkmcnt(2)
	v_fma_f32 v15, -v11, v39, v15
	v_fma_f32 v15, -v10, v38, v15
	s_waitcnt lgkmcnt(1)
	v_fma_f32 v15, -v9, v41, v15
	v_fma_f32 v15, -v8, v40, v15
	s_add_i32 s9, s7, 0xfffffb00
	s_waitcnt lgkmcnt(0)
	v_mul_f32_e32 v15, v34, v15
	v_mov_b32_e32 v34, s9
	s_add_i32 s9, s7, 0xfffffaf8
	ds_read_b32 v40, v34
	v_mov_b32_e32 v35, s9
	s_add_i32 s9, s7, 0xfffffaf0
	v_mov_b32_e32 v36, s9
	s_add_i32 s9, s7, 0xfffffae8
	v_mov_b32_e32 v38, s9
	ds_read2_b32 v[34:35], v35 offset1:1
	ds_read2_b32 v[36:37], v36 offset1:1
	;; [unrolled: 1-line block ×3, first 2 shown]
	s_waitcnt lgkmcnt(3)
	v_mul_f32_e32 v40, v7, v40
	v_fma_f32 v14, v14, s16, -v40
	s_waitcnt lgkmcnt(2)
	v_fma_f32 v14, -v6, v35, v14
	s_add_i32 s9, s7, 0xfffffae0
	v_fma_f32 v14, -v5, v34, v14
	v_mov_b32_e32 v34, s9
	ds_read2_b32 v[34:35], v34 offset1:1
	s_waitcnt lgkmcnt(2)
	v_fma_f32 v14, -v4, v37, v14
	v_fma_f32 v14, -v11, v36, v14
	s_add_i32 s9, s8, 0xfffffb5c
	v_mov_b32_e32 v36, s9
	s_waitcnt lgkmcnt(1)
	v_fma_f32 v14, -v10, v39, v14
	ds_read_b32 v36, v36
	v_fma_f32 v14, -v9, v38, v14
	s_waitcnt lgkmcnt(1)
	v_fma_f32 v14, -v8, v35, v14
	s_add_i32 s9, s7, 0xfffffa7c
	v_fma_f32 v14, -v15, v34, v14
	v_mov_b32_e32 v34, s9
	ds_read2_b32 v[34:35], v34 offset1:1
	s_add_i32 s9, s7, 0xfffffa74
	s_waitcnt lgkmcnt(1)
	v_mul_f32_e32 v14, v36, v14
	v_mov_b32_e32 v36, s9
	s_add_i32 s9, s7, 0xfffffa6c
	v_mov_b32_e32 v38, s9
	s_add_i32 s9, s7, 0xfffffa64
	v_mov_b32_e32 v40, s9
	ds_read2_b32 v[36:37], v36 offset1:1
	ds_read2_b32 v[38:39], v38 offset1:1
	ds_read2_b32 v[40:41], v40 offset1:1
	s_waitcnt lgkmcnt(3)
	v_mul_f32_e32 v35, v7, v35
	v_fma_f32 v13, v13, s16, -v35
	v_fma_f32 v13, -v6, v34, v13
	s_add_i32 s9, s7, 0xfffffa5c
	s_waitcnt lgkmcnt(2)
	v_fma_f32 v13, -v5, v37, v13
	v_mov_b32_e32 v34, s9
	v_fma_f32 v13, -v4, v36, v13
	ds_read2_b32 v[34:35], v34 offset1:1
	s_waitcnt lgkmcnt(2)
	v_fma_f32 v13, -v11, v39, v13
	v_fma_f32 v13, -v10, v38, v13
	s_addk_i32 s8, 0xfad8
	v_mov_b32_e32 v36, s8
	s_waitcnt lgkmcnt(1)
	v_fma_f32 v13, -v9, v41, v13
	ds_read_b32 v36, v36
	v_fma_f32 v13, -v8, v40, v13
	s_waitcnt lgkmcnt(1)
	v_fma_f32 v13, -v15, v35, v13
	s_add_i32 s8, s7, 0xfffff9fc
	v_fma_f32 v13, -v14, v34, v13
	v_mov_b32_e32 v34, s8
	ds_read2_b32 v[34:35], v34 offset1:1
	s_add_i32 s8, s7, 0xfffff9f4
	s_waitcnt lgkmcnt(1)
	v_mul_f32_e32 v13, v36, v13
	v_mov_b32_e32 v36, s8
	s_add_i32 s8, s7, 0xfffff9ec
	v_mov_b32_e32 v38, s8
	s_add_i32 s8, s7, 0xfffff9e4
	v_mov_b32_e32 v40, s8
	ds_read2_b32 v[36:37], v36 offset1:1
	ds_read2_b32 v[38:39], v38 offset1:1
	;; [unrolled: 1-line block ×3, first 2 shown]
	s_waitcnt lgkmcnt(3)
	v_mul_f32_e32 v35, v7, v35
	v_fma_f32 v12, v12, s16, -v35
	v_fma_f32 v12, -v6, v34, v12
	s_add_i32 s8, s7, 0xfffff9dc
	s_waitcnt lgkmcnt(2)
	v_fma_f32 v12, -v5, v37, v12
	v_mov_b32_e32 v34, s8
	s_mul_i32 s8, s18, 0x84
	v_fma_f32 v12, -v4, v36, v12
	s_add_i32 s9, s8, 0xfffff9d0
	s_waitcnt lgkmcnt(1)
	v_fma_f32 v12, -v11, v39, v12
	v_mov_b32_e32 v36, s9
	s_add_i32 s9, s7, 0xfffff980
	v_fma_f32 v12, -v10, v38, v12
	v_mov_b32_e32 v38, s9
	s_add_i32 s9, s7, 0xfffff978
	ds_read2_b32 v[34:35], v34 offset1:1
	s_waitcnt lgkmcnt(1)
	v_fma_f32 v12, -v9, v41, v12
	v_mov_b32_e32 v39, s9
	v_fma_f32 v12, -v8, v40, v12
	ds_read2_b32 v[36:37], v36 offset1:1
	ds_read_b32 v40, v38
	ds_read2_b32 v[38:39], v39 offset1:1
	s_waitcnt lgkmcnt(3)
	v_fma_f32 v12, -v15, v35, v12
	v_fma_f32 v12, -v14, v34, v12
	s_add_i32 s9, s7, 0xfffff970
	s_waitcnt lgkmcnt(1)
	v_mul_f32_e32 v34, v7, v40
	s_waitcnt vmcnt(3)
	v_fma_f32 v19, v19, s16, -v34
	v_mov_b32_e32 v34, s9
	v_fma_f32 v12, -v13, v37, v12
	s_add_i32 s9, s7, 0xfffff968
	ds_read2_b32 v[34:35], v34 offset1:1
	v_mul_f32_e32 v12, v36, v12
	s_waitcnt lgkmcnt(1)
	v_fma_f32 v19, -v6, v39, v19
	v_mov_b32_e32 v36, s9
	s_add_i32 s9, s7, 0xfffff960
	v_fma_f32 v19, -v5, v38, v19
	v_mov_b32_e32 v38, s9
	s_add_i32 s9, s7, 0xfffff958
	global_store_dwordx4 v[32:33], v[12:15], off offset:-48
	v_mov_b32_e32 v40, s9
	ds_read2_b32 v[36:37], v36 offset1:1
	ds_read2_b32 v[38:39], v38 offset1:1
	;; [unrolled: 1-line block ×3, first 2 shown]
	s_waitcnt lgkmcnt(3)
	v_fma_f32 v19, -v4, v35, v19
	v_fma_f32 v19, -v11, v34, v19
	s_waitcnt lgkmcnt(2)
	v_fma_f32 v19, -v10, v37, v19
	v_fma_f32 v19, -v9, v36, v19
	s_add_i32 s9, s8, 0xfffff94c
	s_waitcnt lgkmcnt(1)
	v_fma_f32 v19, -v8, v39, v19
	v_mov_b32_e32 v34, s9
	s_add_i32 s9, s7, 0xfffff8fc
	v_fma_f32 v19, -v15, v38, v19
	v_mov_b32_e32 v36, s9
	s_add_i32 s9, s7, 0xfffff8f4
	ds_read2_b32 v[34:35], v34 offset1:1
	s_waitcnt lgkmcnt(1)
	v_fma_f32 v19, -v14, v41, v19
	v_mov_b32_e32 v38, s9
	s_add_i32 s9, s7, 0xfffff8ec
	v_fma_f32 v19, -v13, v40, v19
	v_mov_b32_e32 v40, s9
	ds_read2_b32 v[36:37], v36 offset1:1
	ds_read2_b32 v[38:39], v38 offset1:1
	;; [unrolled: 1-line block ×3, first 2 shown]
	s_waitcnt lgkmcnt(3)
	v_fma_f32 v19, -v12, v35, v19
	v_mul_f32_e32 v19, v34, v19
	s_waitcnt lgkmcnt(2)
	v_mul_f32_e32 v34, v7, v37
	v_fma_f32 v18, v18, s16, -v34
	s_add_i32 s9, s7, 0xfffff8e4
	v_fma_f32 v18, -v6, v36, v18
	v_mov_b32_e32 v34, s9
	s_waitcnt lgkmcnt(1)
	v_fma_f32 v18, -v5, v39, v18
	s_add_i32 s9, s7, 0xfffff8dc
	ds_read2_b32 v[34:35], v34 offset1:1
	v_fma_f32 v18, -v4, v38, v18
	v_mov_b32_e32 v36, s9
	s_add_i32 s9, s7, 0xfffff8d4
	s_waitcnt lgkmcnt(1)
	v_fma_f32 v18, -v11, v41, v18
	v_mov_b32_e32 v38, s9
	s_add_i32 s9, s8, 0xfffff8c8
	v_fma_f32 v18, -v10, v40, v18
	v_mov_b32_e32 v40, s9
	ds_read2_b32 v[36:37], v36 offset1:1
	ds_read2_b32 v[38:39], v38 offset1:1
	;; [unrolled: 1-line block ×3, first 2 shown]
	s_waitcnt lgkmcnt(3)
	v_fma_f32 v18, -v9, v35, v18
	v_fma_f32 v18, -v8, v34, v18
	s_waitcnt lgkmcnt(2)
	v_fma_f32 v18, -v15, v37, v18
	v_fma_f32 v18, -v14, v36, v18
	;; [unrolled: 3-line block ×3, first 2 shown]
	s_add_i32 s9, s7, 0xfffff880
	s_waitcnt lgkmcnt(0)
	v_fma_f32 v18, -v19, v41, v18
	v_mov_b32_e32 v34, s9
	v_mul_f32_e32 v18, v40, v18
	s_add_i32 s9, s7, 0xfffff878
	ds_read_b32 v40, v34
	v_mov_b32_e32 v35, s9
	s_add_i32 s9, s7, 0xfffff870
	v_mov_b32_e32 v36, s9
	s_add_i32 s9, s7, 0xfffff868
	v_mov_b32_e32 v38, s9
	ds_read2_b32 v[34:35], v35 offset1:1
	ds_read2_b32 v[36:37], v36 offset1:1
	;; [unrolled: 1-line block ×3, first 2 shown]
	s_waitcnt lgkmcnt(3)
	v_mul_f32_e32 v40, v7, v40
	v_fma_f32 v17, v17, s16, -v40
	s_waitcnt lgkmcnt(2)
	v_fma_f32 v17, -v6, v35, v17
	v_fma_f32 v17, -v5, v34, v17
	s_add_i32 s9, s7, 0xfffff860
	s_waitcnt lgkmcnt(1)
	v_fma_f32 v17, -v4, v37, v17
	v_mov_b32_e32 v34, s9
	v_fma_f32 v17, -v11, v36, v17
	s_add_i32 s9, s7, 0xfffff858
	ds_read2_b32 v[34:35], v34 offset1:1
	s_waitcnt lgkmcnt(1)
	v_fma_f32 v17, -v10, v39, v17
	v_mov_b32_e32 v36, s9
	s_add_i32 s9, s7, 0xfffff850
	v_fma_f32 v17, -v9, v38, v17
	v_mov_b32_e32 v38, s9
	s_add_i32 s9, s8, 0xfffff844
	v_mov_b32_e32 v40, s9
	ds_read2_b32 v[36:37], v36 offset1:1
	ds_read2_b32 v[38:39], v38 offset1:1
	;; [unrolled: 1-line block ×3, first 2 shown]
	s_waitcnt lgkmcnt(3)
	v_fma_f32 v17, -v8, v35, v17
	v_fma_f32 v17, -v15, v34, v17
	s_add_i32 s9, s7, 0xfffff7fc
	s_waitcnt lgkmcnt(2)
	v_fma_f32 v17, -v14, v37, v17
	v_mov_b32_e32 v34, s9
	v_fma_f32 v17, -v13, v36, v17
	ds_read2_b32 v[34:35], v34 offset1:1
	s_waitcnt lgkmcnt(2)
	v_fma_f32 v17, -v12, v39, v17
	s_add_i32 s9, s7, 0xfffff7f4
	v_fma_f32 v17, -v19, v38, v17
	v_mov_b32_e32 v36, s9
	s_add_i32 s9, s7, 0xfffff7ec
	s_waitcnt lgkmcnt(1)
	v_fma_f32 v17, -v18, v41, v17
	v_mov_b32_e32 v38, s9
	s_add_i32 s9, s7, 0xfffff7e4
	v_mul_f32_e32 v17, v40, v17
	v_mov_b32_e32 v40, s9
	ds_read2_b32 v[36:37], v36 offset1:1
	ds_read2_b32 v[38:39], v38 offset1:1
	;; [unrolled: 1-line block ×3, first 2 shown]
	s_waitcnt lgkmcnt(3)
	v_mul_f32_e32 v35, v7, v35
	v_fma_f32 v16, v16, s16, -v35
	v_fma_f32 v16, -v6, v34, v16
	s_waitcnt lgkmcnt(2)
	v_fma_f32 v16, -v5, v37, v16
	s_add_i32 s9, s7, 0xfffff7dc
	v_fma_f32 v16, -v4, v36, v16
	v_mov_b32_e32 v34, s9
	s_waitcnt lgkmcnt(1)
	v_fma_f32 v16, -v11, v39, v16
	s_add_i32 s9, s7, 0xfffff7d4
	ds_read2_b32 v[34:35], v34 offset1:1
	v_fma_f32 v16, -v10, v38, v16
	v_mov_b32_e32 v36, s9
	s_add_i32 s9, s7, 0xfffff7cc
	s_waitcnt lgkmcnt(1)
	v_fma_f32 v16, -v9, v41, v16
	v_mov_b32_e32 v38, s9
	s_add_i32 s9, s8, 0xfffff7c0
	v_fma_f32 v16, -v8, v40, v16
	v_mov_b32_e32 v40, s9
	ds_read2_b32 v[36:37], v36 offset1:1
	ds_read2_b32 v[38:39], v38 offset1:1
	;; [unrolled: 1-line block ×3, first 2 shown]
	s_waitcnt lgkmcnt(3)
	v_fma_f32 v16, -v15, v35, v16
	v_fma_f32 v16, -v14, v34, v16
	s_waitcnt lgkmcnt(2)
	v_fma_f32 v16, -v13, v37, v16
	v_fma_f32 v16, -v12, v36, v16
	;; [unrolled: 3-line block ×3, first 2 shown]
	s_add_i32 s9, s7, 0xfffff780
	s_waitcnt lgkmcnt(0)
	v_fma_f32 v16, -v17, v41, v16
	v_mov_b32_e32 v34, s9
	v_mul_f32_e32 v16, v40, v16
	s_add_i32 s9, s7, 0xfffff778
	ds_read_b32 v40, v34
	v_mov_b32_e32 v35, s9
	s_add_i32 s9, s7, 0xfffff770
	v_mov_b32_e32 v36, s9
	s_add_i32 s9, s7, 0xfffff768
	global_store_dwordx4 v[32:33], v[16:19], off offset:-64
	v_mov_b32_e32 v38, s9
	ds_read2_b32 v[34:35], v35 offset1:1
	ds_read2_b32 v[36:37], v36 offset1:1
	;; [unrolled: 1-line block ×3, first 2 shown]
	s_waitcnt lgkmcnt(3)
	v_mul_f32_e32 v40, v7, v40
	s_waitcnt vmcnt(4)
	v_fma_f32 v27, v27, s16, -v40
	s_waitcnt lgkmcnt(2)
	v_fma_f32 v27, -v6, v35, v27
	v_fma_f32 v27, -v5, v34, v27
	s_add_i32 s9, s7, 0xfffff760
	s_waitcnt lgkmcnt(1)
	v_fma_f32 v27, -v4, v37, v27
	v_mov_b32_e32 v34, s9
	v_fma_f32 v27, -v11, v36, v27
	s_add_i32 s9, s7, 0xfffff758
	ds_read2_b32 v[34:35], v34 offset1:1
	s_waitcnt lgkmcnt(1)
	v_fma_f32 v27, -v10, v39, v27
	v_mov_b32_e32 v36, s9
	s_add_i32 s9, s7, 0xfffff750
	v_fma_f32 v27, -v9, v38, v27
	v_mov_b32_e32 v38, s9
	s_add_i32 s9, s7, 0xfffff748
	v_mov_b32_e32 v40, s9
	ds_read2_b32 v[36:37], v36 offset1:1
	ds_read2_b32 v[38:39], v38 offset1:1
	;; [unrolled: 1-line block ×3, first 2 shown]
	s_waitcnt lgkmcnt(3)
	v_fma_f32 v27, -v8, v35, v27
	v_fma_f32 v27, -v15, v34, v27
	s_waitcnt lgkmcnt(2)
	v_fma_f32 v27, -v14, v37, v27
	v_fma_f32 v27, -v13, v36, v27
	s_add_i32 s9, s8, 0xfffff73c
	s_waitcnt lgkmcnt(1)
	v_fma_f32 v27, -v12, v39, v27
	v_mov_b32_e32 v34, s9
	s_add_i32 s9, s7, 0xfffff6fc
	v_fma_f32 v27, -v19, v38, v27
	v_mov_b32_e32 v36, s9
	s_add_i32 s9, s7, 0xfffff6f4
	ds_read2_b32 v[34:35], v34 offset1:1
	s_waitcnt lgkmcnt(1)
	v_fma_f32 v27, -v18, v41, v27
	v_mov_b32_e32 v38, s9
	s_add_i32 s9, s7, 0xfffff6ec
	v_fma_f32 v27, -v17, v40, v27
	v_mov_b32_e32 v40, s9
	ds_read2_b32 v[36:37], v36 offset1:1
	ds_read2_b32 v[38:39], v38 offset1:1
	;; [unrolled: 1-line block ×3, first 2 shown]
	s_waitcnt lgkmcnt(3)
	v_fma_f32 v27, -v16, v35, v27
	v_mul_f32_e32 v27, v34, v27
	s_waitcnt lgkmcnt(2)
	v_mul_f32_e32 v34, v7, v37
	v_fma_f32 v26, v26, s16, -v34
	s_add_i32 s9, s7, 0xfffff6e4
	v_fma_f32 v26, -v6, v36, v26
	v_mov_b32_e32 v34, s9
	s_waitcnt lgkmcnt(1)
	v_fma_f32 v26, -v5, v39, v26
	s_add_i32 s9, s7, 0xfffff6dc
	ds_read2_b32 v[34:35], v34 offset1:1
	v_fma_f32 v26, -v4, v38, v26
	v_mov_b32_e32 v36, s9
	s_add_i32 s9, s7, 0xfffff6d4
	s_waitcnt lgkmcnt(1)
	v_fma_f32 v26, -v11, v41, v26
	v_mov_b32_e32 v38, s9
	s_add_i32 s9, s7, 0xfffff6cc
	v_fma_f32 v26, -v10, v40, v26
	v_mov_b32_e32 v40, s9
	ds_read2_b32 v[36:37], v36 offset1:1
	ds_read2_b32 v[38:39], v38 offset1:1
	;; [unrolled: 1-line block ×3, first 2 shown]
	s_waitcnt lgkmcnt(3)
	v_fma_f32 v26, -v9, v35, v26
	v_fma_f32 v26, -v8, v34, v26
	s_waitcnt lgkmcnt(2)
	v_fma_f32 v26, -v15, v37, v26
	s_add_i32 s9, s7, 0xfffff6c4
	v_fma_f32 v26, -v14, v36, v26
	v_mov_b32_e32 v34, s9
	s_add_i32 s9, s8, 0xfffff6b8
	s_waitcnt lgkmcnt(1)
	v_fma_f32 v26, -v13, v39, v26
	v_mov_b32_e32 v36, s9
	s_add_i32 s9, s7, 0xfffff680
	v_fma_f32 v26, -v12, v38, v26
	v_mov_b32_e32 v38, s9
	s_add_i32 s9, s7, 0xfffff678
	ds_read2_b32 v[34:35], v34 offset1:1
	s_waitcnt lgkmcnt(1)
	v_fma_f32 v26, -v19, v41, v26
	v_mov_b32_e32 v39, s9
	v_fma_f32 v26, -v18, v40, v26
	ds_read2_b32 v[36:37], v36 offset1:1
	ds_read_b32 v40, v38
	ds_read2_b32 v[38:39], v39 offset1:1
	s_waitcnt lgkmcnt(3)
	v_fma_f32 v26, -v17, v35, v26
	v_fma_f32 v26, -v16, v34, v26
	s_add_i32 s9, s7, 0xfffff670
	s_waitcnt lgkmcnt(1)
	v_mul_f32_e32 v34, v7, v40
	v_fma_f32 v25, v25, s16, -v34
	v_mov_b32_e32 v34, s9
	v_fma_f32 v26, -v27, v37, v26
	s_add_i32 s9, s7, 0xfffff668
	ds_read2_b32 v[34:35], v34 offset1:1
	v_mul_f32_e32 v26, v36, v26
	s_waitcnt lgkmcnt(1)
	v_fma_f32 v25, -v6, v39, v25
	v_mov_b32_e32 v36, s9
	s_add_i32 s9, s7, 0xfffff660
	v_fma_f32 v25, -v5, v38, v25
	v_mov_b32_e32 v38, s9
	s_add_i32 s9, s7, 0xfffff658
	v_mov_b32_e32 v40, s9
	ds_read2_b32 v[36:37], v36 offset1:1
	ds_read2_b32 v[38:39], v38 offset1:1
	;; [unrolled: 1-line block ×3, first 2 shown]
	s_waitcnt lgkmcnt(3)
	v_fma_f32 v25, -v4, v35, v25
	v_fma_f32 v25, -v11, v34, v25
	s_waitcnt lgkmcnt(2)
	v_fma_f32 v25, -v10, v37, v25
	s_add_i32 s9, s7, 0xfffff650
	v_fma_f32 v25, -v9, v36, v25
	v_mov_b32_e32 v34, s9
	s_waitcnt lgkmcnt(1)
	v_fma_f32 v25, -v8, v39, v25
	s_add_i32 s9, s7, 0xfffff648
	ds_read2_b32 v[34:35], v34 offset1:1
	v_fma_f32 v25, -v15, v38, v25
	v_mov_b32_e32 v36, s9
	s_add_i32 s9, s7, 0xfffff640
	s_waitcnt lgkmcnt(1)
	v_fma_f32 v25, -v14, v41, v25
	v_mov_b32_e32 v38, s9
	s_add_i32 s9, s8, 0xfffff634
	v_fma_f32 v25, -v13, v40, v25
	v_mov_b32_e32 v40, s9
	ds_read2_b32 v[36:37], v36 offset1:1
	ds_read2_b32 v[38:39], v38 offset1:1
	;; [unrolled: 1-line block ×3, first 2 shown]
	s_waitcnt lgkmcnt(3)
	v_fma_f32 v25, -v12, v35, v25
	v_fma_f32 v25, -v19, v34, v25
	s_add_i32 s9, s7, 0xfffff5fc
	s_waitcnt lgkmcnt(2)
	v_fma_f32 v25, -v18, v37, v25
	v_mov_b32_e32 v34, s9
	v_fma_f32 v25, -v17, v36, v25
	ds_read2_b32 v[34:35], v34 offset1:1
	s_waitcnt lgkmcnt(2)
	v_fma_f32 v25, -v16, v39, v25
	s_add_i32 s9, s7, 0xfffff5f4
	v_fma_f32 v25, -v27, v38, v25
	v_mov_b32_e32 v36, s9
	s_add_i32 s9, s7, 0xfffff5ec
	s_waitcnt lgkmcnt(1)
	v_fma_f32 v25, -v26, v41, v25
	v_mov_b32_e32 v38, s9
	s_add_i32 s9, s7, 0xfffff5e4
	v_mul_f32_e32 v25, v40, v25
	v_mov_b32_e32 v40, s9
	ds_read2_b32 v[36:37], v36 offset1:1
	ds_read2_b32 v[38:39], v38 offset1:1
	;; [unrolled: 1-line block ×3, first 2 shown]
	s_waitcnt lgkmcnt(3)
	v_mul_f32_e32 v35, v7, v35
	v_fma_f32 v24, v24, s16, -v35
	v_fma_f32 v24, -v6, v34, v24
	s_waitcnt lgkmcnt(2)
	v_fma_f32 v24, -v5, v37, v24
	s_add_i32 s9, s7, 0xfffff5dc
	v_fma_f32 v24, -v4, v36, v24
	v_mov_b32_e32 v34, s9
	s_waitcnt lgkmcnt(1)
	v_fma_f32 v24, -v11, v39, v24
	s_add_i32 s9, s7, 0xfffff5d4
	ds_read2_b32 v[34:35], v34 offset1:1
	v_fma_f32 v24, -v10, v38, v24
	v_mov_b32_e32 v36, s9
	s_add_i32 s9, s7, 0xfffff5cc
	s_waitcnt lgkmcnt(1)
	v_fma_f32 v24, -v9, v41, v24
	v_mov_b32_e32 v38, s9
	s_add_i32 s9, s7, 0xfffff5c4
	v_fma_f32 v24, -v8, v40, v24
	v_mov_b32_e32 v40, s9
	ds_read2_b32 v[36:37], v36 offset1:1
	ds_read2_b32 v[38:39], v38 offset1:1
	;; [unrolled: 1-line block ×3, first 2 shown]
	s_waitcnt lgkmcnt(3)
	v_fma_f32 v24, -v15, v35, v24
	v_fma_f32 v24, -v14, v34, v24
	s_waitcnt lgkmcnt(2)
	v_fma_f32 v24, -v13, v37, v24
	s_add_i32 s9, s7, 0xfffff5bc
	v_fma_f32 v24, -v12, v36, v24
	v_mov_b32_e32 v34, s9
	s_add_i32 s9, s8, 0xfffff5b0
	s_waitcnt lgkmcnt(1)
	v_fma_f32 v24, -v19, v39, v24
	v_mov_b32_e32 v36, s9
	s_add_i32 s9, s7, 0xfffff580
	v_fma_f32 v24, -v18, v38, v24
	v_mov_b32_e32 v38, s9
	s_add_i32 s9, s7, 0xfffff578
	ds_read2_b32 v[34:35], v34 offset1:1
	s_waitcnt lgkmcnt(1)
	v_fma_f32 v24, -v17, v41, v24
	v_mov_b32_e32 v39, s9
	v_fma_f32 v24, -v16, v40, v24
	ds_read2_b32 v[36:37], v36 offset1:1
	ds_read_b32 v40, v38
	ds_read2_b32 v[38:39], v39 offset1:1
	s_waitcnt lgkmcnt(3)
	v_fma_f32 v24, -v27, v35, v24
	v_fma_f32 v24, -v26, v34, v24
	s_add_i32 s9, s7, 0xfffff570
	s_waitcnt lgkmcnt(1)
	v_mul_f32_e32 v34, v7, v40
	v_fma_f32 v31, v31, s16, -v34
	v_mov_b32_e32 v34, s9
	v_fma_f32 v24, -v25, v37, v24
	s_add_i32 s9, s7, 0xfffff568
	ds_read2_b32 v[34:35], v34 offset1:1
	v_mul_f32_e32 v24, v36, v24
	s_waitcnt lgkmcnt(1)
	v_fma_f32 v31, -v6, v39, v31
	v_mov_b32_e32 v36, s9
	s_add_i32 s9, s7, 0xfffff560
	v_fma_f32 v31, -v5, v38, v31
	v_mov_b32_e32 v38, s9
	s_add_i32 s9, s7, 0xfffff558
	global_store_dwordx4 v[32:33], v[24:27], off offset:-80
	v_mov_b32_e32 v40, s9
	ds_read2_b32 v[36:37], v36 offset1:1
	ds_read2_b32 v[38:39], v38 offset1:1
	;; [unrolled: 1-line block ×3, first 2 shown]
	s_waitcnt lgkmcnt(3)
	v_fma_f32 v31, -v4, v35, v31
	v_fma_f32 v31, -v11, v34, v31
	s_waitcnt lgkmcnt(2)
	v_fma_f32 v31, -v10, v37, v31
	s_add_i32 s9, s7, 0xfffff550
	v_fma_f32 v31, -v9, v36, v31
	v_mov_b32_e32 v34, s9
	s_waitcnt lgkmcnt(1)
	v_fma_f32 v31, -v8, v39, v31
	s_add_i32 s9, s7, 0xfffff548
	ds_read2_b32 v[34:35], v34 offset1:1
	v_fma_f32 v31, -v15, v38, v31
	v_mov_b32_e32 v36, s9
	s_add_i32 s9, s7, 0xfffff540
	s_waitcnt lgkmcnt(1)
	v_fma_f32 v31, -v14, v41, v31
	v_mov_b32_e32 v38, s9
	s_add_i32 s9, s7, 0xfffff538
	v_fma_f32 v31, -v13, v40, v31
	v_mov_b32_e32 v40, s9
	ds_read2_b32 v[36:37], v36 offset1:1
	ds_read2_b32 v[38:39], v38 offset1:1
	;; [unrolled: 1-line block ×3, first 2 shown]
	s_waitcnt lgkmcnt(3)
	v_fma_f32 v31, -v12, v35, v31
	v_fma_f32 v31, -v19, v34, v31
	s_waitcnt lgkmcnt(2)
	v_fma_f32 v31, -v18, v37, v31
	v_fma_f32 v31, -v17, v36, v31
	s_add_i32 s9, s8, 0xfffff52c
	s_waitcnt lgkmcnt(1)
	v_fma_f32 v31, -v16, v39, v31
	v_mov_b32_e32 v34, s9
	s_add_i32 s9, s7, 0xfffff4fc
	v_fma_f32 v31, -v27, v38, v31
	v_mov_b32_e32 v36, s9
	s_add_i32 s9, s7, 0xfffff4f4
	ds_read2_b32 v[34:35], v34 offset1:1
	s_waitcnt lgkmcnt(1)
	v_fma_f32 v31, -v26, v41, v31
	v_mov_b32_e32 v38, s9
	s_add_i32 s9, s7, 0xfffff4ec
	v_fma_f32 v31, -v25, v40, v31
	v_mov_b32_e32 v40, s9
	ds_read2_b32 v[36:37], v36 offset1:1
	ds_read2_b32 v[38:39], v38 offset1:1
	;; [unrolled: 1-line block ×3, first 2 shown]
	s_waitcnt lgkmcnt(3)
	v_fma_f32 v31, -v24, v35, v31
	v_mul_f32_e32 v31, v34, v31
	s_waitcnt lgkmcnt(2)
	v_mul_f32_e32 v34, v7, v37
	v_fma_f32 v30, v30, s16, -v34
	s_add_i32 s9, s7, 0xfffff4e4
	v_fma_f32 v30, -v6, v36, v30
	v_mov_b32_e32 v34, s9
	s_waitcnt lgkmcnt(1)
	v_fma_f32 v30, -v5, v39, v30
	s_add_i32 s9, s7, 0xfffff4dc
	ds_read2_b32 v[34:35], v34 offset1:1
	v_fma_f32 v30, -v4, v38, v30
	v_mov_b32_e32 v36, s9
	s_add_i32 s9, s7, 0xfffff4d4
	s_waitcnt lgkmcnt(1)
	v_fma_f32 v30, -v11, v41, v30
	v_mov_b32_e32 v38, s9
	s_add_i32 s9, s7, 0xfffff4cc
	v_fma_f32 v30, -v10, v40, v30
	v_mov_b32_e32 v40, s9
	ds_read2_b32 v[36:37], v36 offset1:1
	ds_read2_b32 v[38:39], v38 offset1:1
	ds_read2_b32 v[40:41], v40 offset1:1
	s_waitcnt lgkmcnt(3)
	v_fma_f32 v30, -v9, v35, v30
	v_fma_f32 v30, -v8, v34, v30
	s_waitcnt lgkmcnt(2)
	v_fma_f32 v30, -v15, v37, v30
	s_add_i32 s9, s7, 0xfffff4c4
	v_fma_f32 v30, -v14, v36, v30
	v_mov_b32_e32 v34, s9
	s_waitcnt lgkmcnt(1)
	v_fma_f32 v30, -v13, v39, v30
	s_add_i32 s9, s7, 0xfffff4bc
	ds_read2_b32 v[34:35], v34 offset1:1
	v_fma_f32 v30, -v12, v38, v30
	v_mov_b32_e32 v36, s9
	s_add_i32 s9, s7, 0xfffff4b4
	s_waitcnt lgkmcnt(1)
	v_fma_f32 v30, -v19, v41, v30
	v_mov_b32_e32 v38, s9
	s_add_i32 s9, s8, 0xfffff4a8
	v_fma_f32 v30, -v18, v40, v30
	v_mov_b32_e32 v40, s9
	ds_read2_b32 v[36:37], v36 offset1:1
	ds_read2_b32 v[38:39], v38 offset1:1
	;; [unrolled: 1-line block ×3, first 2 shown]
	s_waitcnt lgkmcnt(3)
	v_fma_f32 v30, -v17, v35, v30
	v_fma_f32 v30, -v16, v34, v30
	s_waitcnt lgkmcnt(2)
	v_fma_f32 v30, -v27, v37, v30
	v_fma_f32 v30, -v26, v36, v30
	;; [unrolled: 3-line block ×3, first 2 shown]
	s_add_i32 s9, s7, 0xfffff480
	s_waitcnt lgkmcnt(0)
	v_fma_f32 v30, -v31, v41, v30
	v_mov_b32_e32 v34, s9
	v_mul_f32_e32 v30, v40, v30
	s_add_i32 s9, s7, 0xfffff478
	ds_read_b32 v40, v34
	v_mov_b32_e32 v35, s9
	s_add_i32 s9, s7, 0xfffff470
	v_mov_b32_e32 v36, s9
	s_add_i32 s9, s7, 0xfffff468
	v_mov_b32_e32 v38, s9
	ds_read2_b32 v[34:35], v35 offset1:1
	ds_read2_b32 v[36:37], v36 offset1:1
	;; [unrolled: 1-line block ×3, first 2 shown]
	s_waitcnt lgkmcnt(3)
	v_mul_f32_e32 v40, v7, v40
	v_fma_f32 v29, v29, s16, -v40
	s_waitcnt lgkmcnt(2)
	v_fma_f32 v29, -v6, v35, v29
	v_fma_f32 v29, -v5, v34, v29
	s_add_i32 s9, s7, 0xfffff460
	s_waitcnt lgkmcnt(1)
	v_fma_f32 v29, -v4, v37, v29
	v_mov_b32_e32 v34, s9
	v_fma_f32 v29, -v11, v36, v29
	s_add_i32 s9, s7, 0xfffff458
	ds_read2_b32 v[34:35], v34 offset1:1
	s_waitcnt lgkmcnt(1)
	v_fma_f32 v29, -v10, v39, v29
	v_mov_b32_e32 v36, s9
	s_add_i32 s9, s7, 0xfffff450
	v_fma_f32 v29, -v9, v38, v29
	v_mov_b32_e32 v38, s9
	s_add_i32 s9, s7, 0xfffff448
	v_mov_b32_e32 v40, s9
	ds_read2_b32 v[36:37], v36 offset1:1
	ds_read2_b32 v[38:39], v38 offset1:1
	ds_read2_b32 v[40:41], v40 offset1:1
	s_waitcnt lgkmcnt(3)
	v_fma_f32 v29, -v8, v35, v29
	v_fma_f32 v29, -v15, v34, v29
	s_waitcnt lgkmcnt(2)
	v_fma_f32 v29, -v14, v37, v29
	s_add_i32 s9, s7, 0xfffff440
	v_fma_f32 v29, -v13, v36, v29
	v_mov_b32_e32 v34, s9
	s_waitcnt lgkmcnt(1)
	v_fma_f32 v29, -v12, v39, v29
	s_add_i32 s9, s7, 0xfffff438
	ds_read2_b32 v[34:35], v34 offset1:1
	v_fma_f32 v29, -v19, v38, v29
	v_mov_b32_e32 v36, s9
	s_add_i32 s9, s7, 0xfffff430
	s_waitcnt lgkmcnt(1)
	v_fma_f32 v29, -v18, v41, v29
	v_mov_b32_e32 v38, s9
	s_add_i32 s9, s8, 0xfffff424
	v_fma_f32 v29, -v17, v40, v29
	v_mov_b32_e32 v40, s9
	ds_read2_b32 v[36:37], v36 offset1:1
	ds_read2_b32 v[38:39], v38 offset1:1
	;; [unrolled: 1-line block ×3, first 2 shown]
	s_waitcnt lgkmcnt(3)
	v_fma_f32 v29, -v16, v35, v29
	v_fma_f32 v29, -v27, v34, v29
	s_add_i32 s9, s7, 0xfffff3fc
	s_waitcnt lgkmcnt(2)
	v_fma_f32 v29, -v26, v37, v29
	v_mov_b32_e32 v34, s9
	v_fma_f32 v29, -v25, v36, v29
	ds_read2_b32 v[34:35], v34 offset1:1
	s_waitcnt lgkmcnt(2)
	v_fma_f32 v29, -v24, v39, v29
	s_add_i32 s9, s7, 0xfffff3f4
	v_fma_f32 v29, -v31, v38, v29
	v_mov_b32_e32 v36, s9
	s_add_i32 s9, s7, 0xfffff3ec
	s_waitcnt lgkmcnt(1)
	v_fma_f32 v29, -v30, v41, v29
	v_mov_b32_e32 v38, s9
	s_add_i32 s9, s7, 0xfffff3e4
	v_mul_f32_e32 v29, v40, v29
	v_mov_b32_e32 v40, s9
	ds_read2_b32 v[36:37], v36 offset1:1
	ds_read2_b32 v[38:39], v38 offset1:1
	;; [unrolled: 1-line block ×3, first 2 shown]
	s_waitcnt lgkmcnt(3)
	v_mul_f32_e32 v35, v7, v35
	v_fma_f32 v28, v28, s16, -v35
	v_fma_f32 v28, -v6, v34, v28
	s_waitcnt lgkmcnt(2)
	v_fma_f32 v28, -v5, v37, v28
	s_add_i32 s9, s7, 0xfffff3dc
	v_fma_f32 v28, -v4, v36, v28
	v_mov_b32_e32 v34, s9
	s_waitcnt lgkmcnt(1)
	v_fma_f32 v28, -v11, v39, v28
	s_add_i32 s9, s7, 0xfffff3d4
	ds_read2_b32 v[34:35], v34 offset1:1
	v_fma_f32 v28, -v10, v38, v28
	v_mov_b32_e32 v36, s9
	s_add_i32 s9, s7, 0xfffff3cc
	s_waitcnt lgkmcnt(1)
	v_fma_f32 v28, -v9, v41, v28
	v_mov_b32_e32 v38, s9
	s_add_i32 s9, s7, 0xfffff3c4
	v_fma_f32 v28, -v8, v40, v28
	v_mov_b32_e32 v40, s9
	ds_read2_b32 v[36:37], v36 offset1:1
	ds_read2_b32 v[38:39], v38 offset1:1
	;; [unrolled: 1-line block ×3, first 2 shown]
	s_waitcnt lgkmcnt(3)
	v_fma_f32 v28, -v15, v35, v28
	v_fma_f32 v28, -v14, v34, v28
	s_waitcnt lgkmcnt(2)
	v_fma_f32 v28, -v13, v37, v28
	s_add_i32 s9, s7, 0xfffff3bc
	v_fma_f32 v28, -v12, v36, v28
	v_mov_b32_e32 v34, s9
	s_waitcnt lgkmcnt(1)
	v_fma_f32 v28, -v19, v39, v28
	s_add_i32 s9, s7, 0xfffff3b4
	ds_read2_b32 v[34:35], v34 offset1:1
	v_fma_f32 v28, -v18, v38, v28
	v_mov_b32_e32 v36, s9
	s_add_i32 s9, s7, 0xfffff3ac
	s_waitcnt lgkmcnt(1)
	v_fma_f32 v28, -v17, v41, v28
	v_mov_b32_e32 v38, s9
	s_add_i32 s9, s8, 0xfffff3a0
	v_fma_f32 v28, -v16, v40, v28
	v_mov_b32_e32 v40, s9
	ds_read2_b32 v[36:37], v36 offset1:1
	ds_read2_b32 v[38:39], v38 offset1:1
	;; [unrolled: 1-line block ×3, first 2 shown]
	s_waitcnt lgkmcnt(3)
	v_fma_f32 v28, -v27, v35, v28
	v_fma_f32 v28, -v26, v34, v28
	s_waitcnt lgkmcnt(2)
	v_fma_f32 v28, -v25, v37, v28
	v_fma_f32 v28, -v24, v36, v28
	;; [unrolled: 3-line block ×3, first 2 shown]
	s_add_i32 s9, s7, 0xfffff380
	s_waitcnt lgkmcnt(0)
	v_fma_f32 v28, -v29, v41, v28
	v_mov_b32_e32 v34, s9
	v_mul_f32_e32 v28, v40, v28
	s_add_i32 s9, s7, 0xfffff378
	ds_read_b32 v40, v34
	v_mov_b32_e32 v35, s9
	s_add_i32 s9, s7, 0xfffff370
	v_mov_b32_e32 v36, s9
	s_add_i32 s9, s7, 0xfffff368
	global_store_dwordx4 v[32:33], v[28:31], off offset:-96
	v_mov_b32_e32 v38, s9
	ds_read2_b32 v[34:35], v35 offset1:1
	ds_read2_b32 v[36:37], v36 offset1:1
	;; [unrolled: 1-line block ×3, first 2 shown]
	s_waitcnt lgkmcnt(3)
	v_mul_f32_e32 v40, v7, v40
	v_fma_f32 v23, v23, s16, -v40
	s_waitcnt lgkmcnt(2)
	v_fma_f32 v23, -v6, v35, v23
	v_fma_f32 v23, -v5, v34, v23
	s_add_i32 s9, s7, 0xfffff360
	s_waitcnt lgkmcnt(1)
	v_fma_f32 v23, -v4, v37, v23
	v_mov_b32_e32 v34, s9
	v_fma_f32 v23, -v11, v36, v23
	s_add_i32 s9, s7, 0xfffff358
	ds_read2_b32 v[34:35], v34 offset1:1
	s_waitcnt lgkmcnt(1)
	v_fma_f32 v23, -v10, v39, v23
	v_mov_b32_e32 v36, s9
	s_add_i32 s9, s7, 0xfffff350
	v_fma_f32 v23, -v9, v38, v23
	v_mov_b32_e32 v38, s9
	s_add_i32 s9, s7, 0xfffff348
	v_mov_b32_e32 v40, s9
	ds_read2_b32 v[36:37], v36 offset1:1
	ds_read2_b32 v[38:39], v38 offset1:1
	;; [unrolled: 1-line block ×3, first 2 shown]
	s_waitcnt lgkmcnt(3)
	v_fma_f32 v23, -v8, v35, v23
	v_fma_f32 v23, -v15, v34, v23
	s_waitcnt lgkmcnt(2)
	v_fma_f32 v23, -v14, v37, v23
	s_add_i32 s9, s7, 0xfffff340
	v_fma_f32 v23, -v13, v36, v23
	v_mov_b32_e32 v34, s9
	s_waitcnt lgkmcnt(1)
	v_fma_f32 v23, -v12, v39, v23
	s_add_i32 s9, s7, 0xfffff338
	ds_read2_b32 v[34:35], v34 offset1:1
	v_fma_f32 v23, -v19, v38, v23
	v_mov_b32_e32 v36, s9
	s_add_i32 s9, s7, 0xfffff330
	s_waitcnt lgkmcnt(1)
	v_fma_f32 v23, -v18, v41, v23
	v_mov_b32_e32 v38, s9
	s_add_i32 s9, s7, 0xfffff328
	v_fma_f32 v23, -v17, v40, v23
	v_mov_b32_e32 v40, s9
	ds_read2_b32 v[36:37], v36 offset1:1
	ds_read2_b32 v[38:39], v38 offset1:1
	;; [unrolled: 1-line block ×3, first 2 shown]
	s_waitcnt lgkmcnt(3)
	v_fma_f32 v23, -v16, v35, v23
	v_fma_f32 v23, -v27, v34, v23
	s_waitcnt lgkmcnt(2)
	v_fma_f32 v23, -v26, v37, v23
	v_fma_f32 v23, -v25, v36, v23
	s_add_i32 s9, s8, 0xfffff31c
	s_waitcnt lgkmcnt(1)
	v_fma_f32 v23, -v24, v39, v23
	v_mov_b32_e32 v34, s9
	s_add_i32 s9, s7, 0xfffff2fc
	v_fma_f32 v23, -v31, v38, v23
	v_mov_b32_e32 v36, s9
	s_add_i32 s9, s7, 0xfffff2f4
	ds_read2_b32 v[34:35], v34 offset1:1
	s_waitcnt lgkmcnt(1)
	v_fma_f32 v23, -v30, v41, v23
	v_mov_b32_e32 v38, s9
	s_add_i32 s9, s7, 0xfffff2ec
	v_fma_f32 v23, -v29, v40, v23
	v_mov_b32_e32 v40, s9
	ds_read2_b32 v[36:37], v36 offset1:1
	ds_read2_b32 v[38:39], v38 offset1:1
	;; [unrolled: 1-line block ×3, first 2 shown]
	s_waitcnt lgkmcnt(3)
	v_fma_f32 v23, -v28, v35, v23
	v_mul_f32_e32 v23, v34, v23
	s_waitcnt lgkmcnt(2)
	v_mul_f32_e32 v34, v7, v37
	v_fma_f32 v22, v22, s16, -v34
	s_add_i32 s9, s7, 0xfffff2e4
	v_fma_f32 v22, -v6, v36, v22
	v_mov_b32_e32 v34, s9
	s_waitcnt lgkmcnt(1)
	v_fma_f32 v22, -v5, v39, v22
	s_add_i32 s9, s7, 0xfffff2dc
	ds_read2_b32 v[34:35], v34 offset1:1
	v_fma_f32 v22, -v4, v38, v22
	v_mov_b32_e32 v36, s9
	s_add_i32 s9, s7, 0xfffff2d4
	s_waitcnt lgkmcnt(1)
	v_fma_f32 v22, -v11, v41, v22
	v_mov_b32_e32 v38, s9
	s_add_i32 s9, s7, 0xfffff2cc
	v_fma_f32 v22, -v10, v40, v22
	v_mov_b32_e32 v40, s9
	ds_read2_b32 v[36:37], v36 offset1:1
	ds_read2_b32 v[38:39], v38 offset1:1
	;; [unrolled: 1-line block ×3, first 2 shown]
	s_waitcnt lgkmcnt(3)
	v_fma_f32 v22, -v9, v35, v22
	v_fma_f32 v22, -v8, v34, v22
	s_waitcnt lgkmcnt(2)
	v_fma_f32 v22, -v15, v37, v22
	s_add_i32 s9, s7, 0xfffff2c4
	v_fma_f32 v22, -v14, v36, v22
	v_mov_b32_e32 v34, s9
	s_waitcnt lgkmcnt(1)
	v_fma_f32 v22, -v13, v39, v22
	s_add_i32 s9, s7, 0xfffff2bc
	ds_read2_b32 v[34:35], v34 offset1:1
	v_fma_f32 v22, -v12, v38, v22
	v_mov_b32_e32 v36, s9
	s_add_i32 s9, s7, 0xfffff2b4
	s_waitcnt lgkmcnt(1)
	v_fma_f32 v22, -v19, v41, v22
	v_mov_b32_e32 v38, s9
	s_add_i32 s9, s7, 0xfffff2ac
	v_fma_f32 v22, -v18, v40, v22
	v_mov_b32_e32 v40, s9
	ds_read2_b32 v[36:37], v36 offset1:1
	ds_read2_b32 v[38:39], v38 offset1:1
	;; [unrolled: 1-line block ×3, first 2 shown]
	s_waitcnt lgkmcnt(3)
	v_fma_f32 v22, -v17, v35, v22
	v_fma_f32 v22, -v16, v34, v22
	s_waitcnt lgkmcnt(2)
	v_fma_f32 v22, -v27, v37, v22
	s_add_i32 s9, s7, 0xfffff2a4
	v_fma_f32 v22, -v26, v36, v22
	v_mov_b32_e32 v34, s9
	s_add_i32 s9, s8, 0xfffff298
	s_waitcnt lgkmcnt(1)
	v_fma_f32 v22, -v25, v39, v22
	v_mov_b32_e32 v36, s9
	s_add_i32 s9, s7, 0xfffff280
	v_fma_f32 v22, -v24, v38, v22
	v_mov_b32_e32 v38, s9
	s_add_i32 s9, s7, 0xfffff278
	ds_read2_b32 v[34:35], v34 offset1:1
	s_waitcnt lgkmcnt(1)
	v_fma_f32 v22, -v31, v41, v22
	v_mov_b32_e32 v39, s9
	v_fma_f32 v22, -v30, v40, v22
	ds_read2_b32 v[36:37], v36 offset1:1
	ds_read_b32 v40, v38
	ds_read2_b32 v[38:39], v39 offset1:1
	s_waitcnt lgkmcnt(3)
	v_fma_f32 v22, -v29, v35, v22
	v_fma_f32 v22, -v28, v34, v22
	s_add_i32 s9, s7, 0xfffff270
	s_waitcnt lgkmcnt(1)
	v_mul_f32_e32 v34, v7, v40
	v_fma_f32 v21, v21, s16, -v34
	v_mov_b32_e32 v34, s9
	v_fma_f32 v22, -v23, v37, v22
	s_add_i32 s9, s7, 0xfffff268
	ds_read2_b32 v[34:35], v34 offset1:1
	v_mul_f32_e32 v22, v36, v22
	s_waitcnt lgkmcnt(1)
	v_fma_f32 v21, -v6, v39, v21
	v_mov_b32_e32 v36, s9
	s_add_i32 s9, s7, 0xfffff260
	v_fma_f32 v21, -v5, v38, v21
	v_mov_b32_e32 v38, s9
	s_add_i32 s9, s7, 0xfffff258
	v_mov_b32_e32 v40, s9
	ds_read2_b32 v[36:37], v36 offset1:1
	ds_read2_b32 v[38:39], v38 offset1:1
	ds_read2_b32 v[40:41], v40 offset1:1
	s_waitcnt lgkmcnt(3)
	v_fma_f32 v21, -v4, v35, v21
	v_fma_f32 v21, -v11, v34, v21
	s_waitcnt lgkmcnt(2)
	v_fma_f32 v21, -v10, v37, v21
	s_add_i32 s9, s7, 0xfffff250
	v_fma_f32 v21, -v9, v36, v21
	v_mov_b32_e32 v34, s9
	s_waitcnt lgkmcnt(1)
	v_fma_f32 v21, -v8, v39, v21
	s_add_i32 s9, s7, 0xfffff248
	ds_read2_b32 v[34:35], v34 offset1:1
	v_fma_f32 v21, -v15, v38, v21
	v_mov_b32_e32 v36, s9
	s_add_i32 s9, s7, 0xfffff240
	s_waitcnt lgkmcnt(1)
	v_fma_f32 v21, -v14, v41, v21
	v_mov_b32_e32 v38, s9
	s_add_i32 s9, s7, 0xfffff238
	v_fma_f32 v21, -v13, v40, v21
	v_mov_b32_e32 v40, s9
	ds_read2_b32 v[36:37], v36 offset1:1
	ds_read2_b32 v[38:39], v38 offset1:1
	;; [unrolled: 1-line block ×3, first 2 shown]
	s_waitcnt lgkmcnt(3)
	v_fma_f32 v21, -v12, v35, v21
	v_fma_f32 v21, -v19, v34, v21
	s_waitcnt lgkmcnt(2)
	v_fma_f32 v21, -v18, v37, v21
	s_add_i32 s9, s7, 0xfffff230
	v_fma_f32 v21, -v17, v36, v21
	v_mov_b32_e32 v34, s9
	s_waitcnt lgkmcnt(1)
	v_fma_f32 v21, -v16, v39, v21
	s_add_i32 s9, s7, 0xfffff228
	ds_read2_b32 v[34:35], v34 offset1:1
	v_fma_f32 v21, -v27, v38, v21
	v_mov_b32_e32 v36, s9
	s_add_i32 s9, s7, 0xfffff220
	s_waitcnt lgkmcnt(1)
	v_fma_f32 v21, -v26, v41, v21
	v_mov_b32_e32 v38, s9
	s_add_i32 s9, s8, 0xfffff214
	v_fma_f32 v21, -v25, v40, v21
	v_mov_b32_e32 v40, s9
	ds_read2_b32 v[36:37], v36 offset1:1
	ds_read2_b32 v[38:39], v38 offset1:1
	;; [unrolled: 1-line block ×3, first 2 shown]
	s_waitcnt lgkmcnt(3)
	v_fma_f32 v21, -v24, v35, v21
	v_fma_f32 v21, -v31, v34, v21
	s_add_i32 s9, s7, 0xfffff1fc
	s_waitcnt lgkmcnt(2)
	v_fma_f32 v21, -v30, v37, v21
	v_mov_b32_e32 v34, s9
	v_fma_f32 v21, -v29, v36, v21
	ds_read2_b32 v[34:35], v34 offset1:1
	s_waitcnt lgkmcnt(2)
	v_fma_f32 v21, -v28, v39, v21
	s_add_i32 s9, s7, 0xfffff1f4
	v_fma_f32 v21, -v23, v38, v21
	v_mov_b32_e32 v36, s9
	s_add_i32 s9, s7, 0xfffff1ec
	s_waitcnt lgkmcnt(1)
	v_fma_f32 v21, -v22, v41, v21
	v_mov_b32_e32 v38, s9
	s_add_i32 s9, s7, 0xfffff1e4
	v_mul_f32_e32 v21, v40, v21
	v_mov_b32_e32 v40, s9
	ds_read2_b32 v[36:37], v36 offset1:1
	ds_read2_b32 v[38:39], v38 offset1:1
	;; [unrolled: 1-line block ×3, first 2 shown]
	s_waitcnt lgkmcnt(3)
	v_mul_f32_e32 v35, v7, v35
	v_fma_f32 v20, v20, s16, -v35
	v_fma_f32 v20, -v6, v34, v20
	s_waitcnt lgkmcnt(2)
	v_fma_f32 v20, -v5, v37, v20
	s_add_i32 s9, s7, 0xfffff1dc
	v_fma_f32 v20, -v4, v36, v20
	v_mov_b32_e32 v34, s9
	s_waitcnt lgkmcnt(1)
	v_fma_f32 v20, -v11, v39, v20
	s_add_i32 s9, s7, 0xfffff1d4
	ds_read2_b32 v[34:35], v34 offset1:1
	v_fma_f32 v20, -v10, v38, v20
	v_mov_b32_e32 v36, s9
	s_add_i32 s9, s7, 0xfffff1cc
	s_waitcnt lgkmcnt(1)
	v_fma_f32 v20, -v9, v41, v20
	v_mov_b32_e32 v38, s9
	s_add_i32 s9, s7, 0xfffff1c4
	v_fma_f32 v20, -v8, v40, v20
	v_mov_b32_e32 v40, s9
	ds_read2_b32 v[36:37], v36 offset1:1
	ds_read2_b32 v[38:39], v38 offset1:1
	;; [unrolled: 1-line block ×3, first 2 shown]
	s_waitcnt lgkmcnt(3)
	v_fma_f32 v20, -v15, v35, v20
	v_fma_f32 v20, -v14, v34, v20
	s_waitcnt lgkmcnt(2)
	v_fma_f32 v20, -v13, v37, v20
	s_add_i32 s9, s7, 0xfffff1bc
	v_fma_f32 v20, -v12, v36, v20
	v_mov_b32_e32 v34, s9
	s_waitcnt lgkmcnt(1)
	v_fma_f32 v20, -v19, v39, v20
	s_add_i32 s9, s7, 0xfffff1b4
	ds_read2_b32 v[34:35], v34 offset1:1
	v_fma_f32 v20, -v18, v38, v20
	v_mov_b32_e32 v36, s9
	s_add_i32 s9, s7, 0xfffff1ac
	s_waitcnt lgkmcnt(1)
	v_fma_f32 v20, -v17, v41, v20
	v_mov_b32_e32 v38, s9
	s_add_i32 s9, s7, 0xfffff1a4
	v_fma_f32 v20, -v16, v40, v20
	v_mov_b32_e32 v40, s9
	ds_read2_b32 v[36:37], v36 offset1:1
	ds_read2_b32 v[38:39], v38 offset1:1
	;; [unrolled: 1-line block ×3, first 2 shown]
	s_waitcnt lgkmcnt(3)
	v_fma_f32 v20, -v27, v35, v20
	v_fma_f32 v20, -v26, v34, v20
	s_waitcnt lgkmcnt(2)
	v_fma_f32 v20, -v25, v37, v20
	s_add_i32 s9, s7, 0xfffff19c
	v_fma_f32 v20, -v24, v36, v20
	v_mov_b32_e32 v34, s9
	s_add_i32 s9, s8, 0xfffff190
	s_waitcnt lgkmcnt(1)
	v_fma_f32 v20, -v31, v39, v20
	v_mov_b32_e32 v36, s9
	s_add_i32 s9, s7, 0xfffff180
	v_fma_f32 v20, -v30, v38, v20
	v_mov_b32_e32 v38, s9
	s_add_i32 s9, s7, 0xfffff178
	ds_read2_b32 v[34:35], v34 offset1:1
	s_waitcnt lgkmcnt(1)
	v_fma_f32 v20, -v29, v41, v20
	v_mov_b32_e32 v39, s9
	v_fma_f32 v20, -v28, v40, v20
	ds_read2_b32 v[36:37], v36 offset1:1
	ds_read_b32 v40, v38
	ds_read2_b32 v[38:39], v39 offset1:1
	s_waitcnt lgkmcnt(3)
	v_fma_f32 v20, -v23, v35, v20
	v_fma_f32 v20, -v22, v34, v20
	s_add_i32 s9, s7, 0xfffff170
	s_waitcnt lgkmcnt(1)
	v_mul_f32_e32 v34, v7, v40
	v_fma_f32 v3, v3, s16, -v34
	v_mov_b32_e32 v34, s9
	v_fma_f32 v20, -v21, v37, v20
	s_add_i32 s9, s7, 0xfffff168
	ds_read2_b32 v[34:35], v34 offset1:1
	v_mul_f32_e32 v20, v36, v20
	s_waitcnt lgkmcnt(1)
	v_fma_f32 v3, -v6, v39, v3
	v_mov_b32_e32 v36, s9
	s_add_i32 s9, s7, 0xfffff160
	v_fma_f32 v3, -v5, v38, v3
	v_mov_b32_e32 v38, s9
	s_add_i32 s9, s7, 0xfffff158
	global_store_dwordx4 v[32:33], v[20:23], off offset:-112
	v_mov_b32_e32 v40, s9
	ds_read2_b32 v[36:37], v36 offset1:1
	ds_read2_b32 v[38:39], v38 offset1:1
	;; [unrolled: 1-line block ×3, first 2 shown]
	s_waitcnt lgkmcnt(3)
	v_fma_f32 v3, -v4, v35, v3
	v_fma_f32 v3, -v11, v34, v3
	s_waitcnt lgkmcnt(2)
	v_fma_f32 v3, -v10, v37, v3
	s_add_i32 s9, s7, 0xfffff150
	v_fma_f32 v3, -v9, v36, v3
	v_mov_b32_e32 v34, s9
	s_waitcnt lgkmcnt(1)
	v_fma_f32 v3, -v8, v39, v3
	s_add_i32 s9, s7, 0xfffff148
	ds_read2_b32 v[34:35], v34 offset1:1
	v_fma_f32 v3, -v15, v38, v3
	v_mov_b32_e32 v36, s9
	s_add_i32 s9, s7, 0xfffff140
	s_waitcnt lgkmcnt(1)
	v_fma_f32 v3, -v14, v41, v3
	v_mov_b32_e32 v38, s9
	s_add_i32 s9, s7, 0xfffff138
	v_fma_f32 v3, -v13, v40, v3
	v_mov_b32_e32 v40, s9
	ds_read2_b32 v[36:37], v36 offset1:1
	ds_read2_b32 v[38:39], v38 offset1:1
	;; [unrolled: 1-line block ×3, first 2 shown]
	s_waitcnt lgkmcnt(3)
	v_fma_f32 v3, -v12, v35, v3
	v_fma_f32 v3, -v19, v34, v3
	s_waitcnt lgkmcnt(2)
	v_fma_f32 v3, -v18, v37, v3
	s_add_i32 s9, s7, 0xfffff130
	v_fma_f32 v3, -v17, v36, v3
	v_mov_b32_e32 v34, s9
	s_waitcnt lgkmcnt(1)
	v_fma_f32 v3, -v16, v39, v3
	s_add_i32 s9, s7, 0xfffff128
	ds_read2_b32 v[34:35], v34 offset1:1
	v_fma_f32 v3, -v27, v38, v3
	v_mov_b32_e32 v36, s9
	s_add_i32 s9, s7, 0xfffff120
	s_waitcnt lgkmcnt(1)
	v_fma_f32 v3, -v26, v41, v3
	v_mov_b32_e32 v38, s9
	s_add_i32 s9, s7, 0xfffff118
	v_fma_f32 v3, -v25, v40, v3
	v_mov_b32_e32 v40, s9
	ds_read2_b32 v[36:37], v36 offset1:1
	ds_read2_b32 v[38:39], v38 offset1:1
	;; [unrolled: 1-line block ×3, first 2 shown]
	s_waitcnt lgkmcnt(3)
	v_fma_f32 v3, -v24, v35, v3
	v_fma_f32 v3, -v31, v34, v3
	s_waitcnt lgkmcnt(2)
	v_fma_f32 v3, -v30, v37, v3
	v_fma_f32 v3, -v29, v36, v3
	s_add_i32 s9, s8, 0xfffff10c
	s_waitcnt lgkmcnt(1)
	v_fma_f32 v3, -v28, v39, v3
	v_mov_b32_e32 v34, s9
	s_add_i32 s9, s7, 0xfffff0fc
	v_fma_f32 v3, -v23, v38, v3
	v_mov_b32_e32 v36, s9
	s_add_i32 s9, s7, 0xfffff0f4
	ds_read2_b32 v[34:35], v34 offset1:1
	s_waitcnt lgkmcnt(1)
	v_fma_f32 v3, -v22, v41, v3
	v_mov_b32_e32 v38, s9
	s_add_i32 s9, s7, 0xfffff0ec
	v_fma_f32 v3, -v21, v40, v3
	v_mov_b32_e32 v40, s9
	ds_read2_b32 v[36:37], v36 offset1:1
	ds_read2_b32 v[38:39], v38 offset1:1
	;; [unrolled: 1-line block ×3, first 2 shown]
	s_waitcnt lgkmcnt(3)
	v_fma_f32 v3, -v20, v35, v3
	v_mul_f32_e32 v3, v34, v3
	s_waitcnt lgkmcnt(2)
	v_mul_f32_e32 v34, v7, v37
	v_fma_f32 v2, v2, s16, -v34
	s_add_i32 s9, s7, 0xfffff0e4
	v_fma_f32 v2, -v6, v36, v2
	v_mov_b32_e32 v34, s9
	s_waitcnt lgkmcnt(1)
	v_fma_f32 v2, -v5, v39, v2
	s_add_i32 s9, s7, 0xfffff0dc
	ds_read2_b32 v[34:35], v34 offset1:1
	v_fma_f32 v2, -v4, v38, v2
	v_mov_b32_e32 v36, s9
	s_add_i32 s9, s7, 0xfffff0d4
	s_waitcnt lgkmcnt(1)
	v_fma_f32 v2, -v11, v41, v2
	v_mov_b32_e32 v38, s9
	s_add_i32 s9, s7, 0xfffff0cc
	v_fma_f32 v2, -v10, v40, v2
	v_mov_b32_e32 v40, s9
	ds_read2_b32 v[36:37], v36 offset1:1
	ds_read2_b32 v[38:39], v38 offset1:1
	ds_read2_b32 v[40:41], v40 offset1:1
	s_waitcnt lgkmcnt(3)
	v_fma_f32 v2, -v9, v35, v2
	v_fma_f32 v2, -v8, v34, v2
	s_waitcnt lgkmcnt(2)
	v_fma_f32 v2, -v15, v37, v2
	s_add_i32 s9, s7, 0xfffff0c4
	v_fma_f32 v2, -v14, v36, v2
	v_mov_b32_e32 v34, s9
	s_waitcnt lgkmcnt(1)
	v_fma_f32 v2, -v13, v39, v2
	s_add_i32 s9, s7, 0xfffff0bc
	ds_read2_b32 v[34:35], v34 offset1:1
	v_fma_f32 v2, -v12, v38, v2
	v_mov_b32_e32 v36, s9
	s_add_i32 s9, s7, 0xfffff0b4
	s_waitcnt lgkmcnt(1)
	v_fma_f32 v2, -v19, v41, v2
	v_mov_b32_e32 v38, s9
	s_add_i32 s9, s7, 0xfffff0ac
	v_fma_f32 v2, -v18, v40, v2
	v_mov_b32_e32 v40, s9
	ds_read2_b32 v[36:37], v36 offset1:1
	ds_read2_b32 v[38:39], v38 offset1:1
	ds_read2_b32 v[40:41], v40 offset1:1
	s_waitcnt lgkmcnt(3)
	v_fma_f32 v2, -v17, v35, v2
	v_fma_f32 v2, -v16, v34, v2
	s_waitcnt lgkmcnt(2)
	v_fma_f32 v2, -v27, v37, v2
	;; [unrolled: 24-line block ×3, first 2 shown]
	v_fma_f32 v2, -v22, v36, v2
	s_waitcnt lgkmcnt(1)
	v_fma_f32 v2, -v21, v39, v2
	v_fma_f32 v2, -v20, v38, v2
	s_add_i32 s9, s7, 0xfffff080
	s_waitcnt lgkmcnt(0)
	v_fma_f32 v2, -v3, v41, v2
	v_mov_b32_e32 v34, s9
	v_mul_f32_e32 v2, v40, v2
	s_add_i32 s9, s7, 0xfffff078
	ds_read_b32 v40, v34
	v_mov_b32_e32 v35, s9
	s_add_i32 s9, s7, 0xfffff070
	v_mov_b32_e32 v36, s9
	s_add_i32 s9, s7, 0xfffff068
	v_mov_b32_e32 v38, s9
	ds_read2_b32 v[34:35], v35 offset1:1
	ds_read2_b32 v[36:37], v36 offset1:1
	;; [unrolled: 1-line block ×3, first 2 shown]
	s_waitcnt lgkmcnt(3)
	v_mul_f32_e32 v40, v7, v40
	v_fma_f32 v1, v1, s16, -v40
	s_waitcnt lgkmcnt(2)
	v_fma_f32 v1, -v6, v35, v1
	v_fma_f32 v1, -v5, v34, v1
	s_add_i32 s9, s7, 0xfffff060
	s_waitcnt lgkmcnt(1)
	v_fma_f32 v1, -v4, v37, v1
	v_mov_b32_e32 v34, s9
	v_fma_f32 v1, -v11, v36, v1
	s_add_i32 s9, s7, 0xfffff058
	ds_read2_b32 v[34:35], v34 offset1:1
	s_waitcnt lgkmcnt(1)
	v_fma_f32 v1, -v10, v39, v1
	v_mov_b32_e32 v36, s9
	s_add_i32 s9, s7, 0xfffff050
	v_fma_f32 v1, -v9, v38, v1
	v_mov_b32_e32 v38, s9
	s_add_i32 s9, s7, 0xfffff048
	v_mov_b32_e32 v40, s9
	ds_read2_b32 v[36:37], v36 offset1:1
	ds_read2_b32 v[38:39], v38 offset1:1
	;; [unrolled: 1-line block ×3, first 2 shown]
	s_waitcnt lgkmcnt(3)
	v_fma_f32 v1, -v8, v35, v1
	v_fma_f32 v1, -v15, v34, v1
	s_waitcnt lgkmcnt(2)
	v_fma_f32 v1, -v14, v37, v1
	s_add_i32 s9, s7, 0xfffff040
	v_fma_f32 v1, -v13, v36, v1
	v_mov_b32_e32 v34, s9
	s_waitcnt lgkmcnt(1)
	v_fma_f32 v1, -v12, v39, v1
	s_add_i32 s9, s7, 0xfffff038
	ds_read2_b32 v[34:35], v34 offset1:1
	v_fma_f32 v1, -v19, v38, v1
	v_mov_b32_e32 v36, s9
	s_add_i32 s9, s7, 0xfffff030
	s_waitcnt lgkmcnt(1)
	v_fma_f32 v1, -v18, v41, v1
	v_mov_b32_e32 v38, s9
	s_add_i32 s9, s7, 0xfffff028
	v_fma_f32 v1, -v17, v40, v1
	v_mov_b32_e32 v40, s9
	ds_read2_b32 v[36:37], v36 offset1:1
	ds_read2_b32 v[38:39], v38 offset1:1
	;; [unrolled: 1-line block ×3, first 2 shown]
	s_waitcnt lgkmcnt(3)
	v_fma_f32 v1, -v16, v35, v1
	v_fma_f32 v1, -v27, v34, v1
	s_waitcnt lgkmcnt(2)
	v_fma_f32 v1, -v26, v37, v1
	s_add_i32 s9, s7, 0xfffff020
	v_fma_f32 v1, -v25, v36, v1
	v_mov_b32_e32 v34, s9
	s_waitcnt lgkmcnt(1)
	v_fma_f32 v1, -v24, v39, v1
	s_add_i32 s9, s7, 0xfffff018
	ds_read2_b32 v[34:35], v34 offset1:1
	v_fma_f32 v1, -v31, v38, v1
	v_mov_b32_e32 v36, s9
	s_add_i32 s9, s7, 0xfffff010
	s_waitcnt lgkmcnt(1)
	v_fma_f32 v1, -v30, v41, v1
	v_mov_b32_e32 v38, s9
	s_add_i32 s9, s8, 0xfffff004
	v_fma_f32 v1, -v29, v40, v1
	v_mov_b32_e32 v40, s9
	ds_read2_b32 v[36:37], v36 offset1:1
	ds_read2_b32 v[38:39], v38 offset1:1
	;; [unrolled: 1-line block ×3, first 2 shown]
	s_waitcnt lgkmcnt(3)
	v_fma_f32 v1, -v28, v35, v1
	v_fma_f32 v1, -v23, v34, v1
	s_add_i32 s9, s7, 0xffffeffc
	s_waitcnt lgkmcnt(2)
	v_fma_f32 v1, -v22, v37, v1
	v_mov_b32_e32 v34, s9
	v_fma_f32 v1, -v21, v36, v1
	ds_read2_b32 v[34:35], v34 offset1:1
	s_waitcnt lgkmcnt(2)
	v_fma_f32 v1, -v20, v39, v1
	s_add_i32 s9, s7, 0xffffeff4
	v_fma_f32 v1, -v3, v38, v1
	v_mov_b32_e32 v36, s9
	s_add_i32 s9, s7, 0xffffefec
	s_waitcnt lgkmcnt(1)
	v_fma_f32 v1, -v2, v41, v1
	v_mov_b32_e32 v38, s9
	s_add_i32 s9, s7, 0xffffefe4
	v_mul_f32_e32 v1, v40, v1
	v_mov_b32_e32 v40, s9
	ds_read2_b32 v[36:37], v36 offset1:1
	ds_read2_b32 v[38:39], v38 offset1:1
	;; [unrolled: 1-line block ×3, first 2 shown]
	s_waitcnt lgkmcnt(3)
	v_mul_f32_e32 v7, v7, v35
	v_fma_f32 v0, v0, s16, -v7
	v_fma_f32 v0, -v6, v34, v0
	s_waitcnt lgkmcnt(2)
	v_fma_f32 v0, -v5, v37, v0
	v_fma_f32 v0, -v4, v36, v0
	s_add_i32 s9, s7, 0xffffefdc
	s_waitcnt lgkmcnt(1)
	v_fma_f32 v0, -v11, v39, v0
	v_mov_b32_e32 v4, s9
	v_fma_f32 v0, -v10, v38, v0
	s_add_i32 s9, s7, 0xffffefd4
	ds_read2_b32 v[4:5], v4 offset1:1
	s_waitcnt lgkmcnt(1)
	v_fma_f32 v0, -v9, v41, v0
	v_mov_b32_e32 v6, s9
	s_add_i32 s9, s7, 0xffffefcc
	v_fma_f32 v0, -v8, v40, v0
	v_mov_b32_e32 v8, s9
	s_add_i32 s9, s7, 0xffffefc4
	v_mov_b32_e32 v10, s9
	ds_read2_b32 v[6:7], v6 offset1:1
	ds_read2_b32 v[8:9], v8 offset1:1
	ds_read2_b32 v[10:11], v10 offset1:1
	s_waitcnt lgkmcnt(3)
	v_fma_f32 v0, -v15, v5, v0
	v_fma_f32 v0, -v14, v4, v0
	s_waitcnt lgkmcnt(2)
	v_fma_f32 v0, -v13, v7, v0
	s_add_i32 s9, s7, 0xffffefbc
	v_fma_f32 v0, -v12, v6, v0
	v_mov_b32_e32 v4, s9
	s_waitcnt lgkmcnt(1)
	v_fma_f32 v0, -v19, v9, v0
	s_add_i32 s9, s7, 0xffffefb4
	ds_read2_b32 v[4:5], v4 offset1:1
	v_fma_f32 v0, -v18, v8, v0
	v_mov_b32_e32 v6, s9
	s_add_i32 s9, s7, 0xffffefac
	s_waitcnt lgkmcnt(1)
	v_fma_f32 v0, -v17, v11, v0
	v_mov_b32_e32 v8, s9
	s_add_i32 s9, s7, 0xffffefa4
	v_fma_f32 v0, -v16, v10, v0
	v_mov_b32_e32 v10, s9
	ds_read2_b32 v[6:7], v6 offset1:1
	ds_read2_b32 v[8:9], v8 offset1:1
	;; [unrolled: 1-line block ×3, first 2 shown]
	s_waitcnt lgkmcnt(3)
	v_fma_f32 v0, -v27, v5, v0
	v_fma_f32 v0, -v26, v4, v0
	s_waitcnt lgkmcnt(2)
	v_fma_f32 v0, -v25, v7, v0
	s_add_i32 s9, s7, 0xffffef9c
	v_fma_f32 v0, -v24, v6, v0
	v_mov_b32_e32 v4, s9
	s_waitcnt lgkmcnt(1)
	v_fma_f32 v0, -v31, v9, v0
	ds_read2_b32 v[4:5], v4 offset1:1
	v_fma_f32 v0, -v30, v8, v0
	s_add_i32 s9, s7, 0xffffef94
	s_addk_i32 s7, 0xef8c
	s_waitcnt lgkmcnt(1)
	v_fma_f32 v0, -v29, v11, v0
	v_mov_b32_e32 v8, s7
	s_add_i32 s7, s8, 0xffffef80
	v_fma_f32 v0, -v28, v10, v0
	v_mov_b32_e32 v6, s9
	v_mov_b32_e32 v10, s7
	ds_read2_b32 v[6:7], v6 offset1:1
	ds_read2_b32 v[8:9], v8 offset1:1
	;; [unrolled: 1-line block ×3, first 2 shown]
	s_waitcnt lgkmcnt(3)
	v_fma_f32 v0, -v23, v5, v0
	v_fma_f32 v0, -v22, v4, v0
	s_waitcnt lgkmcnt(2)
	v_fma_f32 v0, -v21, v7, v0
	v_fma_f32 v0, -v20, v6, v0
	s_waitcnt lgkmcnt(1)
	v_fma_f32 v0, -v3, v9, v0
	v_fma_f32 v0, -v2, v8, v0
	s_waitcnt lgkmcnt(0)
	v_fma_f32 v0, -v1, v11, v0
	v_mul_f32_e32 v0, v10, v0
	s_sub_i32 s8, s18, 33
	global_store_dwordx4 v[32:33], v[0:3], off offset:-128
.LBB39_19:
	s_cmp_gt_i32 s8, -1
	s_cbranch_scc0 .LBB39_42
; %bb.20:
	s_cmp_lt_u32 s8, 27
	s_cbranch_scc1 .LBB39_25
; %bb.21:
	s_mov_b32 s9, 0
	s_lshl_b64 s[12:13], s[8:9], 2
	v_mov_b32_e32 v0, s13
	v_add_co_u32_e32 v24, vcc, s12, v72
	v_addc_co_u32_e32 v25, vcc, v73, v0, vcc
	global_load_dwordx4 v[0:3], v[24:25], off offset:-12
	global_load_dwordx4 v[4:7], v[24:25], off offset:-28
	;; [unrolled: 1-line block ×7, first 2 shown]
	s_cmp_le_i32 s6, s8
	s_waitcnt vmcnt(6)
	v_pk_mul_f32 v[26:27], v[2:3], s[16:17] op_sel_hi:[1,0]
	v_pk_mul_f32 v[30:31], v[0:1], s[16:17] op_sel_hi:[1,0]
	s_waitcnt vmcnt(5)
	v_pk_mul_f32 v[2:3], v[6:7], s[16:17] op_sel_hi:[1,0]
	v_pk_mul_f32 v[0:1], v[4:5], s[16:17] op_sel_hi:[1,0]
	;; [unrolled: 3-line block ×7, first 2 shown]
	s_cbranch_scc1 .LBB39_24
; %bb.22:
	s_lshl_b32 s7, s8, 7
	s_lshl_b32 s9, s18, 2
	s_add_i32 s7, s7, s9
	s_add_i32 s9, s7, 0xfffff27c
	s_ashr_i32 s7, s6, 31
	s_lshl_b64 s[12:13], s[6:7], 2
	s_add_u32 s7, s2, s12
	s_addc_u32 s11, s3, s13
	s_add_u32 s7, s7, s4
	s_addc_u32 s11, s11, s5
	;; [unrolled: 2-line block ×3, first 2 shown]
	v_mov_b32_e32 v29, s11
	v_add_co_u32_e32 v28, vcc, s7, v74
	v_addc_co_u32_e32 v29, vcc, v29, v75, vcc
	s_mov_b32 s7, s6
.LBB39_23:                              ; =>This Inner Loop Header: Depth=1
	global_load_dword v32, v[28:29], off
	v_mov_b32_e32 v33, s9
	v_add_u32_e32 v44, 0xc00, v33
	v_add_u32_e32 v52, 0x800, v33
	;; [unrolled: 1-line block ×3, first 2 shown]
	ds_read2_b32 v[34:35], v33 offset0:192 offset1:224
	ds_read2_b32 v[36:37], v33 offset0:128 offset1:160
	ds_read2_b32 v[38:39], v33 offset0:64 offset1:96
	ds_read2_b32 v[40:41], v33 offset1:32
	ds_read2_b32 v[42:43], v44 offset0:64 offset1:96
	ds_read2_b32 v[44:45], v44 offset1:32
	ds_read2_b32 v[46:47], v52 offset0:192 offset1:224
	ds_read2_b32 v[48:49], v52 offset0:128 offset1:160
	ds_read2_b32 v[50:51], v52 offset0:64 offset1:96
	ds_read2_b32 v[52:53], v52 offset1:32
	ds_read2_b32 v[54:55], v60 offset0:192 offset1:224
	ds_read2_b32 v[56:57], v60 offset0:128 offset1:160
	;; [unrolled: 1-line block ×3, first 2 shown]
	ds_read2_b32 v[60:61], v60 offset1:32
	s_add_i32 s7, s7, -1
	s_add_i32 s9, s9, -4
	v_add_co_u32_e32 v28, vcc, -4, v28
	v_addc_co_u32_e32 v29, vcc, -1, v29, vcc
	s_cmp_gt_i32 s7, s8
	s_waitcnt vmcnt(0) lgkmcnt(9)
	v_pk_fma_f32 v[26:27], v[32:33], v[42:43], v[26:27] op_sel_hi:[0,1,1] neg_lo:[1,0,0] neg_hi:[1,0,0]
	s_waitcnt lgkmcnt(8)
	v_pk_fma_f32 v[30:31], v[32:33], v[44:45], v[30:31] op_sel_hi:[0,1,1] neg_lo:[1,0,0] neg_hi:[1,0,0]
	s_waitcnt lgkmcnt(7)
	;; [unrolled: 2-line block ×9, first 2 shown]
	v_pk_fma_f32 v[12:13], v[32:33], v[60:61], v[12:13] op_sel_hi:[0,1,1] neg_lo:[1,0,0] neg_hi:[1,0,0]
	v_pk_fma_f32 v[18:19], v[32:33], v[34:35], v[18:19] op_sel_hi:[0,1,1] neg_lo:[1,0,0] neg_hi:[1,0,0]
	;; [unrolled: 1-line block ×5, first 2 shown]
	s_cbranch_scc1 .LBB39_23
.LBB39_24:
	s_mul_i32 s7, s8, 0x84
	s_add_i32 s9, s7, 0xffffff7c
	v_mov_b32_e32 v29, s9
	s_lshl_b32 s9, s8, 5
	s_add_i32 s9, s9, s8
	v_mov_b32_e32 v28, s7
	s_lshl_b32 s11, s9, 2
	s_add_i32 s9, s11, 0xffffff00
	ds_read_b32 v34, v28
	v_mov_b32_e32 v32, s9
	s_add_i32 s9, s7, 0xfffffef8
	v_mov_b32_e32 v33, s9
	ds_read2_b32 v[28:29], v29 offset1:1
	ds_read_b32 v35, v32
	ds_read2_b32 v[32:33], v33 offset1:1
	s_waitcnt lgkmcnt(3)
	v_mul_f32_e32 v27, v34, v27
	s_ashr_i32 s9, s8, 31
	global_store_dword v[24:25], v27, off
	s_waitcnt lgkmcnt(2)
	v_fma_f32 v24, -v27, v29, v26
	s_lshl_b64 s[12:13], s[8:9], 2
	v_mul_f32_e32 v26, v28, v24
	v_mov_b32_e32 v24, s13
	v_add_co_u32_e32 v28, vcc, s12, v72
	v_addc_co_u32_e32 v29, vcc, v73, v24, vcc
	s_waitcnt lgkmcnt(1)
	v_fma_f32 v24, -v27, v35, v31
	s_waitcnt lgkmcnt(0)
	v_fma_f32 v24, -v26, v33, v24
	s_add_i32 s9, s11, 0xfffffe7c
	v_mul_f32_e32 v25, v32, v24
	v_mov_b32_e32 v24, s9
	s_add_i32 s9, s7, 0xfffffe74
	v_mov_b32_e32 v31, s9
	s_add_i32 s9, s11, 0xfffffe00
	ds_read2_b32 v[32:33], v24 offset1:1
	v_mov_b32_e32 v36, s9
	s_add_i32 s9, s11, 0xfffffdf8
	v_mov_b32_e32 v24, s9
	ds_read2_b32 v[34:35], v31 offset1:1
	ds_read_b32 v31, v36
	ds_read2_b32 v[36:37], v24 offset1:1
	s_add_i32 s9, s7, 0xfffffdf0
	s_waitcnt lgkmcnt(3)
	v_fma_f32 v24, -v27, v33, v30
	v_mov_b32_e32 v30, s9
	v_fma_f32 v24, -v26, v32, v24
	s_waitcnt lgkmcnt(1)
	v_fma_f32 v3, -v27, v31, v3
	s_add_i32 s9, s11, 0xfffffd7c
	ds_read2_b32 v[30:31], v30 offset1:1
	v_fma_f32 v24, -v25, v35, v24
	v_mov_b32_e32 v32, s9
	s_add_i32 s9, s11, 0xfffffd74
	v_mul_f32_e32 v24, v34, v24
	s_waitcnt lgkmcnt(1)
	v_fma_f32 v3, -v26, v37, v3
	v_mov_b32_e32 v34, s9
	s_add_i32 s9, s7, 0xfffffd6c
	global_store_dwordx3 v[28:29], v[24:26], off offset:-12
	v_fma_f32 v3, -v25, v36, v3
	v_mov_b32_e32 v36, s9
	ds_read2_b32 v[32:33], v32 offset1:1
	ds_read2_b32 v[34:35], v34 offset1:1
	;; [unrolled: 1-line block ×3, first 2 shown]
	s_waitcnt lgkmcnt(3)
	v_fma_f32 v3, -v24, v31, v3
	s_add_i32 s9, s11, 0xfffffcfc
	v_mul_f32_e32 v3, v30, v3
	v_mov_b32_e32 v30, s9
	s_waitcnt lgkmcnt(2)
	v_fma_f32 v2, -v27, v33, v2
	ds_read2_b32 v[30:31], v30 offset1:1
	v_fma_f32 v2, -v26, v32, v2
	s_add_i32 s9, s11, 0xfffffcf4
	s_waitcnt lgkmcnt(2)
	v_fma_f32 v2, -v25, v35, v2
	v_mov_b32_e32 v32, s9
	s_add_i32 s9, s11, 0xfffffcec
	v_fma_f32 v2, -v24, v34, v2
	v_mov_b32_e32 v34, s9
	ds_read2_b32 v[32:33], v32 offset1:1
	ds_read2_b32 v[34:35], v34 offset1:1
	s_waitcnt lgkmcnt(2)
	v_fma_f32 v1, -v27, v31, v1
	s_add_i32 s9, s7, 0xfffffce8
	v_fma_f32 v1, -v26, v30, v1
	v_mov_b32_e32 v30, s9
	ds_read_b32 v30, v30
	s_waitcnt lgkmcnt(2)
	v_fma_f32 v1, -v25, v33, v1
	v_fma_f32 v2, -v3, v37, v2
	;; [unrolled: 1-line block ×3, first 2 shown]
	v_mul_f32_e32 v2, v36, v2
	s_waitcnt lgkmcnt(1)
	v_fma_f32 v1, -v3, v35, v1
	v_fma_f32 v1, -v2, v34, v1
	s_add_i32 s9, s11, 0xfffffc80
	s_waitcnt lgkmcnt(0)
	v_mul_f32_e32 v1, v30, v1
	v_mov_b32_e32 v30, s9
	s_add_i32 s9, s11, 0xfffffc78
	v_mov_b32_e32 v31, s9
	ds_read_b32 v36, v30
	ds_read2_b32 v[30:31], v31 offset1:1
	s_add_i32 s9, s11, 0xfffffc70
	v_mov_b32_e32 v32, s9
	s_add_i32 s9, s11, 0xfffffc68
	v_mov_b32_e32 v34, s9
	ds_read2_b32 v[32:33], v32 offset1:1
	ds_read2_b32 v[34:35], v34 offset1:1
	s_waitcnt lgkmcnt(3)
	v_fma_f32 v0, -v27, v36, v0
	s_waitcnt lgkmcnt(2)
	v_fma_f32 v0, -v26, v31, v0
	s_add_i32 s9, s7, 0xfffffc64
	v_fma_f32 v0, -v25, v30, v0
	v_mov_b32_e32 v30, s9
	ds_read_b32 v30, v30
	s_waitcnt lgkmcnt(2)
	v_fma_f32 v0, -v24, v33, v0
	v_fma_f32 v0, -v3, v32, v0
	s_waitcnt lgkmcnt(1)
	v_fma_f32 v0, -v2, v35, v0
	v_fma_f32 v0, -v1, v34, v0
	s_add_i32 s9, s11, 0xfffffbfc
	s_waitcnt lgkmcnt(0)
	v_mul_f32_e32 v0, v30, v0
	v_mov_b32_e32 v30, s9
	s_add_i32 s9, s11, 0xfffffbf4
	ds_read2_b32 v[30:31], v30 offset1:1
	v_mov_b32_e32 v32, s9
	s_add_i32 s9, s11, 0xfffffbec
	v_mov_b32_e32 v34, s9
	s_add_i32 s9, s11, 0xfffffbe4
	global_store_dwordx4 v[28:29], v[0:3], off offset:-28
	v_mov_b32_e32 v36, s9
	ds_read2_b32 v[32:33], v32 offset1:1
	ds_read2_b32 v[34:35], v34 offset1:1
	ds_read2_b32 v[36:37], v36 offset1:1
	s_waitcnt lgkmcnt(3)
	v_fma_f32 v7, -v27, v31, v7
	v_fma_f32 v7, -v26, v30, v7
	s_add_i32 s9, s7, 0xfffffbe0
	s_waitcnt lgkmcnt(2)
	v_fma_f32 v7, -v25, v33, v7
	v_mov_b32_e32 v30, s9
	v_fma_f32 v7, -v24, v32, v7
	ds_read_b32 v30, v30
	s_waitcnt lgkmcnt(2)
	v_fma_f32 v7, -v3, v35, v7
	v_fma_f32 v7, -v2, v34, v7
	s_waitcnt lgkmcnt(1)
	v_fma_f32 v7, -v1, v37, v7
	v_fma_f32 v7, -v0, v36, v7
	s_add_i32 s9, s11, 0xfffffb80
	s_waitcnt lgkmcnt(0)
	v_mul_f32_e32 v7, v30, v7
	v_mov_b32_e32 v30, s9
	s_add_i32 s9, s11, 0xfffffb78
	v_mov_b32_e32 v31, s9
	ds_read_b32 v36, v30
	ds_read2_b32 v[30:31], v31 offset1:1
	s_add_i32 s9, s11, 0xfffffb70
	v_mov_b32_e32 v32, s9
	s_add_i32 s9, s11, 0xfffffb68
	v_mov_b32_e32 v34, s9
	ds_read2_b32 v[32:33], v32 offset1:1
	ds_read2_b32 v[34:35], v34 offset1:1
	s_waitcnt lgkmcnt(3)
	v_fma_f32 v6, -v27, v36, v6
	s_waitcnt lgkmcnt(2)
	v_fma_f32 v6, -v26, v31, v6
	s_add_i32 s9, s11, 0xfffffb60
	v_fma_f32 v6, -v25, v30, v6
	v_mov_b32_e32 v30, s9
	ds_read2_b32 v[30:31], v30 offset1:1
	s_waitcnt lgkmcnt(2)
	v_fma_f32 v6, -v24, v33, v6
	s_add_i32 s9, s7, 0xfffffb5c
	v_fma_f32 v6, -v3, v32, v6
	v_mov_b32_e32 v32, s9
	ds_read_b32 v32, v32
	s_waitcnt lgkmcnt(2)
	v_fma_f32 v6, -v2, v35, v6
	v_fma_f32 v6, -v1, v34, v6
	s_waitcnt lgkmcnt(1)
	v_fma_f32 v6, -v0, v31, v6
	s_add_i32 s9, s11, 0xfffffafc
	v_fma_f32 v6, -v7, v30, v6
	v_mov_b32_e32 v30, s9
	s_add_i32 s9, s11, 0xfffffaf4
	ds_read2_b32 v[30:31], v30 offset1:1
	s_waitcnt lgkmcnt(1)
	v_mul_f32_e32 v6, v32, v6
	v_mov_b32_e32 v32, s9
	s_add_i32 s9, s11, 0xfffffaec
	v_mov_b32_e32 v34, s9
	s_add_i32 s9, s11, 0xfffffae4
	v_mov_b32_e32 v36, s9
	ds_read2_b32 v[32:33], v32 offset1:1
	ds_read2_b32 v[34:35], v34 offset1:1
	;; [unrolled: 1-line block ×3, first 2 shown]
	s_waitcnt lgkmcnt(3)
	v_fma_f32 v5, -v27, v31, v5
	v_fma_f32 v5, -v26, v30, v5
	s_add_i32 s9, s11, 0xfffffadc
	s_waitcnt lgkmcnt(2)
	v_fma_f32 v5, -v25, v33, v5
	v_mov_b32_e32 v30, s9
	v_fma_f32 v5, -v24, v32, v5
	ds_read2_b32 v[30:31], v30 offset1:1
	s_waitcnt lgkmcnt(2)
	v_fma_f32 v5, -v3, v35, v5
	s_add_i32 s9, s7, 0xfffffad8
	v_fma_f32 v5, -v2, v34, v5
	v_mov_b32_e32 v32, s9
	ds_read_b32 v32, v32
	s_waitcnt lgkmcnt(2)
	v_fma_f32 v5, -v1, v37, v5
	v_fma_f32 v5, -v0, v36, v5
	s_waitcnt lgkmcnt(1)
	v_fma_f32 v5, -v7, v31, v5
	s_add_i32 s9, s11, 0xfffffa7c
	v_fma_f32 v5, -v6, v30, v5
	v_mov_b32_e32 v30, s9
	s_add_i32 s9, s11, 0xfffffa74
	ds_read2_b32 v[30:31], v30 offset1:1
	s_waitcnt lgkmcnt(1)
	v_mul_f32_e32 v5, v32, v5
	v_mov_b32_e32 v32, s9
	s_add_i32 s9, s11, 0xfffffa6c
	v_mov_b32_e32 v34, s9
	s_add_i32 s9, s11, 0xfffffa64
	v_mov_b32_e32 v36, s9
	ds_read2_b32 v[32:33], v32 offset1:1
	ds_read2_b32 v[34:35], v34 offset1:1
	;; [unrolled: 1-line block ×3, first 2 shown]
	s_waitcnt lgkmcnt(3)
	v_fma_f32 v4, -v27, v31, v4
	v_fma_f32 v4, -v26, v30, v4
	s_waitcnt lgkmcnt(2)
	v_fma_f32 v4, -v25, v33, v4
	s_add_i32 s9, s11, 0xfffffa5c
	v_fma_f32 v4, -v24, v32, v4
	v_mov_b32_e32 v30, s9
	s_add_i32 s9, s7, 0xfffffa54
	s_waitcnt lgkmcnt(1)
	v_fma_f32 v4, -v3, v35, v4
	v_mov_b32_e32 v32, s9
	s_add_i32 s9, s11, 0xfffffa00
	ds_read2_b32 v[30:31], v30 offset1:1
	v_fma_f32 v4, -v2, v34, v4
	v_mov_b32_e32 v34, s9
	s_add_i32 s9, s11, 0xfffff9f8
	s_waitcnt lgkmcnt(1)
	v_fma_f32 v4, -v1, v37, v4
	v_mov_b32_e32 v35, s9
	v_fma_f32 v4, -v0, v36, v4
	ds_read2_b32 v[32:33], v32 offset1:1
	ds_read_b32 v36, v34
	ds_read2_b32 v[34:35], v35 offset1:1
	s_waitcnt lgkmcnt(3)
	v_fma_f32 v4, -v7, v31, v4
	s_add_i32 s9, s11, 0xfffff9f0
	v_fma_f32 v4, -v6, v30, v4
	v_mov_b32_e32 v30, s9
	s_waitcnt lgkmcnt(2)
	v_fma_f32 v4, -v5, v33, v4
	s_waitcnt lgkmcnt(1)
	v_fma_f32 v11, -v27, v36, v11
	s_add_i32 s9, s11, 0xfffff9e8
	ds_read2_b32 v[30:31], v30 offset1:1
	v_mul_f32_e32 v4, v32, v4
	s_waitcnt lgkmcnt(1)
	v_fma_f32 v11, -v26, v35, v11
	v_mov_b32_e32 v32, s9
	s_add_i32 s9, s11, 0xfffff9e0
	v_fma_f32 v11, -v25, v34, v11
	v_mov_b32_e32 v34, s9
	s_add_i32 s9, s11, 0xfffff9d8
	global_store_dwordx4 v[28:29], v[4:7], off offset:-44
	v_mov_b32_e32 v36, s9
	ds_read2_b32 v[32:33], v32 offset1:1
	ds_read2_b32 v[34:35], v34 offset1:1
	;; [unrolled: 1-line block ×3, first 2 shown]
	s_waitcnt lgkmcnt(3)
	v_fma_f32 v11, -v24, v31, v11
	v_fma_f32 v11, -v3, v30, v11
	s_waitcnt lgkmcnt(2)
	v_fma_f32 v11, -v2, v33, v11
	v_fma_f32 v11, -v1, v32, v11
	s_add_i32 s9, s7, 0xfffff9d0
	s_waitcnt lgkmcnt(1)
	v_fma_f32 v11, -v0, v35, v11
	v_mov_b32_e32 v30, s9
	s_add_i32 s9, s11, 0xfffff97c
	v_fma_f32 v11, -v7, v34, v11
	v_mov_b32_e32 v32, s9
	s_add_i32 s9, s11, 0xfffff974
	s_waitcnt lgkmcnt(0)
	v_fma_f32 v11, -v6, v37, v11
	v_mov_b32_e32 v34, s9
	s_add_i32 s9, s11, 0xfffff96c
	ds_read2_b32 v[30:31], v30 offset1:1
	v_fma_f32 v11, -v5, v36, v11
	v_mov_b32_e32 v36, s9
	ds_read2_b32 v[32:33], v32 offset1:1
	ds_read2_b32 v[34:35], v34 offset1:1
	;; [unrolled: 1-line block ×3, first 2 shown]
	s_add_i32 s9, s11, 0xfffff964
	s_waitcnt lgkmcnt(3)
	v_fma_f32 v11, -v4, v31, v11
	s_waitcnt lgkmcnt(2)
	v_fma_f32 v10, -v27, v33, v10
	v_mul_f32_e32 v11, v30, v11
	v_fma_f32 v10, -v26, v32, v10
	v_mov_b32_e32 v30, s9
	s_waitcnt lgkmcnt(1)
	v_fma_f32 v10, -v25, v35, v10
	s_add_i32 s9, s11, 0xfffff95c
	ds_read2_b32 v[30:31], v30 offset1:1
	v_fma_f32 v10, -v24, v34, v10
	v_mov_b32_e32 v32, s9
	s_add_i32 s9, s11, 0xfffff954
	s_waitcnt lgkmcnt(1)
	v_fma_f32 v10, -v3, v37, v10
	v_mov_b32_e32 v34, s9
	s_add_i32 s9, s7, 0xfffff94c
	v_fma_f32 v10, -v2, v36, v10
	v_mov_b32_e32 v36, s9
	ds_read2_b32 v[32:33], v32 offset1:1
	ds_read2_b32 v[34:35], v34 offset1:1
	;; [unrolled: 1-line block ×3, first 2 shown]
	s_waitcnt lgkmcnt(3)
	v_fma_f32 v10, -v1, v31, v10
	v_fma_f32 v10, -v0, v30, v10
	s_waitcnt lgkmcnt(2)
	v_fma_f32 v10, -v7, v33, v10
	v_fma_f32 v10, -v6, v32, v10
	s_waitcnt lgkmcnt(1)
	v_fma_f32 v10, -v5, v35, v10
	s_add_i32 s9, s11, 0xfffff900
	v_fma_f32 v10, -v4, v34, v10
	v_mov_b32_e32 v30, s9
	s_add_i32 s9, s11, 0xfffff8f8
	s_waitcnt lgkmcnt(0)
	v_fma_f32 v10, -v11, v37, v10
	v_mov_b32_e32 v31, s9
	v_mul_f32_e32 v10, v36, v10
	s_add_i32 s9, s11, 0xfffff8f0
	ds_read_b32 v36, v30
	ds_read2_b32 v[30:31], v31 offset1:1
	v_mov_b32_e32 v32, s9
	s_add_i32 s9, s11, 0xfffff8e8
	v_mov_b32_e32 v34, s9
	ds_read2_b32 v[32:33], v32 offset1:1
	ds_read2_b32 v[34:35], v34 offset1:1
	s_waitcnt lgkmcnt(3)
	v_fma_f32 v9, -v27, v36, v9
	s_waitcnt lgkmcnt(2)
	v_fma_f32 v9, -v26, v31, v9
	v_fma_f32 v9, -v25, v30, v9
	s_add_i32 s9, s11, 0xfffff8e0
	s_waitcnt lgkmcnt(1)
	v_fma_f32 v9, -v24, v33, v9
	v_mov_b32_e32 v30, s9
	v_fma_f32 v9, -v3, v32, v9
	s_add_i32 s9, s11, 0xfffff8d8
	ds_read2_b32 v[30:31], v30 offset1:1
	s_waitcnt lgkmcnt(1)
	v_fma_f32 v9, -v2, v35, v9
	v_mov_b32_e32 v32, s9
	s_add_i32 s9, s11, 0xfffff8d0
	v_fma_f32 v9, -v1, v34, v9
	v_mov_b32_e32 v34, s9
	s_add_i32 s9, s7, 0xfffff8c8
	v_mov_b32_e32 v36, s9
	ds_read2_b32 v[32:33], v32 offset1:1
	ds_read2_b32 v[34:35], v34 offset1:1
	;; [unrolled: 1-line block ×3, first 2 shown]
	s_waitcnt lgkmcnt(3)
	v_fma_f32 v9, -v0, v31, v9
	v_fma_f32 v9, -v7, v30, v9
	s_waitcnt lgkmcnt(2)
	v_fma_f32 v9, -v6, v33, v9
	s_add_i32 s9, s11, 0xfffff87c
	v_fma_f32 v9, -v5, v32, v9
	v_mov_b32_e32 v30, s9
	s_waitcnt lgkmcnt(1)
	v_fma_f32 v9, -v4, v35, v9
	s_add_i32 s9, s11, 0xfffff874
	ds_read2_b32 v[30:31], v30 offset1:1
	v_fma_f32 v9, -v11, v34, v9
	v_mov_b32_e32 v32, s9
	s_add_i32 s9, s11, 0xfffff86c
	s_waitcnt lgkmcnt(1)
	v_fma_f32 v9, -v10, v37, v9
	v_mov_b32_e32 v34, s9
	s_add_i32 s9, s11, 0xfffff864
	v_mul_f32_e32 v9, v36, v9
	v_mov_b32_e32 v36, s9
	ds_read2_b32 v[32:33], v32 offset1:1
	ds_read2_b32 v[34:35], v34 offset1:1
	;; [unrolled: 1-line block ×3, first 2 shown]
	s_waitcnt lgkmcnt(3)
	v_fma_f32 v8, -v27, v31, v8
	v_fma_f32 v8, -v26, v30, v8
	s_waitcnt lgkmcnt(2)
	v_fma_f32 v8, -v25, v33, v8
	s_add_i32 s9, s11, 0xfffff85c
	v_fma_f32 v8, -v24, v32, v8
	v_mov_b32_e32 v30, s9
	s_waitcnt lgkmcnt(1)
	v_fma_f32 v8, -v3, v35, v8
	s_add_i32 s9, s11, 0xfffff854
	ds_read2_b32 v[30:31], v30 offset1:1
	v_fma_f32 v8, -v2, v34, v8
	v_mov_b32_e32 v32, s9
	s_add_i32 s9, s11, 0xfffff84c
	s_waitcnt lgkmcnt(1)
	v_fma_f32 v8, -v1, v37, v8
	v_mov_b32_e32 v34, s9
	s_add_i32 s9, s7, 0xfffff844
	v_fma_f32 v8, -v0, v36, v8
	v_mov_b32_e32 v36, s9
	ds_read2_b32 v[32:33], v32 offset1:1
	ds_read2_b32 v[34:35], v34 offset1:1
	;; [unrolled: 1-line block ×3, first 2 shown]
	s_waitcnt lgkmcnt(3)
	v_fma_f32 v8, -v7, v31, v8
	v_fma_f32 v8, -v6, v30, v8
	s_waitcnt lgkmcnt(2)
	v_fma_f32 v8, -v5, v33, v8
	v_fma_f32 v8, -v4, v32, v8
	;; [unrolled: 3-line block ×3, first 2 shown]
	s_waitcnt lgkmcnt(0)
	v_fma_f32 v8, -v9, v37, v8
	s_add_i32 s9, s11, 0xfffff800
	v_mul_f32_e32 v8, v36, v8
	v_mov_b32_e32 v30, s9
	s_add_i32 s9, s11, 0xfffff7f8
	global_store_dwordx4 v[28:29], v[8:11], off offset:-60
	v_mov_b32_e32 v31, s9
	s_add_i32 s9, s11, 0xfffff7f0
	ds_read_b32 v36, v30
	ds_read2_b32 v[30:31], v31 offset1:1
	v_mov_b32_e32 v32, s9
	s_add_i32 s9, s11, 0xfffff7e8
	v_mov_b32_e32 v34, s9
	ds_read2_b32 v[32:33], v32 offset1:1
	ds_read2_b32 v[34:35], v34 offset1:1
	s_waitcnt lgkmcnt(3)
	v_fma_f32 v15, -v27, v36, v15
	s_waitcnt lgkmcnt(2)
	v_fma_f32 v15, -v26, v31, v15
	v_fma_f32 v15, -v25, v30, v15
	s_add_i32 s9, s11, 0xfffff7e0
	s_waitcnt lgkmcnt(1)
	v_fma_f32 v15, -v24, v33, v15
	v_mov_b32_e32 v30, s9
	v_fma_f32 v15, -v3, v32, v15
	s_add_i32 s9, s11, 0xfffff7d8
	ds_read2_b32 v[30:31], v30 offset1:1
	s_waitcnt lgkmcnt(1)
	v_fma_f32 v15, -v2, v35, v15
	v_mov_b32_e32 v32, s9
	s_add_i32 s9, s11, 0xfffff7d0
	v_fma_f32 v15, -v1, v34, v15
	v_mov_b32_e32 v34, s9
	s_add_i32 s9, s11, 0xfffff7c8
	v_mov_b32_e32 v36, s9
	ds_read2_b32 v[32:33], v32 offset1:1
	ds_read2_b32 v[34:35], v34 offset1:1
	;; [unrolled: 1-line block ×3, first 2 shown]
	s_waitcnt lgkmcnt(3)
	v_fma_f32 v15, -v0, v31, v15
	v_fma_f32 v15, -v7, v30, v15
	s_waitcnt lgkmcnt(2)
	v_fma_f32 v15, -v6, v33, v15
	v_fma_f32 v15, -v5, v32, v15
	s_add_i32 s9, s7, 0xfffff7c0
	s_waitcnt lgkmcnt(1)
	v_fma_f32 v15, -v4, v35, v15
	v_mov_b32_e32 v30, s9
	s_add_i32 s9, s11, 0xfffff77c
	v_fma_f32 v15, -v11, v34, v15
	v_mov_b32_e32 v32, s9
	s_add_i32 s9, s11, 0xfffff774
	s_waitcnt lgkmcnt(0)
	v_fma_f32 v15, -v10, v37, v15
	v_mov_b32_e32 v34, s9
	s_add_i32 s9, s11, 0xfffff76c
	ds_read2_b32 v[30:31], v30 offset1:1
	v_fma_f32 v15, -v9, v36, v15
	v_mov_b32_e32 v36, s9
	ds_read2_b32 v[32:33], v32 offset1:1
	ds_read2_b32 v[34:35], v34 offset1:1
	;; [unrolled: 1-line block ×3, first 2 shown]
	s_add_i32 s9, s11, 0xfffff764
	s_waitcnt lgkmcnt(3)
	v_fma_f32 v15, -v8, v31, v15
	s_waitcnt lgkmcnt(2)
	v_fma_f32 v14, -v27, v33, v14
	v_mul_f32_e32 v15, v30, v15
	v_fma_f32 v14, -v26, v32, v14
	v_mov_b32_e32 v30, s9
	s_waitcnt lgkmcnt(1)
	v_fma_f32 v14, -v25, v35, v14
	s_add_i32 s9, s11, 0xfffff75c
	ds_read2_b32 v[30:31], v30 offset1:1
	v_fma_f32 v14, -v24, v34, v14
	v_mov_b32_e32 v32, s9
	s_add_i32 s9, s11, 0xfffff754
	s_waitcnt lgkmcnt(1)
	v_fma_f32 v14, -v3, v37, v14
	v_mov_b32_e32 v34, s9
	s_add_i32 s9, s11, 0xfffff74c
	v_fma_f32 v14, -v2, v36, v14
	v_mov_b32_e32 v36, s9
	ds_read2_b32 v[32:33], v32 offset1:1
	ds_read2_b32 v[34:35], v34 offset1:1
	;; [unrolled: 1-line block ×3, first 2 shown]
	s_waitcnt lgkmcnt(3)
	v_fma_f32 v14, -v1, v31, v14
	v_fma_f32 v14, -v0, v30, v14
	s_waitcnt lgkmcnt(2)
	v_fma_f32 v14, -v7, v33, v14
	s_add_i32 s9, s11, 0xfffff744
	v_fma_f32 v14, -v6, v32, v14
	v_mov_b32_e32 v30, s9
	s_add_i32 s9, s7, 0xfffff73c
	s_waitcnt lgkmcnt(1)
	v_fma_f32 v14, -v5, v35, v14
	v_mov_b32_e32 v32, s9
	s_add_i32 s9, s11, 0xfffff700
	ds_read2_b32 v[30:31], v30 offset1:1
	v_fma_f32 v14, -v4, v34, v14
	v_mov_b32_e32 v34, s9
	s_add_i32 s9, s11, 0xfffff6f8
	s_waitcnt lgkmcnt(1)
	v_fma_f32 v14, -v11, v37, v14
	v_mov_b32_e32 v35, s9
	v_fma_f32 v14, -v10, v36, v14
	ds_read2_b32 v[32:33], v32 offset1:1
	ds_read_b32 v36, v34
	ds_read2_b32 v[34:35], v35 offset1:1
	s_waitcnt lgkmcnt(3)
	v_fma_f32 v14, -v9, v31, v14
	s_add_i32 s9, s11, 0xfffff6f0
	v_fma_f32 v14, -v8, v30, v14
	v_mov_b32_e32 v30, s9
	s_waitcnt lgkmcnt(2)
	v_fma_f32 v14, -v15, v33, v14
	s_waitcnt lgkmcnt(1)
	v_fma_f32 v13, -v27, v36, v13
	s_add_i32 s9, s11, 0xfffff6e8
	ds_read2_b32 v[30:31], v30 offset1:1
	v_mul_f32_e32 v14, v32, v14
	s_waitcnt lgkmcnt(1)
	v_fma_f32 v13, -v26, v35, v13
	v_mov_b32_e32 v32, s9
	s_add_i32 s9, s11, 0xfffff6e0
	v_fma_f32 v13, -v25, v34, v13
	v_mov_b32_e32 v34, s9
	s_add_i32 s9, s11, 0xfffff6d8
	v_mov_b32_e32 v36, s9
	ds_read2_b32 v[32:33], v32 offset1:1
	ds_read2_b32 v[34:35], v34 offset1:1
	;; [unrolled: 1-line block ×3, first 2 shown]
	s_waitcnt lgkmcnt(3)
	v_fma_f32 v13, -v24, v31, v13
	v_fma_f32 v13, -v3, v30, v13
	s_waitcnt lgkmcnt(2)
	v_fma_f32 v13, -v2, v33, v13
	s_add_i32 s9, s11, 0xfffff6d0
	v_fma_f32 v13, -v1, v32, v13
	v_mov_b32_e32 v30, s9
	s_waitcnt lgkmcnt(1)
	v_fma_f32 v13, -v0, v35, v13
	s_add_i32 s9, s11, 0xfffff6c8
	ds_read2_b32 v[30:31], v30 offset1:1
	v_fma_f32 v13, -v7, v34, v13
	v_mov_b32_e32 v32, s9
	s_add_i32 s9, s11, 0xfffff6c0
	s_waitcnt lgkmcnt(1)
	v_fma_f32 v13, -v6, v37, v13
	v_mov_b32_e32 v34, s9
	s_add_i32 s9, s7, 0xfffff6b8
	v_fma_f32 v13, -v5, v36, v13
	v_mov_b32_e32 v36, s9
	ds_read2_b32 v[32:33], v32 offset1:1
	ds_read2_b32 v[34:35], v34 offset1:1
	;; [unrolled: 1-line block ×3, first 2 shown]
	s_waitcnt lgkmcnt(3)
	v_fma_f32 v13, -v4, v31, v13
	v_fma_f32 v13, -v11, v30, v13
	s_waitcnt lgkmcnt(2)
	v_fma_f32 v13, -v10, v33, v13
	s_add_i32 s9, s11, 0xfffff67c
	v_fma_f32 v13, -v9, v32, v13
	v_mov_b32_e32 v30, s9
	s_waitcnt lgkmcnt(1)
	v_fma_f32 v13, -v8, v35, v13
	s_add_i32 s9, s11, 0xfffff674
	ds_read2_b32 v[30:31], v30 offset1:1
	v_fma_f32 v13, -v15, v34, v13
	v_mov_b32_e32 v32, s9
	s_add_i32 s9, s11, 0xfffff66c
	s_waitcnt lgkmcnt(1)
	v_fma_f32 v13, -v14, v37, v13
	v_mov_b32_e32 v34, s9
	s_add_i32 s9, s11, 0xfffff664
	v_mul_f32_e32 v13, v36, v13
	v_mov_b32_e32 v36, s9
	ds_read2_b32 v[32:33], v32 offset1:1
	ds_read2_b32 v[34:35], v34 offset1:1
	;; [unrolled: 1-line block ×3, first 2 shown]
	s_waitcnt lgkmcnt(3)
	v_fma_f32 v12, -v27, v31, v12
	v_fma_f32 v12, -v26, v30, v12
	s_waitcnt lgkmcnt(2)
	v_fma_f32 v12, -v25, v33, v12
	s_add_i32 s9, s11, 0xfffff65c
	v_fma_f32 v12, -v24, v32, v12
	v_mov_b32_e32 v30, s9
	s_waitcnt lgkmcnt(1)
	v_fma_f32 v12, -v3, v35, v12
	s_add_i32 s9, s11, 0xfffff654
	ds_read2_b32 v[30:31], v30 offset1:1
	v_fma_f32 v12, -v2, v34, v12
	v_mov_b32_e32 v32, s9
	s_add_i32 s9, s11, 0xfffff64c
	s_waitcnt lgkmcnt(1)
	v_fma_f32 v12, -v1, v37, v12
	v_mov_b32_e32 v34, s9
	s_add_i32 s9, s11, 0xfffff644
	v_fma_f32 v12, -v0, v36, v12
	v_mov_b32_e32 v36, s9
	ds_read2_b32 v[32:33], v32 offset1:1
	ds_read2_b32 v[34:35], v34 offset1:1
	;; [unrolled: 1-line block ×3, first 2 shown]
	s_waitcnt lgkmcnt(3)
	v_fma_f32 v12, -v7, v31, v12
	v_fma_f32 v12, -v6, v30, v12
	s_waitcnt lgkmcnt(2)
	v_fma_f32 v12, -v5, v33, v12
	s_add_i32 s9, s11, 0xfffff63c
	v_fma_f32 v12, -v4, v32, v12
	v_mov_b32_e32 v30, s9
	s_add_i32 s9, s7, 0xfffff634
	s_waitcnt lgkmcnt(1)
	v_fma_f32 v12, -v11, v35, v12
	v_mov_b32_e32 v32, s9
	s_add_i32 s9, s11, 0xfffff600
	ds_read2_b32 v[30:31], v30 offset1:1
	v_fma_f32 v12, -v10, v34, v12
	v_mov_b32_e32 v34, s9
	s_add_i32 s9, s11, 0xfffff5f8
	s_waitcnt lgkmcnt(1)
	v_fma_f32 v12, -v9, v37, v12
	v_mov_b32_e32 v35, s9
	v_fma_f32 v12, -v8, v36, v12
	ds_read2_b32 v[32:33], v32 offset1:1
	ds_read_b32 v36, v34
	ds_read2_b32 v[34:35], v35 offset1:1
	s_waitcnt lgkmcnt(3)
	v_fma_f32 v12, -v15, v31, v12
	s_add_i32 s9, s11, 0xfffff5f0
	v_fma_f32 v12, -v14, v30, v12
	v_mov_b32_e32 v30, s9
	s_waitcnt lgkmcnt(2)
	v_fma_f32 v12, -v13, v33, v12
	s_waitcnt lgkmcnt(1)
	v_fma_f32 v19, -v27, v36, v19
	s_add_i32 s9, s11, 0xfffff5e8
	ds_read2_b32 v[30:31], v30 offset1:1
	v_mul_f32_e32 v12, v32, v12
	s_waitcnt lgkmcnt(1)
	v_fma_f32 v19, -v26, v35, v19
	v_mov_b32_e32 v32, s9
	s_add_i32 s9, s11, 0xfffff5e0
	v_fma_f32 v19, -v25, v34, v19
	v_mov_b32_e32 v34, s9
	s_add_i32 s9, s11, 0xfffff5d8
	global_store_dwordx4 v[28:29], v[12:15], off offset:-76
	v_mov_b32_e32 v36, s9
	ds_read2_b32 v[32:33], v32 offset1:1
	ds_read2_b32 v[34:35], v34 offset1:1
	;; [unrolled: 1-line block ×3, first 2 shown]
	s_waitcnt lgkmcnt(3)
	v_fma_f32 v19, -v24, v31, v19
	v_fma_f32 v19, -v3, v30, v19
	s_waitcnt lgkmcnt(2)
	v_fma_f32 v19, -v2, v33, v19
	s_add_i32 s9, s11, 0xfffff5d0
	v_fma_f32 v19, -v1, v32, v19
	v_mov_b32_e32 v30, s9
	s_waitcnt lgkmcnt(1)
	v_fma_f32 v19, -v0, v35, v19
	s_add_i32 s9, s11, 0xfffff5c8
	ds_read2_b32 v[30:31], v30 offset1:1
	v_fma_f32 v19, -v7, v34, v19
	v_mov_b32_e32 v32, s9
	s_add_i32 s9, s11, 0xfffff5c0
	s_waitcnt lgkmcnt(1)
	v_fma_f32 v19, -v6, v37, v19
	v_mov_b32_e32 v34, s9
	s_add_i32 s9, s11, 0xfffff5b8
	v_fma_f32 v19, -v5, v36, v19
	v_mov_b32_e32 v36, s9
	ds_read2_b32 v[32:33], v32 offset1:1
	ds_read2_b32 v[34:35], v34 offset1:1
	;; [unrolled: 1-line block ×3, first 2 shown]
	s_waitcnt lgkmcnt(3)
	v_fma_f32 v19, -v4, v31, v19
	v_fma_f32 v19, -v11, v30, v19
	s_waitcnt lgkmcnt(2)
	v_fma_f32 v19, -v10, v33, v19
	v_fma_f32 v19, -v9, v32, v19
	s_add_i32 s9, s7, 0xfffff5b0
	s_waitcnt lgkmcnt(1)
	v_fma_f32 v19, -v8, v35, v19
	v_mov_b32_e32 v30, s9
	s_add_i32 s9, s11, 0xfffff57c
	v_fma_f32 v19, -v15, v34, v19
	v_mov_b32_e32 v32, s9
	s_add_i32 s9, s11, 0xfffff574
	s_waitcnt lgkmcnt(0)
	v_fma_f32 v19, -v14, v37, v19
	v_mov_b32_e32 v34, s9
	s_add_i32 s9, s11, 0xfffff56c
	ds_read2_b32 v[30:31], v30 offset1:1
	v_fma_f32 v19, -v13, v36, v19
	v_mov_b32_e32 v36, s9
	ds_read2_b32 v[32:33], v32 offset1:1
	ds_read2_b32 v[34:35], v34 offset1:1
	;; [unrolled: 1-line block ×3, first 2 shown]
	s_add_i32 s9, s11, 0xfffff564
	s_waitcnt lgkmcnt(3)
	v_fma_f32 v19, -v12, v31, v19
	s_waitcnt lgkmcnt(2)
	v_fma_f32 v18, -v27, v33, v18
	v_mul_f32_e32 v19, v30, v19
	v_fma_f32 v18, -v26, v32, v18
	v_mov_b32_e32 v30, s9
	s_waitcnt lgkmcnt(1)
	v_fma_f32 v18, -v25, v35, v18
	s_add_i32 s9, s11, 0xfffff55c
	ds_read2_b32 v[30:31], v30 offset1:1
	v_fma_f32 v18, -v24, v34, v18
	v_mov_b32_e32 v32, s9
	s_add_i32 s9, s11, 0xfffff554
	s_waitcnt lgkmcnt(1)
	v_fma_f32 v18, -v3, v37, v18
	v_mov_b32_e32 v34, s9
	s_add_i32 s9, s11, 0xfffff54c
	v_fma_f32 v18, -v2, v36, v18
	v_mov_b32_e32 v36, s9
	ds_read2_b32 v[32:33], v32 offset1:1
	ds_read2_b32 v[34:35], v34 offset1:1
	;; [unrolled: 1-line block ×3, first 2 shown]
	s_waitcnt lgkmcnt(3)
	v_fma_f32 v18, -v1, v31, v18
	v_fma_f32 v18, -v0, v30, v18
	s_waitcnt lgkmcnt(2)
	v_fma_f32 v18, -v7, v33, v18
	s_add_i32 s9, s11, 0xfffff544
	v_fma_f32 v18, -v6, v32, v18
	v_mov_b32_e32 v30, s9
	s_waitcnt lgkmcnt(1)
	v_fma_f32 v18, -v5, v35, v18
	s_add_i32 s9, s11, 0xfffff53c
	ds_read2_b32 v[30:31], v30 offset1:1
	v_fma_f32 v18, -v4, v34, v18
	v_mov_b32_e32 v32, s9
	s_add_i32 s9, s11, 0xfffff534
	s_waitcnt lgkmcnt(1)
	v_fma_f32 v18, -v11, v37, v18
	v_mov_b32_e32 v34, s9
	s_add_i32 s9, s7, 0xfffff52c
	v_fma_f32 v18, -v10, v36, v18
	v_mov_b32_e32 v36, s9
	ds_read2_b32 v[32:33], v32 offset1:1
	ds_read2_b32 v[34:35], v34 offset1:1
	;; [unrolled: 1-line block ×3, first 2 shown]
	s_waitcnt lgkmcnt(3)
	v_fma_f32 v18, -v9, v31, v18
	v_fma_f32 v18, -v8, v30, v18
	s_waitcnt lgkmcnt(2)
	v_fma_f32 v18, -v15, v33, v18
	v_fma_f32 v18, -v14, v32, v18
	s_waitcnt lgkmcnt(1)
	v_fma_f32 v18, -v13, v35, v18
	s_add_i32 s9, s11, 0xfffff500
	v_fma_f32 v18, -v12, v34, v18
	v_mov_b32_e32 v30, s9
	s_add_i32 s9, s11, 0xfffff4f8
	s_waitcnt lgkmcnt(0)
	v_fma_f32 v18, -v19, v37, v18
	v_mov_b32_e32 v31, s9
	v_mul_f32_e32 v18, v36, v18
	s_add_i32 s9, s11, 0xfffff4f0
	ds_read_b32 v36, v30
	ds_read2_b32 v[30:31], v31 offset1:1
	v_mov_b32_e32 v32, s9
	s_add_i32 s9, s11, 0xfffff4e8
	v_mov_b32_e32 v34, s9
	ds_read2_b32 v[32:33], v32 offset1:1
	ds_read2_b32 v[34:35], v34 offset1:1
	s_waitcnt lgkmcnt(3)
	v_fma_f32 v17, -v27, v36, v17
	s_waitcnt lgkmcnt(2)
	v_fma_f32 v17, -v26, v31, v17
	v_fma_f32 v17, -v25, v30, v17
	s_add_i32 s9, s11, 0xfffff4e0
	s_waitcnt lgkmcnt(1)
	v_fma_f32 v17, -v24, v33, v17
	v_mov_b32_e32 v30, s9
	v_fma_f32 v17, -v3, v32, v17
	s_add_i32 s9, s11, 0xfffff4d8
	ds_read2_b32 v[30:31], v30 offset1:1
	s_waitcnt lgkmcnt(1)
	v_fma_f32 v17, -v2, v35, v17
	v_mov_b32_e32 v32, s9
	s_add_i32 s9, s11, 0xfffff4d0
	v_fma_f32 v17, -v1, v34, v17
	v_mov_b32_e32 v34, s9
	s_add_i32 s9, s11, 0xfffff4c8
	v_mov_b32_e32 v36, s9
	ds_read2_b32 v[32:33], v32 offset1:1
	ds_read2_b32 v[34:35], v34 offset1:1
	;; [unrolled: 1-line block ×3, first 2 shown]
	s_waitcnt lgkmcnt(3)
	v_fma_f32 v17, -v0, v31, v17
	v_fma_f32 v17, -v7, v30, v17
	s_waitcnt lgkmcnt(2)
	v_fma_f32 v17, -v6, v33, v17
	s_add_i32 s9, s11, 0xfffff4c0
	v_fma_f32 v17, -v5, v32, v17
	v_mov_b32_e32 v30, s9
	s_waitcnt lgkmcnt(1)
	v_fma_f32 v17, -v4, v35, v17
	s_add_i32 s9, s11, 0xfffff4b8
	ds_read2_b32 v[30:31], v30 offset1:1
	v_fma_f32 v17, -v11, v34, v17
	v_mov_b32_e32 v32, s9
	s_add_i32 s9, s11, 0xfffff4b0
	s_waitcnt lgkmcnt(1)
	v_fma_f32 v17, -v10, v37, v17
	v_mov_b32_e32 v34, s9
	s_add_i32 s9, s7, 0xfffff4a8
	v_fma_f32 v17, -v9, v36, v17
	v_mov_b32_e32 v36, s9
	ds_read2_b32 v[32:33], v32 offset1:1
	ds_read2_b32 v[34:35], v34 offset1:1
	;; [unrolled: 1-line block ×3, first 2 shown]
	s_waitcnt lgkmcnt(3)
	v_fma_f32 v17, -v8, v31, v17
	v_fma_f32 v17, -v15, v30, v17
	s_waitcnt lgkmcnt(2)
	v_fma_f32 v17, -v14, v33, v17
	s_add_i32 s9, s11, 0xfffff47c
	v_fma_f32 v17, -v13, v32, v17
	v_mov_b32_e32 v30, s9
	s_waitcnt lgkmcnt(1)
	v_fma_f32 v17, -v12, v35, v17
	s_add_i32 s9, s11, 0xfffff474
	ds_read2_b32 v[30:31], v30 offset1:1
	v_fma_f32 v17, -v19, v34, v17
	v_mov_b32_e32 v32, s9
	s_add_i32 s9, s11, 0xfffff46c
	s_waitcnt lgkmcnt(1)
	v_fma_f32 v17, -v18, v37, v17
	v_mov_b32_e32 v34, s9
	s_add_i32 s9, s11, 0xfffff464
	v_mul_f32_e32 v17, v36, v17
	v_mov_b32_e32 v36, s9
	ds_read2_b32 v[32:33], v32 offset1:1
	ds_read2_b32 v[34:35], v34 offset1:1
	;; [unrolled: 1-line block ×3, first 2 shown]
	s_waitcnt lgkmcnt(3)
	v_fma_f32 v16, -v27, v31, v16
	v_fma_f32 v16, -v26, v30, v16
	s_waitcnt lgkmcnt(2)
	v_fma_f32 v16, -v25, v33, v16
	s_add_i32 s9, s11, 0xfffff45c
	v_fma_f32 v16, -v24, v32, v16
	v_mov_b32_e32 v30, s9
	s_waitcnt lgkmcnt(1)
	v_fma_f32 v16, -v3, v35, v16
	s_add_i32 s9, s11, 0xfffff454
	ds_read2_b32 v[30:31], v30 offset1:1
	v_fma_f32 v16, -v2, v34, v16
	v_mov_b32_e32 v32, s9
	s_add_i32 s9, s11, 0xfffff44c
	s_waitcnt lgkmcnt(1)
	v_fma_f32 v16, -v1, v37, v16
	v_mov_b32_e32 v34, s9
	s_add_i32 s9, s11, 0xfffff444
	v_fma_f32 v16, -v0, v36, v16
	v_mov_b32_e32 v36, s9
	ds_read2_b32 v[32:33], v32 offset1:1
	ds_read2_b32 v[34:35], v34 offset1:1
	ds_read2_b32 v[36:37], v36 offset1:1
	s_waitcnt lgkmcnt(3)
	v_fma_f32 v16, -v7, v31, v16
	v_fma_f32 v16, -v6, v30, v16
	s_waitcnt lgkmcnt(2)
	v_fma_f32 v16, -v5, v33, v16
	s_add_i32 s9, s11, 0xfffff43c
	v_fma_f32 v16, -v4, v32, v16
	v_mov_b32_e32 v30, s9
	s_waitcnt lgkmcnt(1)
	v_fma_f32 v16, -v11, v35, v16
	s_add_i32 s9, s11, 0xfffff434
	ds_read2_b32 v[30:31], v30 offset1:1
	v_fma_f32 v16, -v10, v34, v16
	v_mov_b32_e32 v32, s9
	s_add_i32 s9, s11, 0xfffff42c
	s_waitcnt lgkmcnt(1)
	v_fma_f32 v16, -v9, v37, v16
	v_mov_b32_e32 v34, s9
	s_add_i32 s9, s7, 0xfffff424
	v_fma_f32 v16, -v8, v36, v16
	v_mov_b32_e32 v36, s9
	ds_read2_b32 v[32:33], v32 offset1:1
	ds_read2_b32 v[34:35], v34 offset1:1
	ds_read2_b32 v[36:37], v36 offset1:1
	s_waitcnt lgkmcnt(3)
	v_fma_f32 v16, -v15, v31, v16
	v_fma_f32 v16, -v14, v30, v16
	s_waitcnt lgkmcnt(2)
	v_fma_f32 v16, -v13, v33, v16
	v_fma_f32 v16, -v12, v32, v16
	;; [unrolled: 3-line block ×3, first 2 shown]
	s_waitcnt lgkmcnt(0)
	v_fma_f32 v16, -v17, v37, v16
	s_add_i32 s9, s11, 0xfffff400
	v_mul_f32_e32 v16, v36, v16
	v_mov_b32_e32 v30, s9
	s_add_i32 s9, s11, 0xfffff3f8
	global_store_dwordx4 v[28:29], v[16:19], off offset:-92
	v_mov_b32_e32 v31, s9
	s_add_i32 s9, s11, 0xfffff3f0
	ds_read_b32 v36, v30
	ds_read2_b32 v[30:31], v31 offset1:1
	v_mov_b32_e32 v32, s9
	s_add_i32 s9, s11, 0xfffff3e8
	v_mov_b32_e32 v34, s9
	ds_read2_b32 v[32:33], v32 offset1:1
	ds_read2_b32 v[34:35], v34 offset1:1
	s_waitcnt lgkmcnt(3)
	v_fma_f32 v23, -v27, v36, v23
	s_waitcnt lgkmcnt(2)
	v_fma_f32 v23, -v26, v31, v23
	v_fma_f32 v23, -v25, v30, v23
	s_add_i32 s9, s11, 0xfffff3e0
	s_waitcnt lgkmcnt(1)
	v_fma_f32 v23, -v24, v33, v23
	v_mov_b32_e32 v30, s9
	v_fma_f32 v23, -v3, v32, v23
	s_add_i32 s9, s11, 0xfffff3d8
	ds_read2_b32 v[30:31], v30 offset1:1
	s_waitcnt lgkmcnt(1)
	v_fma_f32 v23, -v2, v35, v23
	v_mov_b32_e32 v32, s9
	s_add_i32 s9, s11, 0xfffff3d0
	v_fma_f32 v23, -v1, v34, v23
	v_mov_b32_e32 v34, s9
	s_add_i32 s9, s11, 0xfffff3c8
	v_mov_b32_e32 v36, s9
	ds_read2_b32 v[32:33], v32 offset1:1
	ds_read2_b32 v[34:35], v34 offset1:1
	;; [unrolled: 1-line block ×3, first 2 shown]
	s_waitcnt lgkmcnt(3)
	v_fma_f32 v23, -v0, v31, v23
	v_fma_f32 v23, -v7, v30, v23
	s_waitcnt lgkmcnt(2)
	v_fma_f32 v23, -v6, v33, v23
	s_add_i32 s9, s11, 0xfffff3c0
	v_fma_f32 v23, -v5, v32, v23
	v_mov_b32_e32 v30, s9
	s_waitcnt lgkmcnt(1)
	v_fma_f32 v23, -v4, v35, v23
	s_add_i32 s9, s11, 0xfffff3b8
	ds_read2_b32 v[30:31], v30 offset1:1
	v_fma_f32 v23, -v11, v34, v23
	v_mov_b32_e32 v32, s9
	s_add_i32 s9, s11, 0xfffff3b0
	s_waitcnt lgkmcnt(1)
	v_fma_f32 v23, -v10, v37, v23
	v_mov_b32_e32 v34, s9
	s_add_i32 s9, s11, 0xfffff3a8
	v_fma_f32 v23, -v9, v36, v23
	v_mov_b32_e32 v36, s9
	ds_read2_b32 v[32:33], v32 offset1:1
	ds_read2_b32 v[34:35], v34 offset1:1
	;; [unrolled: 1-line block ×3, first 2 shown]
	s_waitcnt lgkmcnt(3)
	v_fma_f32 v23, -v8, v31, v23
	v_fma_f32 v23, -v15, v30, v23
	s_waitcnt lgkmcnt(2)
	v_fma_f32 v23, -v14, v33, v23
	v_fma_f32 v23, -v13, v32, v23
	s_add_i32 s9, s7, 0xfffff3a0
	s_waitcnt lgkmcnt(1)
	v_fma_f32 v23, -v12, v35, v23
	v_mov_b32_e32 v30, s9
	s_add_i32 s9, s11, 0xfffff37c
	v_fma_f32 v23, -v19, v34, v23
	v_mov_b32_e32 v32, s9
	s_add_i32 s9, s11, 0xfffff374
	s_waitcnt lgkmcnt(0)
	v_fma_f32 v23, -v18, v37, v23
	v_mov_b32_e32 v34, s9
	s_add_i32 s9, s11, 0xfffff36c
	ds_read2_b32 v[30:31], v30 offset1:1
	v_fma_f32 v23, -v17, v36, v23
	v_mov_b32_e32 v36, s9
	ds_read2_b32 v[32:33], v32 offset1:1
	ds_read2_b32 v[34:35], v34 offset1:1
	;; [unrolled: 1-line block ×3, first 2 shown]
	s_add_i32 s9, s11, 0xfffff364
	s_waitcnt lgkmcnt(3)
	v_fma_f32 v23, -v16, v31, v23
	s_waitcnt lgkmcnt(2)
	v_fma_f32 v22, -v27, v33, v22
	v_mul_f32_e32 v23, v30, v23
	v_fma_f32 v22, -v26, v32, v22
	v_mov_b32_e32 v30, s9
	s_waitcnt lgkmcnt(1)
	v_fma_f32 v22, -v25, v35, v22
	s_add_i32 s9, s11, 0xfffff35c
	ds_read2_b32 v[30:31], v30 offset1:1
	v_fma_f32 v22, -v24, v34, v22
	v_mov_b32_e32 v32, s9
	s_add_i32 s9, s11, 0xfffff354
	s_waitcnt lgkmcnt(1)
	v_fma_f32 v22, -v3, v37, v22
	v_mov_b32_e32 v34, s9
	s_add_i32 s9, s11, 0xfffff34c
	v_fma_f32 v22, -v2, v36, v22
	v_mov_b32_e32 v36, s9
	ds_read2_b32 v[32:33], v32 offset1:1
	ds_read2_b32 v[34:35], v34 offset1:1
	;; [unrolled: 1-line block ×3, first 2 shown]
	s_waitcnt lgkmcnt(3)
	v_fma_f32 v22, -v1, v31, v22
	v_fma_f32 v22, -v0, v30, v22
	s_waitcnt lgkmcnt(2)
	v_fma_f32 v22, -v7, v33, v22
	s_add_i32 s9, s11, 0xfffff344
	v_fma_f32 v22, -v6, v32, v22
	v_mov_b32_e32 v30, s9
	s_waitcnt lgkmcnt(1)
	v_fma_f32 v22, -v5, v35, v22
	s_add_i32 s9, s11, 0xfffff33c
	ds_read2_b32 v[30:31], v30 offset1:1
	v_fma_f32 v22, -v4, v34, v22
	v_mov_b32_e32 v32, s9
	s_add_i32 s9, s11, 0xfffff334
	s_waitcnt lgkmcnt(1)
	v_fma_f32 v22, -v11, v37, v22
	v_mov_b32_e32 v34, s9
	s_add_i32 s9, s11, 0xfffff32c
	v_fma_f32 v22, -v10, v36, v22
	v_mov_b32_e32 v36, s9
	ds_read2_b32 v[32:33], v32 offset1:1
	ds_read2_b32 v[34:35], v34 offset1:1
	;; [unrolled: 1-line block ×3, first 2 shown]
	s_waitcnt lgkmcnt(3)
	v_fma_f32 v22, -v9, v31, v22
	v_fma_f32 v22, -v8, v30, v22
	s_waitcnt lgkmcnt(2)
	v_fma_f32 v22, -v15, v33, v22
	s_add_i32 s9, s11, 0xfffff324
	v_fma_f32 v22, -v14, v32, v22
	v_mov_b32_e32 v30, s9
	s_add_i32 s9, s7, 0xfffff31c
	s_waitcnt lgkmcnt(1)
	v_fma_f32 v22, -v13, v35, v22
	v_mov_b32_e32 v32, s9
	s_add_i32 s9, s11, 0xfffff300
	ds_read2_b32 v[30:31], v30 offset1:1
	v_fma_f32 v22, -v12, v34, v22
	v_mov_b32_e32 v34, s9
	s_add_i32 s9, s11, 0xfffff2f8
	s_waitcnt lgkmcnt(1)
	v_fma_f32 v22, -v19, v37, v22
	v_mov_b32_e32 v35, s9
	v_fma_f32 v22, -v18, v36, v22
	ds_read2_b32 v[32:33], v32 offset1:1
	ds_read_b32 v36, v34
	ds_read2_b32 v[34:35], v35 offset1:1
	s_waitcnt lgkmcnt(3)
	v_fma_f32 v22, -v17, v31, v22
	s_add_i32 s9, s11, 0xfffff2f0
	v_fma_f32 v22, -v16, v30, v22
	v_mov_b32_e32 v30, s9
	s_waitcnt lgkmcnt(2)
	v_fma_f32 v22, -v23, v33, v22
	s_waitcnt lgkmcnt(1)
	v_fma_f32 v21, -v27, v36, v21
	s_add_i32 s9, s11, 0xfffff2e8
	ds_read2_b32 v[30:31], v30 offset1:1
	v_mul_f32_e32 v22, v32, v22
	s_waitcnt lgkmcnt(1)
	v_fma_f32 v21, -v26, v35, v21
	v_mov_b32_e32 v32, s9
	s_add_i32 s9, s11, 0xfffff2e0
	v_fma_f32 v21, -v25, v34, v21
	v_mov_b32_e32 v34, s9
	s_add_i32 s9, s11, 0xfffff2d8
	v_mov_b32_e32 v36, s9
	ds_read2_b32 v[32:33], v32 offset1:1
	ds_read2_b32 v[34:35], v34 offset1:1
	;; [unrolled: 1-line block ×3, first 2 shown]
	s_waitcnt lgkmcnt(3)
	v_fma_f32 v21, -v24, v31, v21
	v_fma_f32 v21, -v3, v30, v21
	s_waitcnt lgkmcnt(2)
	v_fma_f32 v21, -v2, v33, v21
	s_add_i32 s9, s11, 0xfffff2d0
	v_fma_f32 v21, -v1, v32, v21
	v_mov_b32_e32 v30, s9
	s_waitcnt lgkmcnt(1)
	v_fma_f32 v21, -v0, v35, v21
	s_add_i32 s9, s11, 0xfffff2c8
	ds_read2_b32 v[30:31], v30 offset1:1
	v_fma_f32 v21, -v7, v34, v21
	v_mov_b32_e32 v32, s9
	s_add_i32 s9, s11, 0xfffff2c0
	s_waitcnt lgkmcnt(1)
	v_fma_f32 v21, -v6, v37, v21
	v_mov_b32_e32 v34, s9
	s_add_i32 s9, s11, 0xfffff2b8
	v_fma_f32 v21, -v5, v36, v21
	v_mov_b32_e32 v36, s9
	ds_read2_b32 v[32:33], v32 offset1:1
	ds_read2_b32 v[34:35], v34 offset1:1
	;; [unrolled: 1-line block ×3, first 2 shown]
	s_waitcnt lgkmcnt(3)
	v_fma_f32 v21, -v4, v31, v21
	v_fma_f32 v21, -v11, v30, v21
	s_waitcnt lgkmcnt(2)
	v_fma_f32 v21, -v10, v33, v21
	s_add_i32 s9, s11, 0xfffff2b0
	v_fma_f32 v21, -v9, v32, v21
	v_mov_b32_e32 v30, s9
	s_waitcnt lgkmcnt(1)
	v_fma_f32 v21, -v8, v35, v21
	s_add_i32 s9, s11, 0xfffff2a8
	ds_read2_b32 v[30:31], v30 offset1:1
	v_fma_f32 v21, -v15, v34, v21
	v_mov_b32_e32 v32, s9
	s_add_i32 s9, s11, 0xfffff2a0
	s_waitcnt lgkmcnt(1)
	v_fma_f32 v21, -v14, v37, v21
	v_mov_b32_e32 v34, s9
	s_add_i32 s9, s7, 0xfffff298
	v_fma_f32 v21, -v13, v36, v21
	v_mov_b32_e32 v36, s9
	s_sub_i32 s9, s8, 27
	ds_read2_b32 v[32:33], v32 offset1:1
	ds_read2_b32 v[34:35], v34 offset1:1
	ds_read2_b32 v[36:37], v36 offset1:1
	s_lshl_b32 s9, s9, 5
	s_waitcnt lgkmcnt(3)
	v_fma_f32 v21, -v12, v31, v21
	s_add_i32 s9, s9, s8
	v_fma_f32 v21, -v19, v30, v21
	s_lshl_b32 s9, s9, 2
	s_waitcnt lgkmcnt(2)
	v_fma_f32 v21, -v18, v33, v21
	s_add_i32 s11, s9, -4
	v_fma_f32 v21, -v17, v32, v21
	v_mov_b32_e32 v30, s11
	s_waitcnt lgkmcnt(1)
	v_fma_f32 v21, -v16, v35, v21
	s_add_i32 s11, s9, -12
	ds_read2_b32 v[30:31], v30 offset1:1
	v_fma_f32 v21, -v23, v34, v21
	v_mov_b32_e32 v32, s11
	s_sub_i32 s11, s9, 20
	s_waitcnt lgkmcnt(1)
	v_fma_f32 v21, -v22, v37, v21
	v_mov_b32_e32 v34, s11
	s_sub_i32 s11, s9, 28
	v_mul_f32_e32 v21, v36, v21
	v_mov_b32_e32 v36, s11
	ds_read2_b32 v[32:33], v32 offset1:1
	ds_read2_b32 v[34:35], v34 offset1:1
	ds_read2_b32 v[36:37], v36 offset1:1
	s_waitcnt lgkmcnt(3)
	v_fma_f32 v20, -v27, v31, v20
	v_fma_f32 v20, -v26, v30, v20
	s_waitcnt lgkmcnt(2)
	v_fma_f32 v20, -v25, v33, v20
	v_fma_f32 v20, -v24, v32, v20
	;; [unrolled: 3-line block ×3, first 2 shown]
	s_waitcnt lgkmcnt(0)
	v_fma_f32 v1, -v1, v37, v2
	s_sub_i32 s11, s9, 36
	v_fma_f32 v20, -v0, v36, v1
	v_mov_b32_e32 v0, s11
	s_sub_i32 s11, s9, 44
	ds_read2_b32 v[0:1], v0 offset1:1
	v_mov_b32_e32 v2, s11
	s_sub_i32 s11, s9, 52
	v_mov_b32_e32 v24, s11
	s_sub_i32 s11, s9, 60
	v_mov_b32_e32 v26, s11
	ds_read2_b32 v[2:3], v2 offset1:1
	ds_read2_b32 v[24:25], v24 offset1:1
	;; [unrolled: 1-line block ×3, first 2 shown]
	s_waitcnt lgkmcnt(3)
	v_fma_f32 v1, -v7, v1, v20
	v_fma_f32 v0, -v6, v0, v1
	s_waitcnt lgkmcnt(2)
	v_fma_f32 v0, -v5, v3, v0
	v_fma_f32 v0, -v4, v2, v0
	;; [unrolled: 3-line block ×3, first 2 shown]
	s_waitcnt lgkmcnt(0)
	v_fma_f32 v0, -v9, v27, v0
	s_add_i32 s11, s9, 0xffffffbc
	v_fma_f32 v8, -v8, v26, v0
	v_mov_b32_e32 v0, s11
	s_add_i32 s11, s9, 0xffffffb4
	ds_read2_b32 v[0:1], v0 offset1:1
	v_mov_b32_e32 v2, s11
	s_add_i32 s11, s9, 0xffffffac
	v_mov_b32_e32 v4, s11
	s_add_i32 s11, s9, 0xffffffa4
	v_mov_b32_e32 v6, s11
	ds_read2_b32 v[2:3], v2 offset1:1
	ds_read2_b32 v[4:5], v4 offset1:1
	;; [unrolled: 1-line block ×3, first 2 shown]
	s_waitcnt lgkmcnt(3)
	v_fma_f32 v1, -v15, v1, v8
	v_fma_f32 v0, -v14, v0, v1
	s_waitcnt lgkmcnt(2)
	v_fma_f32 v0, -v13, v3, v0
	v_fma_f32 v0, -v12, v2, v0
	s_waitcnt lgkmcnt(1)
	v_fma_f32 v0, -v19, v5, v0
	s_addk_i32 s9, 0xff9c
	v_fma_f32 v4, -v18, v4, v0
	v_mov_b32_e32 v0, s9
	s_addk_i32 s7, 0xf214
	ds_read2_b32 v[0:1], v0 offset1:1
	v_mov_b32_e32 v2, s7
	ds_read2_b32 v[2:3], v2 offset1:1
	s_waitcnt lgkmcnt(2)
	v_fma_f32 v4, -v17, v7, v4
	v_fma_f32 v4, -v16, v6, v4
	s_waitcnt lgkmcnt(1)
	v_fma_f32 v1, -v23, v1, v4
	v_fma_f32 v0, -v22, v0, v1
	s_waitcnt lgkmcnt(0)
	v_fma_f32 v0, -v21, v3, v0
	v_mul_f32_e32 v20, v2, v0
	s_sub_i32 s8, s8, 28
	global_store_dwordx4 v[28:29], v[20:23], off offset:-108
.LBB39_25:
	s_cmp_lt_i32 s8, 0
	s_cbranch_scc1 .LBB39_42
; %bb.26:
	s_add_i32 s7, s8, 1
	s_and_b32 s9, s7, 3
	s_cmp_eq_u32 s9, 0
	s_mov_b32 s12, s8
	s_cbranch_scc1 .LBB39_31
; %bb.27:
	s_lshl_b32 s7, s8, 7
	s_lshl_b32 s11, s18, 2
	s_add_i32 s7, s7, s11
	s_add_i32 s11, s7, -4
	s_ashr_i32 s7, s6, 31
	s_lshl_b64 s[12:13], s[6:7], 2
	s_add_u32 s7, s2, s12
	s_addc_u32 s12, s3, s13
	s_add_u32 s7, s7, s4
	s_addc_u32 s12, s12, s5
	;; [unrolled: 2-line block ×3, first 2 shown]
	v_mov_b32_e32 v1, s12
	v_add_co_u32_e32 v0, vcc, s7, v74
	s_mov_b32 s13, 0
	v_addc_co_u32_e32 v1, vcc, v1, v75, vcc
	s_mov_b32 s12, s8
	s_mov_b32 s7, s13
	s_branch .LBB39_29
.LBB39_28:                              ;   in Loop: Header=BB39_29 Depth=1
	s_mul_i32 s14, s12, 0x84
	v_mov_b32_e32 v2, s14
	ds_read_b32 v2, v2
	s_ashr_i32 s15, s12, 31
	s_mov_b32 s14, s12
	s_lshl_b64 s[14:15], s[14:15], 2
	v_mov_b32_e32 v3, s15
	s_waitcnt lgkmcnt(0)
	v_mul_f32_e32 v4, v2, v4
	v_add_co_u32_e32 v2, vcc, s14, v72
	s_add_i32 s12, s12, -1
	s_add_i32 s7, s7, 1
	s_addk_i32 s11, 0xff80
	v_addc_co_u32_e32 v3, vcc, v73, v3, vcc
	s_cmp_lg_u32 s7, s9
	global_store_dword v[2:3], v4, off
	s_cbranch_scc0 .LBB39_31
.LBB39_29:                              ; =>This Loop Header: Depth=1
                                        ;     Child Loop BB39_30 Depth 2
	s_lshl_b64 s[14:15], s[12:13], 2
	v_mov_b32_e32 v3, s15
	v_add_co_u32_e32 v2, vcc, s14, v72
	v_addc_co_u32_e32 v3, vcc, v73, v3, vcc
	global_load_dword v4, v[2:3], off
	v_pk_mov_b32 v[2:3], v[0:1], v[0:1] op_sel:[0,1]
	s_mov_b32 s14, s11
	s_cmp_le_i32 s6, s12
	s_mov_b32 s15, s6
	s_waitcnt vmcnt(0)
	v_mul_f32_e32 v4, s16, v4
	s_cbranch_scc1 .LBB39_28
.LBB39_30:                              ;   Parent Loop BB39_29 Depth=1
                                        ; =>  This Inner Loop Header: Depth=2
	global_load_dword v5, v[2:3], off
	v_mov_b32_e32 v6, s14
	ds_read_b32 v6, v6
	s_add_i32 s15, s15, -1
	s_add_i32 s14, s14, -4
	v_add_co_u32_e32 v2, vcc, -4, v2
	v_addc_co_u32_e32 v3, vcc, -1, v3, vcc
	s_cmp_gt_i32 s15, s12
	s_waitcnt vmcnt(0) lgkmcnt(0)
	v_fma_f32 v4, -v5, v6, v4
	s_cbranch_scc1 .LBB39_30
	s_branch .LBB39_28
.LBB39_31:
	s_cmp_lt_u32 s8, 3
	s_cbranch_scc1 .LBB39_42
; %bb.32:
	s_lshl_b32 s7, s12, 7
	s_lshl_b32 s8, s18, 2
	s_add_i32 s15, s7, s8
	s_add_i32 s14, s15, -4
	s_add_u32 s7, s4, s0
	s_addc_u32 s8, s5, s1
	v_add_co_u32_e32 v2, vcc, s7, v74
	s_ashr_i32 s7, s6, 31
	v_mov_b32_e32 v0, s8
	s_lshl_b64 s[8:9], s[6:7], 2
	s_add_u32 s7, s2, s8
	v_addc_co_u32_e32 v3, vcc, v0, v75, vcc
	s_addc_u32 s8, s3, s9
	s_ashr_i32 s11, s10, 31
	v_mov_b32_e32 v1, s8
	v_add_co_u32_e32 v0, vcc, s7, v2
	s_add_i32 s7, s15, 0xffffff7c
	v_cmp_lt_i64_e64 s[8:9], s[10:11], 32
	s_and_b64 s[8:9], s[8:9], exec
	s_cselect_b32 s9, s11, 0
	s_cselect_b32 s8, s10, 32
	s_lshl_b64 s[8:9], s[8:9], 2
	s_add_u32 s8, s2, s8
	v_addc_co_u32_e32 v1, vcc, v1, v3, vcc
	s_addc_u32 s9, s3, s9
	v_mov_b32_e32 v4, s9
	v_add_co_u32_e32 v2, vcc, s8, v2
	v_addc_co_u32_e32 v3, vcc, v4, v3, vcc
	v_add_co_u32_e32 v2, vcc, -4, v2
	s_mov_b32 s13, 0
	v_addc_co_u32_e32 v3, vcc, -1, v3, vcc
	s_add_i32 s11, s15, 0xfffffefc
	s_addk_i32 s15, 0xfe7c
	s_branch .LBB39_34
.LBB39_33:                              ;   in Loop: Header=BB39_34 Depth=1
	s_add_i32 s8, s9, 0xffffff7c
	v_mov_b32_e32 v6, s8
	ds_read_b32 v6, v6
	s_add_i32 s8, s12, -4
	s_addk_i32 s14, 0xfe00
	s_addk_i32 s7, 0xfe00
	;; [unrolled: 1-line block ×4, first 2 shown]
	s_waitcnt lgkmcnt(0)
	v_mul_f32_e32 v6, v6, v8
	s_cmp_lt_i32 s12, 4
	s_mov_b32 s12, s8
	global_store_dword v[4:5], v6, off offset:-12
	s_cbranch_scc1 .LBB39_42
.LBB39_34:                              ; =>This Loop Header: Depth=1
                                        ;     Child Loop BB39_35 Depth 2
                                        ;     Child Loop BB39_37 Depth 2
	;; [unrolled: 1-line block ×4, first 2 shown]
	s_lshl_b64 s[8:9], s[12:13], 2
	v_mov_b32_e32 v5, s9
	v_add_co_u32_e32 v4, vcc, s8, v72
	v_addc_co_u32_e32 v5, vcc, v73, v5, vcc
	global_load_dword v6, v[4:5], off
	v_pk_mov_b32 v[4:5], v[0:1], v[0:1] op_sel:[0,1]
	s_mov_b32 s8, s14
	s_cmp_le_i32 s6, s12
	s_mov_b32 s9, s6
	s_waitcnt vmcnt(0)
	v_mul_f32_e32 v8, s16, v6
	s_cbranch_scc1 .LBB39_36
.LBB39_35:                              ;   Parent Loop BB39_34 Depth=1
                                        ; =>  This Inner Loop Header: Depth=2
	global_load_dword v6, v[4:5], off
	v_mov_b32_e32 v7, s8
	ds_read_b32 v7, v7
	s_add_i32 s9, s9, -1
	s_add_i32 s8, s8, -4
	v_add_co_u32_e32 v4, vcc, -4, v4
	v_addc_co_u32_e32 v5, vcc, -1, v5, vcc
	s_cmp_gt_i32 s9, s12
	s_waitcnt vmcnt(0) lgkmcnt(0)
	v_fma_f32 v8, -v6, v7, v8
	s_cbranch_scc1 .LBB39_35
.LBB39_36:                              ;   in Loop: Header=BB39_34 Depth=1
	s_add_i32 s8, s12, -1
	s_mov_b32 s9, s13
	s_lshl_b64 s[8:9], s[8:9], 2
	v_mov_b32_e32 v5, s9
	v_add_co_u32_e32 v4, vcc, s8, v72
	v_addc_co_u32_e32 v5, vcc, v73, v5, vcc
	global_load_dword v9, v[4:5], off
	s_mul_i32 s17, s12, 0x84
	v_mov_b32_e32 v4, s17
	ds_read_b32 v10, v4
	s_ashr_i32 s21, s12, 31
	s_mov_b32 s20, s12
	s_lshl_b64 s[20:21], s[20:21], 2
	v_mov_b32_e32 v5, s21
	v_add_co_u32_e32 v4, vcc, s20, v72
	v_addc_co_u32_e32 v5, vcc, v73, v5, vcc
	s_waitcnt lgkmcnt(0)
	v_mul_f32_e32 v8, v10, v8
	v_pk_mov_b32 v[6:7], v[2:3], v[2:3] op_sel:[0,1]
	s_mov_b32 s8, s7
	s_cmp_le_i32 s18, s12
	global_store_dword v[4:5], v8, off
	s_mov_b32 s9, s18
	s_waitcnt vmcnt(1)
	v_mul_f32_e32 v8, s16, v9
	s_cbranch_scc1 .LBB39_38
.LBB39_37:                              ;   Parent Loop BB39_34 Depth=1
                                        ; =>  This Inner Loop Header: Depth=2
	global_load_dword v9, v[6:7], off
	v_mov_b32_e32 v10, s8
	ds_read_b32 v10, v10
	s_add_i32 s9, s9, -1
	s_add_i32 s8, s8, -4
	v_add_co_u32_e32 v6, vcc, -4, v6
	v_addc_co_u32_e32 v7, vcc, -1, v7, vcc
	s_cmp_gt_i32 s9, s12
	s_waitcnt vmcnt(0) lgkmcnt(0)
	v_fma_f32 v8, -v9, v10, v8
	s_cbranch_scc1 .LBB39_37
.LBB39_38:                              ;   in Loop: Header=BB39_34 Depth=1
	s_add_i32 s8, s12, -2
	s_mov_b32 s9, s13
	s_lshl_b64 s[20:21], s[8:9], 2
	v_mov_b32_e32 v7, s21
	v_add_co_u32_e32 v6, vcc, s20, v72
	v_addc_co_u32_e32 v7, vcc, v73, v7, vcc
	global_load_dword v9, v[6:7], off
	s_addk_i32 s17, 0xff7c
	v_mov_b32_e32 v6, s17
	ds_read_b32 v10, v6
	v_pk_mov_b32 v[6:7], v[0:1], v[0:1] op_sel:[0,1]
	s_mov_b32 s9, s11
	s_cmp_le_i32 s6, s8
	s_mov_b32 s19, s6
	s_waitcnt lgkmcnt(0)
	v_mul_f32_e32 v8, v10, v8
	global_store_dword v[4:5], v8, off offset:-4
	s_waitcnt vmcnt(1)
	v_mul_f32_e32 v8, s16, v9
	s_cbranch_scc1 .LBB39_40
.LBB39_39:                              ;   Parent Loop BB39_34 Depth=1
                                        ; =>  This Inner Loop Header: Depth=2
	global_load_dword v9, v[6:7], off
	v_mov_b32_e32 v10, s9
	ds_read_b32 v10, v10
	s_add_i32 s19, s19, -1
	s_add_i32 s9, s9, -4
	v_add_co_u32_e32 v6, vcc, -4, v6
	v_addc_co_u32_e32 v7, vcc, -1, v7, vcc
	s_cmp_gt_i32 s19, s8
	s_waitcnt vmcnt(0) lgkmcnt(0)
	v_fma_f32 v8, -v9, v10, v8
	s_cbranch_scc1 .LBB39_39
.LBB39_40:                              ;   in Loop: Header=BB39_34 Depth=1
	s_add_i32 s8, s12, -3
	s_mov_b32 s9, s13
	s_lshl_b64 s[20:21], s[8:9], 2
	v_mov_b32_e32 v7, s21
	v_add_co_u32_e32 v6, vcc, s20, v72
	v_addc_co_u32_e32 v7, vcc, v73, v7, vcc
	global_load_dword v9, v[6:7], off
	s_add_i32 s9, s17, 0xffffff7c
	v_mov_b32_e32 v6, s9
	ds_read_b32 v10, v6
	v_pk_mov_b32 v[6:7], v[0:1], v[0:1] op_sel:[0,1]
	s_mov_b32 s17, s15
	s_cmp_le_i32 s6, s8
	s_mov_b32 s19, s6
	s_waitcnt lgkmcnt(0)
	v_mul_f32_e32 v8, v10, v8
	global_store_dword v[4:5], v8, off offset:-8
	s_waitcnt vmcnt(1)
	v_mul_f32_e32 v8, s16, v9
	s_cbranch_scc1 .LBB39_33
.LBB39_41:                              ;   Parent Loop BB39_34 Depth=1
                                        ; =>  This Inner Loop Header: Depth=2
	global_load_dword v9, v[6:7], off
	v_mov_b32_e32 v10, s17
	ds_read_b32 v10, v10
	s_add_i32 s19, s19, -1
	s_add_i32 s17, s17, -4
	v_add_co_u32_e32 v6, vcc, -4, v6
	v_addc_co_u32_e32 v7, vcc, -1, v7, vcc
	s_cmp_gt_i32 s19, s8
	s_waitcnt vmcnt(0) lgkmcnt(0)
	v_fma_f32 v8, -v9, v10, v8
	s_cbranch_scc1 .LBB39_41
	s_branch .LBB39_33
.LBB39_42:
	s_mov_b64 s[6:7], 0
.LBB39_43:
	s_and_b64 vcc, exec, s[6:7]
	s_cbranch_vccz .LBB39_66
; %bb.44:
	s_cmp_gt_i32 s10, 31
	s_cselect_b64 s[8:9], -1, 0
	s_mov_b32 s6, 0
	s_and_b64 vcc, exec, s[8:9]
	s_cbranch_vccz .LBB39_46
; %bb.45:
	global_load_dwordx4 v[48:51], v[72:73], off
	global_load_dwordx4 v[14:17], v[72:73], off offset:16
	global_load_dwordx4 v[20:23], v[72:73], off offset:32
	;; [unrolled: 1-line block ×5, first 2 shown]
	v_mov_b32_e32 v112, 0
	ds_read_b128 v[68:71], v112
	ds_read_b128 v[52:55], v112 offset:16
	ds_read2_b64 v[28:31], v112 offset0:33 offset1:34
	ds_read2_b64 v[56:59], v112 offset0:35 offset1:36
	ds_read2_b32 v[96:97], v112 offset0:33 offset1:34
	ds_read2_b32 v[94:95], v112 offset0:35 offset1:36
	;; [unrolled: 1-line block ×4, first 2 shown]
	ds_read_b128 v[60:63], v112 offset:528
	ds_read_b128 v[40:43], v112 offset:544
	ds_read2_b32 v[106:107], v112 offset0:99 offset1:100
	ds_read2_b32 v[104:105], v112 offset0:101 offset1:102
	;; [unrolled: 1-line block ×4, first 2 shown]
	ds_read2_b64 v[64:67], v112 offset0:99 offset1:100
	ds_read2_b64 v[32:35], v112 offset0:101 offset1:102
	ds_read2_b32 v[88:89], v112 offset0:233 offset1:234
	ds_read2_b32 v[76:77], v112 offset0:235 offset1:236
	ds_read_b128 v[44:47], v112 offset:32
	ds_read_b128 v[36:39], v112 offset:48
	ds_read2_b32 v[108:109], v112 offset0:167 offset1:168
	ds_read2_b32 v[92:93], v112 offset0:169 offset1:170
	;; [unrolled: 1-line block ×9, first 2 shown]
	ds_read_b128 v[4:7], v112 offset:624
	ds_read_b128 v[114:117], v112 offset:1056
	s_movk_i32 s6, 0xfc
	s_waitcnt vmcnt(5)
	v_mul_f32_e32 v12, s16, v48
	s_waitcnt lgkmcnt(14)
	v_mul_f32_e32 v12, v68, v12
	v_mul_f32_e32 v13, v12, v69
	;; [unrolled: 1-line block ×3, first 2 shown]
	v_fma_f32 v13, v49, s16, -v13
	v_mul_f32_e32 v68, v12, v71
	v_fma_f32 v50, v50, s16, -v48
	v_mul_f32_e32 v52, v12, v52
	s_waitcnt lgkmcnt(12)
	v_mul_f32_e32 v44, v12, v44
	v_mul_f32_e32 v13, v96, v13
	v_fma_f32 v51, v51, s16, -v68
	v_mul_f32_e32 v53, v12, v53
	s_waitcnt vmcnt(4)
	v_fma_f32 v14, v14, s16, -v52
	v_mul_f32_e32 v45, v12, v45
	s_waitcnt vmcnt(3)
	v_fma_f32 v20, v20, s16, -v44
	v_fma_f32 v44, -v13, v97, v50
	v_mul_f32_e32 v54, v12, v54
	v_fma_f32 v15, v15, s16, -v53
	v_fma_f32 v21, v21, s16, -v45
	v_fma_f32 v45, -v13, v94, v51
	v_fma_f32 v50, -v13, v95, v14
	v_mul_f32_e32 v14, v28, v44
	v_mul_f32_e32 v55, v12, v55
	v_fma_f32 v16, v16, s16, -v54
	v_fma_f32 v15, -v13, v18, v15
	v_fma_f32 v18, -v13, v99, v20
	;; [unrolled: 1-line block ×3, first 2 shown]
	v_fma_f32 v17, v17, s16, -v55
	v_fma_f32 v16, -v13, v19, v16
	s_waitcnt lgkmcnt(6)
	v_fma_f32 v19, -v13, v100, v21
	v_fma_f32 v21, -v14, v30, v50
	;; [unrolled: 1-line block ×3, first 2 shown]
	v_mul_f32_e32 v15, v106, v20
	v_fma_f32 v17, -v13, v98, v17
	v_fma_f32 v16, -v14, v56, v16
	;; [unrolled: 1-line block ×7, first 2 shown]
	v_mul_f32_e32 v16, v60, v19
	v_fma_f32 v18, -v14, v58, v18
	v_fma_f32 v17, -v15, v102, v17
	;; [unrolled: 1-line block ×3, first 2 shown]
	ds_read2_b32 v[70:71], v112 offset0:253 offset1:254
	ds_read2_b32 v[48:49], v112 offset0:231 offset1:232
	ds_read_b64 v[68:69], v112 offset:888
	v_fma_f32 v18, -v15, v103, v18
	v_fma_f32 v20, -v16, v62, v21
	;; [unrolled: 1-line block ×3, first 2 shown]
	s_waitcnt lgkmcnt(5)
	v_mul_f32_e32 v17, v110, v19
	v_fma_f32 v18, -v16, v40, v18
	v_fma_f32 v19, -v17, v111, v20
	;; [unrolled: 1-line block ×4, first 2 shown]
	v_mul_f32_e32 v18, v64, v19
	v_fma_f32 v19, -v18, v65, v20
	v_fma_f32 v20, -v18, v66, v21
	;; [unrolled: 1-line block ×3, first 2 shown]
	v_mov_b32_e32 v28, 0x4a4
	ds_read2_b32 v[28:29], v28 offset1:1
	v_fma_f32 v21, -v16, v41, v21
	s_waitcnt lgkmcnt(2)
	v_mul_f32_e32 v19, v48, v19
	v_fma_f32 v21, -v17, v92, v21
	v_fma_f32 v20, -v19, v49, v20
	;; [unrolled: 1-line block ×3, first 2 shown]
	v_mov_b32_e32 v30, 0x4ac
	v_mul_f32_e32 v20, v114, v20
	v_fma_f32 v21, -v19, v88, v21
	ds_read2_b32 v[64:65], v30 offset1:1
	ds_read_b32 v88, v112 offset:4092
	ds_read2_b64 v[48:51], v112 offset0:37 offset1:38
	ds_read2_b64 v[52:55], v112 offset0:39 offset1:40
	v_fma_f32 v21, -v20, v115, v21
	s_waitcnt lgkmcnt(4)
	v_mul_f32_e32 v21, v28, v21
	v_mul_f32_e32 v28, v12, v46
	v_fma_f32 v22, v22, s16, -v28
	v_fma_f32 v22, -v13, v101, v22
	s_waitcnt lgkmcnt(1)
	v_fma_f32 v22, -v14, v48, v22
	v_fma_f32 v22, -v15, v81, v22
	;; [unrolled: 1-line block ×8, first 2 shown]
	ds_read_b128 v[28:31], v112 offset:1136
	ds_read2_b32 v[44:45], v112 offset0:107 offset1:108
	v_mul_f32_e32 v32, v12, v47
	v_fma_f32 v23, v23, s16, -v32
	v_fma_f32 v23, -v13, v90, v23
	v_fma_f32 v23, -v14, v49, v23
	s_waitcnt lgkmcnt(0)
	v_fma_f32 v23, -v15, v44, v23
	ds_read2_b64 v[56:59], v112 offset0:165 offset1:166
	v_fma_f32 v23, -v16, v43, v23
	v_fma_f32 v23, -v17, v86, v23
	v_mov_b32_e32 v32, 0x5ac
	ds_read2_b32 v[48:49], v112 offset0:109 offset1:110
	ds_read2_b32 v[80:81], v112 offset0:111 offset1:112
	;; [unrolled: 1-line block ×3, first 2 shown]
	v_fma_f32 v23, -v18, v33, v23
	ds_read2_b32 v[32:33], v32 offset1:1
	v_fma_f32 v23, -v19, v76, v23
	v_fma_f32 v23, -v20, v117, v23
	s_waitcnt lgkmcnt(4)
	v_mul_f32_e32 v22, v56, v22
	v_fma_f32 v23, -v21, v64, v23
	v_fma_f32 v23, -v22, v57, v23
	v_mov_b32_e32 v40, 0x4b4
	v_mov_b32_e32 v41, 0x5b4
	;; [unrolled: 1-line block ×3, first 2 shown]
	ds_read2_b32 v[98:99], v40 offset1:1
	ds_read2_b32 v[106:107], v41 offset1:1
	;; [unrolled: 1-line block ×3, first 2 shown]
	s_waitcnt lgkmcnt(3)
	v_mul_f32_e32 v23, v32, v23
	v_mul_f32_e32 v32, v12, v36
	ds_read_b128 v[40:43], v112 offset:560
	s_waitcnt vmcnt(2)
	v_fma_f32 v24, v24, s16, -v32
	v_fma_f32 v24, -v13, v91, v24
	ds_read_b128 v[90:93], v112 offset:576
	v_fma_f32 v24, -v14, v50, v24
	v_fma_f32 v24, -v15, v45, v24
	ds_read_b128 v[44:47], v112 offset:1072
	s_waitcnt lgkmcnt(2)
	v_fma_f32 v24, -v16, v40, v24
	v_mul_f32_e32 v32, v12, v37
	ds_read2_b32 v[36:37], v112 offset0:237 offset1:238
	v_fma_f32 v24, -v17, v87, v24
	v_fma_f32 v25, v25, s16, -v32
	v_fma_f32 v24, -v18, v34, v24
	v_fma_f32 v25, -v13, v84, v25
	v_fma_f32 v24, -v19, v77, v24
	v_fma_f32 v25, -v14, v51, v25
	s_waitcnt lgkmcnt(1)
	v_fma_f32 v24, -v20, v44, v24
	v_fma_f32 v25, -v15, v48, v25
	;; [unrolled: 1-line block ×4, first 2 shown]
	v_mul_f32_e32 v32, v12, v38
	v_fma_f32 v24, -v22, v58, v24
	v_fma_f32 v25, -v17, v82, v25
	v_fma_f32 v26, v26, s16, -v32
	ds_read_b128 v[94:97], v112 offset:1088
	ds_read_b64 v[66:67], v112 offset:1400
	ds_read_b128 v[60:63], v112 offset:1584
	v_fma_f32 v24, -v23, v33, v24
	v_fma_f32 v25, -v18, v35, v25
	ds_read2_b32 v[40:41], v112 offset0:239 offset1:240
	ds_read2_b32 v[86:87], v112 offset0:241 offset1:242
	;; [unrolled: 1-line block ×3, first 2 shown]
	v_fma_f32 v26, -v13, v85, v26
	ds_read2_b64 v[32:35], v112 offset0:103 offset1:104
	v_fma_f32 v26, -v14, v52, v26
	v_fma_f32 v26, -v15, v49, v26
	s_waitcnt lgkmcnt(7)
	v_fma_f32 v25, -v19, v36, v25
	v_fma_f32 v26, -v16, v42, v26
	;; [unrolled: 1-line block ×3, first 2 shown]
	ds_read2_b32 v[44:45], v112 offset0:175 offset1:176
	v_fma_f32 v26, -v17, v83, v26
	v_fma_f32 v25, -v21, v98, v25
	s_waitcnt lgkmcnt(1)
	v_fma_f32 v26, -v18, v32, v26
	v_mul_f32_e32 v32, v12, v39
	v_fma_f32 v25, -v22, v59, v25
	ds_read2_b64 v[82:85], v112 offset0:105 offset1:106
	ds_read2_b64 v[56:59], v112 offset0:167 offset1:168
	v_fma_f32 v27, v27, s16, -v32
	v_fma_f32 v27, -v13, v78, v27
	v_fma_f32 v26, -v19, v37, v26
	;; [unrolled: 1-line block ×7, first 2 shown]
	v_mul_f32_e32 v24, v60, v24
	v_fma_f32 v25, -v23, v106, v25
	s_waitcnt lgkmcnt(0)
	v_fma_f32 v26, -v22, v56, v26
	v_fma_f32 v27, -v17, v44, v27
	;; [unrolled: 1-line block ×5, first 2 shown]
	v_mul_f32_e32 v25, v108, v25
	v_fma_f32 v26, -v24, v62, v26
	v_fma_f32 v27, -v19, v40, v27
	v_mov_b32_e32 v32, 0x4bc
	v_mov_b32_e32 v36, 0x5bc
	v_mov_b32_e32 v37, 0x6bc
	v_mov_b32_e32 v38, 0x7bc
	ds_read2_b64 v[98:101], v112 offset0:169 offset1:170
	ds_read2_b64 v[102:105], v112 offset0:231 offset1:232
	v_fma_f32 v26, -v25, v109, v26
	ds_read2_b64 v[106:109], v112 offset0:233 offset1:234
	ds_read2_b32 v[60:61], v112 offset0:177 offset1:178
	ds_read2_b32 v[120:121], v112 offset0:179 offset1:180
	;; [unrolled: 1-line block ×3, first 2 shown]
	v_fma_f32 v27, -v20, v47, v27
	ds_read2_b32 v[32:33], v32 offset1:1
	ds_read2_b32 v[46:47], v36 offset1:1
	;; [unrolled: 1-line block ×4, first 2 shown]
	ds_read_b128 v[36:39], v112 offset:64
	ds_read_b128 v[48:51], v112 offset:80
	s_waitcnt lgkmcnt(10)
	v_mul_f32_e32 v26, v102, v26
	s_waitcnt lgkmcnt(5)
	v_fma_f32 v27, -v21, v32, v27
	v_fma_f32 v27, -v22, v57, v27
	s_waitcnt lgkmcnt(1)
	v_mul_f32_e32 v32, v12, v36
	s_waitcnt vmcnt(0)
	v_fma_f32 v8, v8, s16, -v32
	v_fma_f32 v8, -v13, v79, v8
	v_fma_f32 v8, -v14, v54, v8
	;; [unrolled: 1-line block ×7, first 2 shown]
	ds_read_b128 v[40:43], v112 offset:1600
	v_fma_f32 v8, -v20, v94, v8
	v_fma_f32 v8, -v21, v33, v8
	v_fma_f32 v27, -v23, v46, v27
	v_fma_f32 v8, -v22, v58, v8
	v_fma_f32 v27, -v24, v63, v27
	v_fma_f32 v8, -v23, v47, v8
	ds_read_b128 v[44:47], v112 offset:1616
	v_fma_f32 v27, -v25, v52, v27
	s_waitcnt lgkmcnt(1)
	v_fma_f32 v8, -v24, v40, v8
	v_fma_f32 v27, -v26, v103, v27
	;; [unrolled: 1-line block ×3, first 2 shown]
	ds_read2_b32 v[32:33], v112 offset0:49 offset1:50
	ds_read_b128 v[114:117], v112 offset:2112
	v_mul_f32_e32 v27, v76, v27
	v_fma_f32 v8, -v26, v104, v8
	v_fma_f32 v40, -v27, v77, v8
	v_mul_f32_e32 v8, v12, v37
	v_fma_f32 v8, v9, s16, -v8
	s_waitcnt lgkmcnt(1)
	v_fma_f32 v8, -v13, v32, v8
	v_fma_f32 v8, -v14, v55, v8
	;; [unrolled: 1-line block ×7, first 2 shown]
	v_mov_b32_e32 v8, 0x4c4
	ds_read2_b32 v[36:37], v112 offset0:51 offset1:52
	ds_read2_b32 v[78:79], v112 offset0:53 offset1:54
	;; [unrolled: 1-line block ×3, first 2 shown]
	ds_read2_b32 v[8:9], v8 offset1:1
	v_mov_b32_e32 v34, 0x5c4
	ds_read2_b32 v[34:35], v34 offset1:1
	ds_read_b64 v[76:77], v112 offset:1912
	v_mov_b32_e32 v54, 0x6c4
	v_fma_f32 v32, -v20, v95, v32
	ds_read2_b32 v[62:63], v54 offset1:1
	s_waitcnt lgkmcnt(3)
	v_fma_f32 v8, -v21, v8, v32
	v_fma_f32 v8, -v22, v59, v8
	v_mov_b32_e32 v32, 0x7c4
	ds_read2_b32 v[80:81], v32 offset1:1
	s_waitcnt lgkmcnt(3)
	v_fma_f32 v8, -v23, v34, v8
	v_fma_f32 v8, -v24, v41, v8
	ds_read2_b64 v[54:57], v112 offset0:41 offset1:42
	s_waitcnt lgkmcnt(2)
	v_fma_f32 v8, -v25, v62, v8
	v_fma_f32 v32, -v26, v105, v8
	v_mul_f32_e32 v8, v12, v38
	v_fma_f32 v8, v10, s16, -v8
	v_fma_f32 v8, -v13, v33, v8
	s_waitcnt lgkmcnt(0)
	v_fma_f32 v8, -v14, v54, v8
	v_fma_f32 v8, -v15, v111, v8
	;; [unrolled: 1-line block ×7, first 2 shown]
	v_mul_f32_e32 v8, v114, v40
	v_fma_f32 v32, -v27, v80, v32
	v_fma_f32 v9, -v21, v9, v10
	;; [unrolled: 1-line block ×3, first 2 shown]
	v_mov_b32_e32 v32, 0x8c4
	v_fma_f32 v9, -v22, v98, v9
	ds_read2_b32 v[32:33], v32 offset1:1
	v_fma_f32 v10, -v23, v35, v9
	v_fma_f32 v10, -v24, v42, v10
	v_fma_f32 v10, -v25, v63, v10
	v_fma_f32 v10, -v26, v106, v10
	v_mov_b32_e32 v35, 0x948
	ds_read2_b64 v[102:105], v35 offset1:1
	v_fma_f32 v10, -v27, v81, v10
	s_waitcnt lgkmcnt(1)
	v_mul_f32_e32 v9, v32, v34
	v_fma_f32 v10, -v8, v116, v10
	v_mul_f32_e32 v32, v12, v39
	ds_read2_b64 v[58:61], v112 offset0:43 offset1:44
	v_fma_f32 v10, -v9, v33, v10
	v_fma_f32 v11, v11, s16, -v32
	ds_read2_b32 v[32:33], v112 offset0:115 offset1:116
	v_fma_f32 v11, -v13, v36, v11
	v_fma_f32 v11, -v14, v55, v11
	ds_read2_b32 v[86:87], v112 offset0:117 offset1:118
	ds_read2_b32 v[80:81], v112 offset0:119 offset1:120
	;; [unrolled: 1-line block ×3, first 2 shown]
	v_mov_b32_e32 v34, 0x5cc
	s_waitcnt lgkmcnt(3)
	v_fma_f32 v11, -v15, v32, v11
	v_mov_b32_e32 v32, 0x4cc
	v_fma_f32 v11, -v16, v93, v11
	ds_read2_b32 v[38:39], v32 offset1:1
	v_fma_f32 v11, -v17, v120, v11
	v_fma_f32 v11, -v18, v83, v11
	;; [unrolled: 1-line block ×4, first 2 shown]
	v_mov_b32_e32 v35, 0x6cc
	v_mov_b32_e32 v32, 0x7cc
	ds_read2_b32 v[40:41], v34 offset1:1
	ds_read2_b32 v[54:55], v35 offset1:1
	;; [unrolled: 1-line block ×3, first 2 shown]
	s_waitcnt lgkmcnt(3)
	v_fma_f32 v11, -v21, v38, v11
	v_fma_f32 v11, -v22, v99, v11
	s_waitcnt lgkmcnt(2)
	v_fma_f32 v11, -v23, v40, v11
	v_fma_f32 v11, -v24, v43, v11
	v_mov_b32_e32 v32, 0x8cc
	s_waitcnt lgkmcnt(1)
	v_fma_f32 v11, -v25, v54, v11
	v_mov_b32_e32 v34, 0x9cc
	ds_read2_b32 v[98:99], v32 offset1:1
	v_mov_b32_e32 v32, 0x5d4
	v_fma_f32 v11, -v26, v107, v11
	v_mov_b32_e32 v35, 0x4d4
	ds_read2_b32 v[106:107], v34 offset1:1
	ds_read2_b32 v[110:111], v35 offset1:1
	;; [unrolled: 1-line block ×3, first 2 shown]
	v_mul_f32_e32 v32, v12, v48
	ds_read_b128 v[90:93], v112 offset:592
	ds_read_b128 v[94:97], v112 offset:1104
	v_fma_f32 v0, v0, s16, -v32
	v_fma_f32 v0, -v13, v37, v0
	v_fma_f32 v0, -v14, v56, v0
	;; [unrolled: 1-line block ×3, first 2 shown]
	s_waitcnt lgkmcnt(1)
	v_fma_f32 v0, -v16, v90, v0
	v_fma_f32 v0, -v17, v121, v0
	v_fma_f32 v0, -v18, v84, v0
	v_fma_f32 v0, -v19, v119, v0
	s_waitcnt lgkmcnt(0)
	v_fma_f32 v0, -v20, v94, v0
	v_fma_f32 v0, -v21, v39, v0
	;; [unrolled: 1-line block ×3, first 2 shown]
	v_mul_f32_e32 v40, v12, v49
	v_fma_f32 v0, -v23, v41, v0
	v_fma_f32 v1, v1, s16, -v40
	v_fma_f32 v0, -v24, v44, v0
	v_fma_f32 v1, -v13, v78, v1
	;; [unrolled: 1-line block ×4, first 2 shown]
	global_load_dwordx4 v[54:57], v[72:73], off offset:96
	v_fma_f32 v0, -v26, v108, v0
	v_fma_f32 v44, -v27, v83, v0
	;; [unrolled: 1-line block ×6, first 2 shown]
	ds_read_b128 v[36:39], v112 offset:1120
	ds_read_b128 v[114:117], v112 offset:2128
	v_fma_f32 v40, -v17, v64, v0
	ds_read2_b32 v[0:1], v112 offset0:245 offset1:246
	v_fma_f32 v48, -v18, v85, v40
	ds_read_b128 v[40:43], v112 offset:2144
	s_waitcnt lgkmcnt(2)
	v_fma_f32 v44, -v8, v114, v44
	v_mul_f32_e32 v10, v102, v10
	s_waitcnt lgkmcnt(1)
	v_fma_f32 v0, -v19, v0, v48
	v_fma_f32 v11, -v9, v98, v11
	;; [unrolled: 1-line block ×7, first 2 shown]
	v_mov_b32_e32 v44, 0x6d4
	v_mul_f32_e32 v11, v106, v11
	v_fma_f32 v0, -v22, v101, v0
	ds_read2_b32 v[48:49], v44 offset1:1
	v_mov_b32_e32 v78, 0x8d4
	ds_read2_b32 v[90:91], v78 offset1:1
	v_fma_f32 v0, -v23, v122, v0
	v_fma_f32 v89, -v11, v107, v64
	ds_read2_b32 v[106:107], v112 offset0:249 offset1:250
	v_mov_b32_e32 v44, 0x7d4
	v_fma_f32 v0, -v24, v45, v0
	ds_read2_b32 v[44:45], v44 offset1:1
	ds_read2_b64 v[82:85], v112 offset0:107 offset1:108
	s_waitcnt lgkmcnt(4)
	v_fma_f32 v0, -v25, v48, v0
	v_fma_f32 v0, -v26, v109, v0
	ds_read2_b64 v[98:101], v112 offset0:171 offset1:172
	s_waitcnt lgkmcnt(2)
	v_fma_f32 v0, -v27, v44, v0
	v_fma_f32 v0, -v8, v115, v0
	;; [unrolled: 1-line block ×4, first 2 shown]
	ds_read2_b64 v[102:105], v112 offset0:235 offset1:236
	v_mul_f32_e32 v0, v12, v50
	v_fma_f32 v0, v2, s16, -v0
	v_fma_f32 v0, -v13, v79, v0
	v_fma_f32 v0, -v14, v58, v0
	v_fma_f32 v0, -v15, v87, v0
	v_fma_f32 v0, -v16, v92, v0
	v_fma_f32 v0, -v17, v65, v0
	s_waitcnt lgkmcnt(2)
	v_fma_f32 v0, -v18, v82, v0
	v_fma_f32 v0, -v19, v1, v0
	v_fma_f32 v0, -v20, v96, v0
	v_fma_f32 v0, -v21, v111, v0
	s_waitcnt lgkmcnt(1)
	v_fma_f32 v0, -v22, v98, v0
	v_fma_f32 v0, -v23, v123, v0
	v_fma_f32 v0, -v24, v46, v0
	v_fma_f32 v0, -v25, v49, v0
	;; [unrolled: 5-line block ×3, first 2 shown]
	v_mul_f32_e32 v0, v12, v51
	ds_read2_b32 v[78:79], v112 offset0:251 offset1:252
	ds_read2_b32 v[50:51], v112 offset0:183 offset1:184
	v_fma_f32 v0, v3, s16, -v0
	v_fma_f32 v0, -v13, v52, v0
	ds_read2_b32 v[94:95], v112 offset0:247 offset1:248
	v_mov_b32_e32 v1, 0x9d4
	v_fma_f32 v0, -v14, v59, v0
	ds_read_b128 v[32:35], v112 offset:608
	ds_read2_b32 v[48:49], v1 offset1:1
	v_fma_f32 v0, -v15, v80, v0
	v_mov_b32_e32 v1, 0x4dc
	v_fma_f32 v0, -v16, v93, v0
	ds_read2_b32 v[58:59], v1 offset1:1
	s_waitcnt lgkmcnt(4)
	v_fma_f32 v0, -v17, v50, v0
	v_mov_b32_e32 v1, 0x5dc
	v_fma_f32 v0, -v18, v83, v0
	ds_read2_b32 v[64:65], v1 offset1:1
	s_waitcnt lgkmcnt(4)
	v_fma_f32 v0, -v19, v94, v0
	v_fma_f32 v0, -v20, v97, v0
	s_waitcnt lgkmcnt(1)
	v_fma_f32 v0, -v21, v58, v0
	v_mov_b32_e32 v2, 0x6dc
	v_fma_f32 v0, -v22, v99, v0
	v_mov_b32_e32 v3, 0x7dc
	v_mov_b32_e32 v1, 0x8dc
	ds_read2_b32 v[86:87], v2 offset1:1
	ds_read2_b32 v[96:97], v3 offset1:1
	;; [unrolled: 1-line block ×3, first 2 shown]
	s_waitcnt lgkmcnt(3)
	v_fma_f32 v0, -v23, v64, v0
	v_fma_f32 v44, -v24, v47, v0
	v_mov_b32_e32 v0, 0x958
	s_waitcnt lgkmcnt(2)
	v_fma_f32 v44, -v25, v86, v44
	ds_read2_b64 v[0:3], v0 offset1:1
	v_fma_f32 v44, -v26, v103, v44
	s_waitcnt lgkmcnt(2)
	v_fma_f32 v50, -v27, v96, v44
	ds_read_b128 v[44:47], v112 offset:2640
	v_fma_f32 v48, -v11, v48, v90
	ds_read_b128 v[90:93], v112 offset:96
	s_waitcnt lgkmcnt(2)
	v_fma_f32 v0, -v10, v0, v82
	v_fma_f32 v49, -v11, v49, v0
	s_waitcnt lgkmcnt(1)
	v_mul_f32_e32 v0, v44, v89
	v_mov_b32_e32 v44, 0x9dc
	ds_read2_b32 v[102:103], v44 offset1:1
	ds_read2_b32 v[108:109], v112 offset0:57 offset1:58
	v_fma_f32 v50, -v8, v117, v50
	v_fma_f32 v44, -v9, v98, v50
	;; [unrolled: 1-line block ×3, first 2 shown]
	s_waitcnt lgkmcnt(1)
	v_fma_f32 v1, -v11, v102, v1
	v_fma_f32 v89, -v0, v47, v1
	v_mul_f32_e32 v1, v12, v90
	s_waitcnt vmcnt(0)
	v_fma_f32 v1, v54, s16, -v1
	v_mul_f32_e32 v44, v12, v91
	v_fma_f32 v1, -v13, v53, v1
	v_fma_f32 v44, v55, s16, -v44
	v_fma_f32 v1, -v14, v60, v1
	s_waitcnt lgkmcnt(0)
	v_fma_f32 v44, -v13, v108, v44
	ds_read2_b64 v[52:55], v112 offset0:109 offset1:110
	ds_read2_b32 v[90:91], v112 offset0:185 offset1:186
	v_fma_f32 v58, -v0, v45, v48
	v_fma_f32 v48, -v14, v61, v44
	;; [unrolled: 1-line block ×6, first 2 shown]
	v_mov_b32_e32 v33, 0x4e4
	v_fma_f32 v64, -v0, v46, v49
	ds_read2_b64 v[44:47], v112 offset0:173 offset1:174
	ds_read2_b32 v[110:111], v33 offset1:1
	v_fma_f32 v1, -v17, v51, v1
	s_waitcnt lgkmcnt(2)
	v_fma_f32 v32, -v17, v90, v32
	v_fma_f32 v1, -v18, v84, v1
	v_fma_f32 v32, -v18, v85, v32
	v_fma_f32 v1, -v19, v95, v1
	v_fma_f32 v32, -v19, v106, v32
	v_mov_b32_e32 v33, 0x5e4
	v_fma_f32 v1, -v20, v36, v1
	v_fma_f32 v32, -v20, v37, v32
	ds_read_b128 v[80:83], v112 offset:1632
	ds_read2_b32 v[36:37], v33 offset1:1
	v_fma_f32 v1, -v21, v59, v1
	s_waitcnt lgkmcnt(2)
	v_fma_f32 v32, -v21, v110, v32
	v_mov_b32_e32 v33, 0x6e4
	v_fma_f32 v1, -v22, v100, v1
	v_fma_f32 v32, -v22, v101, v32
	ds_read2_b64 v[48:51], v112 offset0:237 offset1:238
	ds_read2_b32 v[100:101], v33 offset1:1
	v_fma_f32 v1, -v23, v65, v1
	s_waitcnt lgkmcnt(3)
	v_fma_f32 v1, -v24, v80, v1
	s_waitcnt lgkmcnt(2)
	v_fma_f32 v32, -v23, v36, v32
	v_fma_f32 v1, -v25, v87, v1
	;; [unrolled: 1-line block ×4, first 2 shown]
	s_waitcnt lgkmcnt(0)
	v_fma_f32 v32, -v25, v100, v32
	v_mov_b32_e32 v33, 0x7e4
	v_fma_f32 v32, -v26, v105, v32
	ds_read_b128 v[84:87], v112 offset:2656
	v_mov_b32_e32 v36, 0x8e4
	v_fma_f32 v1, -v27, v97, v1
	ds_read2_b32 v[80:81], v33 offset1:1
	ds_read2_b32 v[104:105], v36 offset1:1
	v_fma_f32 v1, -v8, v40, v1
	v_fma_f32 v1, -v9, v99, v1
	v_fma_f32 v36, -v10, v2, v1
	v_mov_b32_e32 v2, 0xad4
	s_waitcnt lgkmcnt(1)
	v_fma_f32 v1, -v27, v80, v32
	ds_read2_b32 v[32:33], v2 offset1:1
	v_fma_f32 v1, -v8, v41, v1
	s_waitcnt lgkmcnt(1)
	v_fma_f32 v1, -v9, v104, v1
	v_fma_f32 v62, -v10, v3, v1
	v_mov_b32_e32 v1, 0xadc
	ds_read2_b32 v[2:3], v1 offset1:1
	s_waitcnt lgkmcnt(1)
	v_mul_f32_e32 v1, v32, v58
	v_mov_b32_e32 v32, 0xb58
	v_mov_b32_e32 v40, 0xbdc
	v_fma_f32 v41, -v1, v33, v64
	ds_read2_b64 v[58:61], v32 offset1:1
	ds_read2_b32 v[32:33], v40 offset1:1
	v_fma_f32 v36, -v11, v103, v36
	s_waitcnt lgkmcnt(2)
	v_fma_f32 v64, -v1, v2, v89
	v_fma_f32 v2, -v0, v84, v36
	v_mov_b32_e32 v36, 0x9e4
	v_fma_f32 v3, -v1, v3, v2
	s_waitcnt lgkmcnt(1)
	v_mul_f32_e32 v2, v58, v41
	ds_read2_b32 v[40:41], v36 offset1:1
	ds_read_b32 v113, v112 offset:252
	v_mov_b32_e32 v36, 0xae4
	ds_read2_b32 v[102:103], v36 offset1:1
	ds_read2_b64 v[94:97], v112 offset0:45 offset1:46
	v_fma_f32 v58, -v2, v60, v3
	s_waitcnt lgkmcnt(3)
	v_fma_f32 v3, -v11, v40, v62
	v_fma_f32 v3, -v0, v85, v3
	;; [unrolled: 1-line block ×3, first 2 shown]
	s_waitcnt lgkmcnt(1)
	v_fma_f32 v3, -v1, v102, v3
	v_fma_f32 v40, -v2, v61, v3
	v_mul_f32_e32 v3, v32, v36
	v_fma_f32 v89, -v3, v33, v58
	global_load_dwordx4 v[58:61], v[72:73], off offset:112
	v_mul_f32_e32 v32, v12, v92
	v_fma_f32 v32, v56, s16, -v32
	v_fma_f32 v36, -v13, v109, v32
	s_waitcnt lgkmcnt(0)
	v_fma_f32 v36, -v14, v94, v36
	v_fma_f32 v36, -v15, v63, v36
	v_fma_f32 v34, -v16, v34, v36
	v_fma_f32 v34, -v17, v91, v34
	v_fma_f32 v34, -v18, v52, v34
	v_fma_f32 v34, -v19, v107, v34
	v_fma_f32 v34, -v20, v38, v34
	v_fma_f32 v34, -v21, v111, v34
	v_fma_f32 v34, -v22, v44, v34
	v_fma_f32 v34, -v23, v37, v34
	v_fma_f32 v34, -v24, v82, v34
	v_fma_f32 v34, -v25, v101, v34
	v_fma_f32 v34, -v26, v48, v34
	v_mov_b32_e32 v36, 0xbe4
	v_fma_f32 v34, -v27, v81, v34
	ds_read_b128 v[62:65], v112 offset:112
	ds_read2_b32 v[80:81], v36 offset1:1
	v_fma_f32 v34, -v8, v42, v34
	v_mov_b32_e32 v36, 0x968
	ds_read2_b32 v[84:85], v112 offset0:187 offset1:188
	ds_read2_b32 v[32:33], v112 offset0:189 offset1:190
	;; [unrolled: 1-line block ×3, first 2 shown]
	v_mov_b32_e32 v37, 0xce4
	v_fma_f32 v34, -v9, v105, v34
	v_mul_f32_e32 v38, v12, v93
	ds_read2_b64 v[90:93], v36 offset1:1
	ds_read2_b32 v[104:105], v37 offset1:1
	v_fma_f32 v36, v57, s16, -v38
	ds_read2_b32 v[56:57], v112 offset0:123 offset1:124
	v_mov_b32_e32 v37, 0xb68
	s_waitcnt lgkmcnt(2)
	v_fma_f32 v34, -v10, v90, v34
	v_fma_f32 v34, -v11, v41, v34
	;; [unrolled: 1-line block ×6, first 2 shown]
	s_waitcnt lgkmcnt(0)
	v_fma_f32 v34, -v15, v56, v34
	v_fma_f32 v34, -v16, v35, v34
	v_mov_b32_e32 v35, 0x4ec
	ds_read2_b64 v[98:101], v37 offset1:1
	ds_read2_b32 v[94:95], v35 offset1:1
	v_fma_f32 v34, -v17, v84, v34
	v_mov_b32_e32 v35, 0x5ec
	v_fma_f32 v34, -v18, v53, v34
	ds_read2_b32 v[52:53], v35 offset1:1
	v_fma_f32 v34, -v19, v78, v34
	v_fma_f32 v34, -v20, v39, v34
	s_waitcnt lgkmcnt(1)
	v_fma_f32 v34, -v21, v94, v34
	v_mov_b32_e32 v36, 0x6ec
	v_fma_f32 v34, -v22, v45, v34
	v_mov_b32_e32 v37, 0x7ec
	v_mov_b32_e32 v35, 0x8ec
	ds_read2_b32 v[102:103], v36 offset1:1
	ds_read2_b32 v[108:109], v37 offset1:1
	;; [unrolled: 1-line block ×3, first 2 shown]
	s_waitcnt lgkmcnt(3)
	v_fma_f32 v34, -v23, v52, v34
	v_fma_f32 v34, -v24, v83, v34
	s_waitcnt lgkmcnt(2)
	v_fma_f32 v34, -v25, v102, v34
	v_mov_b32_e32 v35, 0x9ec
	v_fma_f32 v34, -v26, v49, v34
	ds_read2_b32 v[48:49], v35 offset1:1
	s_waitcnt lgkmcnt(2)
	v_fma_f32 v34, -v27, v108, v34
	v_fma_f32 v34, -v8, v43, v34
	s_waitcnt lgkmcnt(1)
	v_fma_f32 v34, -v9, v110, v34
	v_fma_f32 v34, -v10, v91, v34
	v_mov_b32_e32 v35, 0xaec
	s_waitcnt lgkmcnt(0)
	v_fma_f32 v34, -v11, v48, v34
	v_mov_b32_e32 v39, 0xbec
	ds_read2_b32 v[90:91], v35 offset1:1
	v_fma_f32 v41, -v0, v87, v34
	ds_read_b128 v[34:37], v112 offset:3168
	ds_read2_b32 v[86:87], v39 offset1:1
	v_mul_f32_e32 v42, v12, v62
	v_fma_f32 v38, -v2, v98, v38
	v_fma_f32 v38, -v3, v81, v38
	s_waitcnt lgkmcnt(1)
	v_mul_f32_e32 v34, v34, v89
	v_fma_f32 v36, -v34, v36, v38
	v_fma_f32 v38, -v1, v90, v41
	;; [unrolled: 1-line block ×4, first 2 shown]
	s_waitcnt vmcnt(0)
	v_fma_f32 v42, v58, s16, -v42
	v_fma_f32 v42, -v13, v107, v42
	v_fma_f32 v42, -v14, v96, v42
	;; [unrolled: 1-line block ×6, first 2 shown]
	s_waitcnt lgkmcnt(0)
	v_fma_f32 v38, -v3, v86, v38
	v_fma_f32 v4, -v18, v54, v4
	;; [unrolled: 1-line block ×3, first 2 shown]
	v_mul_f32_e32 v35, v104, v35
	ds_read_b128 v[38:41], v112 offset:1648
	v_fma_f32 v4, -v19, v79, v4
	ds_read_b128 v[78:81], v112 offset:2160
	v_mov_b32_e32 v48, 0xcec
	ds_read2_b32 v[98:99], v112 offset0:61 offset1:62
	v_fma_f32 v36, -v35, v105, v36
	ds_read_b64 v[104:105], v112 offset:376
	ds_read2_b32 v[106:107], v112 offset0:125 offset1:126
	ds_read2_b32 v[114:115], v48 offset1:1
	v_fma_f32 v4, -v20, v28, v4
	v_fma_f32 v4, -v21, v95, v4
	;; [unrolled: 1-line block ×4, first 2 shown]
	s_waitcnt lgkmcnt(5)
	v_fma_f32 v4, -v24, v38, v4
	v_mov_b32_e32 v43, 0xd68
	v_fma_f32 v4, -v25, v103, v4
	s_waitcnt lgkmcnt(0)
	v_fma_f32 v28, -v35, v114, v37
	v_mul_f32_e32 v37, v12, v63
	ds_read2_b64 v[42:45], v43 offset1:1
	v_fma_f32 v4, -v26, v50, v4
	v_fma_f32 v37, v59, s16, -v37
	v_fma_f32 v4, -v27, v109, v4
	v_fma_f32 v37, -v13, v98, v37
	ds_read_b128 v[56:59], v112 offset:2672
	v_fma_f32 v4, -v8, v78, v4
	v_fma_f32 v37, -v14, v97, v37
	;; [unrolled: 1-line block ×4, first 2 shown]
	v_mov_b32_e32 v38, 0xdec
	v_fma_f32 v4, -v10, v92, v4
	v_fma_f32 v5, -v16, v5, v37
	v_fma_f32 v4, -v11, v49, v4
	v_mov_b32_e32 v46, 0x4f4
	ds_read2_b32 v[48:49], v38 offset1:1
	s_waitcnt lgkmcnt(2)
	v_mul_f32_e32 v36, v42, v36
	v_fma_f32 v5, -v17, v32, v5
	ds_read_b128 v[82:85], v112 offset:3184
	ds_read_b64 v[52:53], v112 offset:2936
	v_fma_f32 v28, -v36, v43, v28
	ds_read_b64 v[42:43], v112 offset:2424
	s_waitcnt lgkmcnt(4)
	v_fma_f32 v4, -v0, v56, v4
	v_fma_f32 v5, -v18, v55, v5
	v_mov_b32_e32 v32, 0x5f4
	ds_read2_b32 v[54:55], v46 offset1:1
	ds_read2_b32 v[62:63], v32 offset1:1
	v_fma_f32 v4, -v1, v91, v4
	v_fma_f32 v4, -v2, v100, v4
	v_mov_b32_e32 v38, 0x6f4
	v_fma_f32 v5, -v19, v70, v5
	v_fma_f32 v4, -v3, v87, v4
	ds_read2_b32 v[86:87], v38 offset1:1
	ds_read_b64 v[90:91], v112 offset:3960
	v_fma_f32 v5, -v20, v29, v5
	s_waitcnt lgkmcnt(7)
	v_mul_f32_e32 v37, v48, v28
	global_store_dwordx4 v[72:73], v[12:15], off
	global_store_dwordx4 v[72:73], v[16:19], off offset:16
	global_store_dwordx4 v[72:73], v[20:23], off offset:32
	;; [unrolled: 1-line block ×6, first 2 shown]
	s_waitcnt lgkmcnt(3)
	v_fma_f32 v5, -v21, v54, v5
	v_mov_b32_e32 v28, 0x7f4
	v_fma_f32 v5, -v22, v47, v5
	ds_read2_b32 v[28:29], v28 offset1:1
	s_waitcnt lgkmcnt(3)
	v_fma_f32 v5, -v23, v62, v5
	v_fma_f32 v4, -v34, v82, v4
	;; [unrolled: 1-line block ×4, first 2 shown]
	s_waitcnt lgkmcnt(2)
	v_fma_f32 v5, -v25, v86, v5
	v_mov_b32_e32 v32, 0x8f4
	v_fma_f32 v4, -v36, v44, v4
	v_fma_f32 v5, -v26, v51, v5
	v_mov_b32_e32 v44, 0x9f4
	v_mov_b32_e32 v46, 0xaf4
	ds_read2_b32 v[38:39], v32 offset1:1
	ds_read2_b32 v[50:51], v44 offset1:1
	ds_read2_b32 v[94:95], v46 offset1:1
	s_waitcnt lgkmcnt(3)
	v_fma_f32 v5, -v27, v28, v5
	v_fma_f32 v5, -v8, v79, v5
	s_waitcnt lgkmcnt(2)
	v_fma_f32 v5, -v9, v38, v5
	v_fma_f32 v5, -v10, v93, v5
	s_waitcnt lgkmcnt(1)
	v_fma_f32 v5, -v11, v50, v5
	v_mov_b32_e32 v28, 0xbf4
	v_fma_f32 v5, -v0, v57, v5
	ds_read2_b32 v[56:57], v28 offset1:1
	s_waitcnt lgkmcnt(1)
	v_fma_f32 v5, -v1, v94, v5
	v_mov_b32_e32 v28, 0xcf4
	v_fma_f32 v4, -v37, v49, v4
	v_fma_f32 v5, -v2, v101, v5
	ds_read2_b32 v[78:79], v28 offset1:1
	ds_read_b128 v[46:49], v112 offset:3696
	ds_read_b64 v[92:93], v112 offset:3448
	s_waitcnt lgkmcnt(3)
	v_fma_f32 v5, -v3, v56, v5
	v_fma_f32 v5, -v34, v83, v5
	s_waitcnt lgkmcnt(2)
	v_fma_f32 v5, -v35, v78, v5
	v_mov_b32_e32 v28, 0xdf4
	v_mov_b32_e32 v32, 0xef4
	v_fma_f32 v5, -v36, v45, v5
	ds_read2_b32 v[44:45], v28 offset1:1
	ds_read2_b32 v[82:83], v32 offset1:1
	v_mul_f32_e32 v28, v12, v64
	v_fma_f32 v28, v60, s16, -v28
	v_fma_f32 v28, -v13, v99, v28
	v_fma_f32 v28, -v14, v104, v28
	v_fma_f32 v28, -v15, v107, v28
	v_fma_f32 v6, -v16, v6, v28
	v_fma_f32 v6, -v17, v33, v6
	v_fma_f32 v6, -v18, v68, v6
	v_fma_f32 v6, -v19, v71, v6
	v_fma_f32 v6, -v20, v30, v6
	v_fma_f32 v6, -v21, v55, v6
	v_fma_f32 v6, -v22, v66, v6
	v_fma_f32 v6, -v23, v63, v6
	v_fma_f32 v6, -v24, v40, v6
	v_fma_f32 v6, -v25, v87, v6
	v_fma_f32 v6, -v26, v76, v6
	v_fma_f32 v6, -v27, v29, v6
	ds_read2_b32 v[28:29], v112 offset0:127 offset1:191
	v_mul_f32_e32 v12, v12, v65
	v_fma_f32 v12, v61, s16, -v12
	v_fma_f32 v12, -v13, v113, v12
	v_fma_f32 v12, -v14, v105, v12
	s_waitcnt lgkmcnt(0)
	v_fma_f32 v12, -v15, v28, v12
	v_add_u32_e64 v30, s6, 0
	v_fma_f32 v7, -v16, v7, v12
	ds_read2st64_b32 v[12:13], v30 offset0:3 offset1:4
	v_fma_f32 v7, -v17, v29, v7
	v_fma_f32 v7, -v18, v69, v7
	ds_read2st64_b32 v[14:15], v30 offset0:5 offset1:6
	ds_read2st64_b32 v[16:17], v30 offset0:7 offset1:8
	ds_read2st64_b32 v[28:29], v30 offset0:9 offset1:10
	v_fma_f32 v6, -v8, v80, v6
	s_waitcnt lgkmcnt(3)
	v_fma_f32 v7, -v19, v12, v7
	v_fma_f32 v7, -v20, v31, v7
	v_fma_f32 v7, -v21, v13, v7
	v_fma_f32 v7, -v22, v67, v7
	s_waitcnt lgkmcnt(2)
	v_fma_f32 v7, -v23, v14, v7
	v_fma_f32 v7, -v24, v41, v7
	v_fma_f32 v7, -v25, v15, v7
	;; [unrolled: 5-line block ×3, first 2 shown]
	v_fma_f32 v6, -v10, v42, v6
	v_fma_f32 v7, -v9, v17, v7
	;; [unrolled: 1-line block ×4, first 2 shown]
	ds_read2st64_b32 v[8:9], v30 offset0:11 offset1:12
	v_fma_f32 v6, -v0, v58, v6
	s_waitcnt lgkmcnt(1)
	v_fma_f32 v7, -v11, v28, v7
	v_fma_f32 v6, -v1, v95, v6
	;; [unrolled: 1-line block ×7, first 2 shown]
	ds_read2st64_b32 v[0:1], v30 offset0:13 offset1:14
	v_fma_f32 v6, -v34, v84, v6
	s_waitcnt lgkmcnt(1)
	v_fma_f32 v2, -v3, v8, v2
	v_fma_f32 v6, -v35, v79, v6
	;; [unrolled: 1-line block ×3, first 2 shown]
	v_mul_f32_e32 v4, v46, v4
	v_fma_f32 v5, -v37, v44, v5
	v_fma_f32 v6, -v36, v92, v6
	;; [unrolled: 1-line block ×6, first 2 shown]
	v_mul_f32_e32 v5, v82, v5
	v_fma_f32 v6, -v4, v48, v6
	s_waitcnt lgkmcnt(0)
	v_fma_f32 v0, -v37, v0, v2
	v_fma_f32 v6, -v5, v83, v6
	;; [unrolled: 1-line block ×3, first 2 shown]
	v_mul_f32_e32 v6, v90, v6
	v_fma_f32 v0, -v5, v1, v0
	v_fma_f32 v0, -v6, v91, v0
	v_mul_f32_e32 v7, v88, v0
	s_mov_b32 s6, 32
	global_store_dwordx4 v[72:73], v[4:7], off offset:112
.LBB39_46:
	s_cmp_lt_i32 s6, s18
	s_cbranch_scc0 .LBB39_66
; %bb.47:
	s_or_b32 s7, s6, 27
	s_cmp_ge_u32 s7, s18
	s_cbranch_scc1 .LBB39_55
; %bb.48:
	s_lshl_b32 s11, s6, 2
	v_add_co_u32_e32 v52, vcc, s11, v72
	v_addc_co_u32_e32 v53, vcc, 0, v73, vcc
	global_load_dwordx4 v[0:3], v[52:53], off
	global_load_dwordx4 v[4:7], v[52:53], off offset:16
	global_load_dwordx4 v[8:11], v[52:53], off offset:32
	;; [unrolled: 1-line block ×6, first 2 shown]
	s_mov_b32 s10, 0
	s_andn2_b64 vcc, exec, s[8:9]
	s_waitcnt vmcnt(6)
	v_pk_mul_f32 v[20:21], v[0:1], s[16:17] op_sel_hi:[1,0]
	v_pk_mul_f32 v[22:23], v[2:3], s[16:17] op_sel_hi:[1,0]
	s_waitcnt vmcnt(5)
	v_pk_mul_f32 v[18:19], v[4:5], s[16:17] op_sel_hi:[1,0]
	v_pk_mul_f32 v[16:17], v[6:7], s[16:17] op_sel_hi:[1,0]
	;; [unrolled: 3-line block ×7, first 2 shown]
	s_cbranch_vccnz .LBB39_54
; %bb.49:
	s_max_u32 s8, s6, 1
	s_cmp_eq_u32 s8, 1
	s_cbranch_scc1 .LBB39_52
; %bb.50:
	s_and_b32 s10, s8, 32
	s_add_u32 s9, s2, s4
	s_addc_u32 s12, s3, s5
	s_add_u32 s9, s9, s0
	s_addc_u32 s12, s12, s1
	v_mov_b32_e32 v24, s12
	v_add_co_u32_e32 v25, vcc, s9, v74
	v_addc_co_u32_e32 v26, vcc, v24, v75, vcc
	v_add_co_u32_e32 v24, vcc, 4, v25
	v_addc_co_u32_e32 v25, vcc, 0, v26, vcc
	s_mov_b32 s9, 0
.LBB39_51:                              ; =>This Inner Loop Header: Depth=1
	global_load_dwordx2 v[50:51], v[24:25], off offset:-4
	v_mov_b32_e32 v70, s11
	ds_read_b128 v[26:29], v70
	ds_read_b128 v[30:33], v70 offset:16
	ds_read_b128 v[34:37], v70 offset:32
	ds_read_b128 v[38:41], v70 offset:48
	ds_read_b128 v[42:45], v70 offset:64
	ds_read_b128 v[46:49], v70 offset:80
	ds_read_b128 v[58:61], v70 offset:96
	ds_read_b128 v[62:65], v70 offset:128
	ds_read_b128 v[66:69], v70 offset:144
	ds_read_b128 v[76:79], v70 offset:160
	ds_read_b128 v[80:83], v70 offset:176
	ds_read_b128 v[84:87], v70 offset:192
	ds_read_b128 v[88:91], v70 offset:208
	ds_read_b128 v[92:95], v70 offset:224
	s_add_i32 s9, s9, 2
	s_addk_i32 s11, 0x100
	v_add_co_u32_e32 v24, vcc, 8, v24
	v_addc_co_u32_e32 v25, vcc, 0, v25, vcc
	s_cmp_lg_u32 s10, s9
	s_waitcnt vmcnt(0) lgkmcnt(13)
	v_pk_fma_f32 v[20:21], v[50:51], v[26:27], v[20:21] op_sel_hi:[0,1,1] neg_lo:[1,0,0] neg_hi:[1,0,0]
	v_pk_fma_f32 v[22:23], v[50:51], v[28:29], v[22:23] op_sel_hi:[0,1,1] neg_lo:[1,0,0] neg_hi:[1,0,0]
	s_waitcnt lgkmcnt(12)
	v_pk_fma_f32 v[18:19], v[50:51], v[30:31], v[18:19] op_sel_hi:[0,1,1] neg_lo:[1,0,0] neg_hi:[1,0,0]
	v_pk_fma_f32 v[16:17], v[50:51], v[32:33], v[16:17] op_sel_hi:[0,1,1] neg_lo:[1,0,0] neg_hi:[1,0,0]
	s_waitcnt lgkmcnt(11)
	;; [unrolled: 3-line block ×7, first 2 shown]
	v_pk_fma_f32 v[20:21], v[50:51], v[62:63], v[20:21] op_sel:[1,0,0] neg_lo:[1,0,0] neg_hi:[1,0,0]
	v_pk_fma_f32 v[22:23], v[50:51], v[64:65], v[22:23] op_sel:[1,0,0] neg_lo:[1,0,0] neg_hi:[1,0,0]
	s_waitcnt lgkmcnt(5)
	v_pk_fma_f32 v[18:19], v[50:51], v[66:67], v[18:19] op_sel:[1,0,0] neg_lo:[1,0,0] neg_hi:[1,0,0]
	v_pk_fma_f32 v[16:17], v[50:51], v[68:69], v[16:17] op_sel:[1,0,0] neg_lo:[1,0,0] neg_hi:[1,0,0]
	s_waitcnt lgkmcnt(4)
	;; [unrolled: 3-line block ×6, first 2 shown]
	v_pk_fma_f32 v[56:57], v[50:51], v[92:93], v[26:27] op_sel:[1,0,0] neg_lo:[1,0,0] neg_hi:[1,0,0]
	v_pk_fma_f32 v[54:55], v[50:51], v[94:95], v[28:29] op_sel:[1,0,0] neg_lo:[1,0,0] neg_hi:[1,0,0]
	s_cbranch_scc1 .LBB39_51
.LBB39_52:
	s_bitcmp0_b32 s8, 0
	s_cbranch_scc1 .LBB39_54
; %bb.53:
	s_lshl_b32 s8, s10, 2
	v_add_co_u32_e32 v24, vcc, s8, v72
	v_addc_co_u32_e32 v25, vcc, 0, v73, vcc
	global_load_dword v58, v[24:25], off
	s_lshl_b32 s8, s10, 5
	s_add_i32 s8, s8, s6
	s_lshl_b32 s8, s8, 2
	v_mov_b32_e32 v48, s8
	ds_read_b128 v[24:27], v48
	ds_read_b128 v[28:31], v48 offset:16
	ds_read_b128 v[32:35], v48 offset:32
	;; [unrolled: 1-line block ×6, first 2 shown]
	s_waitcnt vmcnt(0) lgkmcnt(6)
	v_pk_fma_f32 v[20:21], v[58:59], v[24:25], v[20:21] op_sel_hi:[0,1,1] neg_lo:[1,0,0] neg_hi:[1,0,0]
	v_pk_fma_f32 v[22:23], v[58:59], v[26:27], v[22:23] op_sel_hi:[0,1,1] neg_lo:[1,0,0] neg_hi:[1,0,0]
	s_waitcnt lgkmcnt(5)
	v_pk_fma_f32 v[18:19], v[58:59], v[28:29], v[18:19] op_sel_hi:[0,1,1] neg_lo:[1,0,0] neg_hi:[1,0,0]
	v_pk_fma_f32 v[16:17], v[58:59], v[30:31], v[16:17] op_sel_hi:[0,1,1] neg_lo:[1,0,0] neg_hi:[1,0,0]
	s_waitcnt lgkmcnt(4)
	v_pk_fma_f32 v[0:1], v[58:59], v[32:33], v[0:1] op_sel_hi:[0,1,1] neg_lo:[1,0,0] neg_hi:[1,0,0]
	v_pk_fma_f32 v[2:3], v[58:59], v[34:35], v[2:3] op_sel_hi:[0,1,1] neg_lo:[1,0,0] neg_hi:[1,0,0]
	s_waitcnt lgkmcnt(3)
	v_pk_fma_f32 v[4:5], v[58:59], v[36:37], v[4:5] op_sel_hi:[0,1,1] neg_lo:[1,0,0] neg_hi:[1,0,0]
	v_pk_fma_f32 v[6:7], v[58:59], v[38:39], v[6:7] op_sel_hi:[0,1,1] neg_lo:[1,0,0] neg_hi:[1,0,0]
	s_waitcnt lgkmcnt(2)
	v_pk_fma_f32 v[14:15], v[58:59], v[40:41], v[14:15] op_sel_hi:[0,1,1] neg_lo:[1,0,0] neg_hi:[1,0,0]
	v_pk_fma_f32 v[12:13], v[58:59], v[42:43], v[12:13] op_sel_hi:[0,1,1] neg_lo:[1,0,0] neg_hi:[1,0,0]
	s_waitcnt lgkmcnt(1)
	v_pk_fma_f32 v[8:9], v[58:59], v[44:45], v[8:9] op_sel_hi:[0,1,1] neg_lo:[1,0,0] neg_hi:[1,0,0]
	v_pk_fma_f32 v[10:11], v[58:59], v[46:47], v[10:11] op_sel_hi:[0,1,1] neg_lo:[1,0,0] neg_hi:[1,0,0]
	s_waitcnt lgkmcnt(0)
	v_pk_fma_f32 v[56:57], v[58:59], v[48:49], v[56:57] op_sel_hi:[0,1,1] neg_lo:[1,0,0] neg_hi:[1,0,0]
	v_pk_fma_f32 v[54:55], v[58:59], v[50:51], v[54:55] op_sel_hi:[0,1,1] neg_lo:[1,0,0] neg_hi:[1,0,0]
.LBB39_54:
	s_mul_i32 s9, s6, 0x84
	v_mov_b32_e32 v40, s9
	ds_read_b128 v[24:27], v40
	ds_read_b128 v[28:31], v40 offset:16
	s_lshl_b32 s9, s6, 5
	s_add_i32 s9, s6, s9
	s_lshl_b32 s9, s9, 2
	s_waitcnt lgkmcnt(1)
	v_mul_f32_e32 v20, v24, v20
	v_fma_f32 v21, -v20, v25, v21
	ds_read2_b32 v[24:25], v40 offset0:33 offset1:34
	ds_read2_b64 v[32:35], v40 offset0:33 offset1:34
	v_fma_f32 v22, -v20, v26, v22
	v_mov_b32_e32 v77, s9
	v_fma_f32 v23, -v20, v27, v23
	s_waitcnt lgkmcnt(1)
	v_mul_f32_e32 v21, v24, v21
	v_fma_f32 v22, -v21, v25, v22
	ds_read2_b32 v[24:25], v77 offset0:35 offset1:36
	ds_read2_b32 v[36:37], v40 offset0:165 offset1:166
	;; [unrolled: 1-line block ×3, first 2 shown]
	s_waitcnt lgkmcnt(3)
	v_mul_f32_e32 v22, v32, v22
	v_fma_f32 v18, -v20, v28, v18
	s_waitcnt lgkmcnt(2)
	v_fma_f32 v23, -v21, v24, v23
	v_fma_f32 v23, -v22, v33, v23
	;; [unrolled: 1-line block ×3, first 2 shown]
	s_waitcnt lgkmcnt(0)
	v_mul_f32_e32 v23, v26, v23
	v_fma_f32 v18, -v22, v34, v18
	v_fma_f32 v18, -v23, v27, v18
	ds_read_b128 v[24:27], v40 offset:528
	v_fma_f32 v28, -v20, v29, v19
	v_fma_f32 v16, -v20, v30, v16
	s_or_b32 s10, s6, 9
	s_add_i32 s11, s9, 0x424
	s_waitcnt lgkmcnt(0)
	v_mul_f32_e32 v24, v24, v18
	ds_read2_b32 v[18:19], v77 offset0:37 offset1:38
	s_add_i32 s13, s9, 0x42c
	s_add_i32 s14, s9, 0x434
	global_store_dwordx4 v[52:53], v[20:23], off
	s_or_b32 s8, s6, 28
	s_waitcnt lgkmcnt(0)
	v_fma_f32 v18, -v21, v18, v28
	ds_read2_b32 v[28:29], v77 offset0:101 offset1:102
	v_fma_f32 v18, -v22, v35, v18
	ds_read2_b64 v[32:35], v77 offset0:35 offset1:36
	v_fma_f32 v16, -v21, v19, v16
	ds_read2_b32 v[42:43], v77 offset0:201 offset1:202
	s_waitcnt lgkmcnt(2)
	v_fma_f32 v18, -v23, v28, v18
	v_fma_f32 v18, -v24, v25, v18
	v_mul_f32_e32 v25, v36, v18
	s_waitcnt lgkmcnt(1)
	v_fma_f32 v16, -v22, v32, v16
	ds_read2_b32 v[18:19], v40 offset0:198 offset1:231
	v_fma_f32 v16, -v23, v29, v16
	ds_read2_b32 v[28:29], v77 offset0:39 offset1:40
	v_fma_f32 v16, -v24, v26, v16
	v_fma_f32 v16, -v25, v37, v16
	s_waitcnt lgkmcnt(1)
	v_mul_f32_e32 v26, v18, v16
	v_fma_f32 v16, -v20, v31, v17
	ds_read2_b32 v[30:31], v77 offset0:103 offset1:104
	ds_read2_b32 v[36:37], v77 offset0:199 offset1:200
	s_waitcnt lgkmcnt(2)
	v_fma_f32 v16, -v21, v28, v16
	v_fma_f32 v16, -v22, v33, v16
	ds_read2_b32 v[32:33], v77 offset0:167 offset1:168
	s_waitcnt lgkmcnt(2)
	v_fma_f32 v16, -v23, v30, v16
	v_fma_f32 v16, -v24, v27, v16
	s_waitcnt lgkmcnt(0)
	v_fma_f32 v16, -v25, v32, v16
	v_fma_f32 v16, -v26, v36, v16
	v_mul_f32_e32 v27, v19, v16
	ds_read_b128 v[16:19], v40 offset:32
	global_store_dwordx4 v[52:53], v[24:27], off offset:16
	s_waitcnt lgkmcnt(0)
	v_fma_f32 v0, -v20, v16, v0
	v_fma_f32 v0, -v21, v29, v0
	;; [unrolled: 1-line block ×4, first 2 shown]
	ds_read_b128 v[28:31], v77 offset:544
	ds_read_b32 v16, v40 offset:1056
	v_fma_f32 v1, -v20, v17, v1
	ds_read2_b32 v[40:41], v77 offset0:105 offset1:106
	v_fma_f32 v2, -v20, v18, v2
	s_waitcnt lgkmcnt(2)
	v_fma_f32 v0, -v24, v28, v0
	v_fma_f32 v0, -v25, v33, v0
	;; [unrolled: 1-line block ×3, first 2 shown]
	ds_read_b128 v[36:39], v77 offset:928
	v_fma_f32 v3, -v20, v19, v3
	s_waitcnt lgkmcnt(0)
	v_fma_f32 v0, -v27, v36, v0
	v_mul_f32_e32 v0, v16, v0
	ds_read2_b32 v[16:17], v77 offset0:41 offset1:42
	s_waitcnt lgkmcnt(0)
	v_fma_f32 v1, -v21, v16, v1
	v_fma_f32 v1, -v22, v35, v1
	;; [unrolled: 1-line block ×4, first 2 shown]
	ds_read2_b32 v[28:29], v77 offset0:169 offset1:170
	ds_read2_b64 v[32:35], v77 offset0:37 offset1:38
	v_fma_f32 v2, -v21, v17, v2
	v_mov_b32_e32 v16, s11
	s_mul_i32 s11, s10, 0x84
	s_waitcnt lgkmcnt(1)
	v_fma_f32 v1, -v25, v28, v1
	s_waitcnt lgkmcnt(0)
	v_fma_f32 v2, -v22, v32, v2
	v_fma_f32 v2, -v23, v41, v2
	;; [unrolled: 1-line block ×4, first 2 shown]
	s_lshl_b32 s10, s10, 5
	v_fma_f32 v1, -v27, v37, v1
	ds_read2_b32 v[36:37], v16 offset1:1
	v_fma_f32 v2, -v25, v29, v2
	ds_read2_b32 v[28:29], v77 offset0:43 offset1:44
	s_add_i32 s10, s6, s10
	s_lshl_b32 s10, s10, 2
	v_mov_b32_e32 v79, s10
	ds_read2_b32 v[48:49], v79 offset0:11 offset1:12
	v_mov_b32_e32 v16, s11
	ds_read2_b32 v[44:45], v16 offset1:1
	s_or_b32 s11, s6, 10
	s_mul_i32 s12, s11, 0x84
	s_waitcnt lgkmcnt(2)
	v_fma_f32 v3, -v21, v28, v3
	v_fma_f32 v3, -v22, v33, v3
	ds_read2_b32 v[32:33], v77 offset0:107 offset1:108
	v_mov_b32_e32 v16, s12
	s_or_b32 s12, s6, 11
	v_fma_f32 v2, -v26, v43, v2
	s_lshl_b32 s10, s11, 5
	s_mul_i32 s11, s12, 0x84
	s_lshl_b32 s12, s12, 5
	v_fma_f32 v1, -v0, v36, v1
	v_fma_f32 v2, -v27, v38, v2
	s_add_i32 s12, s6, s12
	s_waitcnt lgkmcnt(1)
	v_mul_f32_e32 v1, v44, v1
	v_fma_f32 v2, -v0, v37, v2
	ds_read2_b32 v[36:37], v77 offset0:171 offset1:172
	s_lshl_b32 s12, s12, 2
	v_fma_f32 v2, -v1, v45, v2
	ds_read2_b32 v[44:45], v77 offset0:203 offset1:204
	v_mov_b32_e32 v70, s12
	ds_read2_b64 v[40:43], v16 offset1:1
	ds_read2_b32 v[58:59], v70 offset0:13 offset1:14
	v_mov_b32_e32 v16, s13
	s_waitcnt lgkmcnt(4)
	v_fma_f32 v3, -v23, v32, v3
	ds_read2_b32 v[46:47], v16 offset1:1
	ds_read2_b32 v[64:65], v70 offset0:17 offset1:18
	v_fma_f32 v3, -v24, v31, v3
	s_waitcnt lgkmcnt(5)
	v_fma_f32 v3, -v25, v36, v3
	s_waitcnt lgkmcnt(4)
	v_fma_f32 v3, -v26, v44, v3
	v_fma_f32 v3, -v27, v39, v3
	s_waitcnt lgkmcnt(1)
	v_fma_f32 v3, -v0, v46, v3
	v_mul_f32_e32 v2, v40, v2
	v_fma_f32 v3, -v1, v48, v3
	v_mov_b32_e32 v16, s11
	v_fma_f32 v3, -v2, v41, v3
	ds_read2_b32 v[40:41], v16 offset1:1
	ds_read2_b32 v[50:51], v79 offset0:13 offset1:14
	ds_read_b128 v[16:19], v77 offset:48
	ds_read2_b32 v[60:61], v79 offset0:15 offset1:16
	s_or_b32 s11, s6, 12
	s_add_i32 s10, s6, s10
	s_mul_i32 s13, s11, 0x84
	s_waitcnt lgkmcnt(1)
	v_fma_f32 v4, -v20, v16, v4
	v_fma_f32 v4, -v21, v29, v4
	ds_read_b128 v[28:31], v77 offset:560
	v_fma_f32 v4, -v22, v34, v4
	v_fma_f32 v4, -v23, v33, v4
	s_lshl_b32 s10, s10, 2
	v_mov_b32_e32 v16, s13
	s_waitcnt lgkmcnt(0)
	v_fma_f32 v4, -v24, v28, v4
	v_fma_f32 v4, -v25, v37, v4
	ds_read_b128 v[36:39], v77 offset:944
	s_or_b32 s13, s6, 13
	v_mov_b32_e32 v82, s10
	s_lshl_b32 s10, s13, 5
	v_fma_f32 v4, -v26, v45, v4
	s_add_i32 s10, s6, s10
	s_waitcnt lgkmcnt(0)
	v_fma_f32 v4, -v27, v36, v4
	s_lshl_b32 s10, s10, 2
	v_fma_f32 v4, -v0, v47, v4
	v_mov_b32_e32 v71, s10
	v_fma_f32 v4, -v1, v49, v4
	ds_read_b128 v[44:47], v16
	ds_read2_b32 v[62:63], v71 offset0:15 offset1:16
	v_fma_f32 v5, -v20, v17, v5
	ds_read2_b32 v[16:17], v77 offset0:45 offset1:46
	v_mul_f32_e32 v3, v40, v3
	v_fma_f32 v4, -v2, v42, v4
	v_fma_f32 v4, -v3, v41, v4
	ds_read2_b32 v[40:41], v77 offset0:109 offset1:110
	ds_read2_b32 v[48:49], v77 offset0:205 offset1:206
	s_waitcnt lgkmcnt(2)
	v_fma_f32 v5, -v21, v16, v5
	v_fma_f32 v5, -v22, v35, v5
	ds_read2_b64 v[32:35], v77 offset0:39 offset1:40
	s_waitcnt lgkmcnt(2)
	v_fma_f32 v5, -v23, v40, v5
	v_fma_f32 v5, -v24, v29, v5
	ds_read2_b32 v[28:29], v77 offset0:173 offset1:174
	v_mov_b32_e32 v16, s14
	v_fma_f32 v6, -v20, v18, v6
	v_fma_f32 v6, -v21, v17, v6
	s_waitcnt lgkmcnt(1)
	v_fma_f32 v6, -v22, v32, v6
	s_waitcnt lgkmcnt(0)
	v_fma_f32 v5, -v25, v28, v5
	v_fma_f32 v5, -v26, v48, v5
	;; [unrolled: 1-line block ×3, first 2 shown]
	ds_read2_b32 v[36:37], v16 offset1:1
	v_fma_f32 v6, -v23, v41, v6
	v_fma_f32 v6, -v24, v30, v6
	;; [unrolled: 1-line block ×3, first 2 shown]
	ds_read2_b32 v[28:29], v77 offset0:47 offset1:48
	s_waitcnt lgkmcnt(1)
	v_fma_f32 v5, -v0, v36, v5
	v_fma_f32 v5, -v1, v50, v5
	;; [unrolled: 1-line block ×3, first 2 shown]
	s_mul_i32 s12, s13, 0x84
	ds_read2_b64 v[40:43], v82 offset0:7 offset1:8
	v_mul_f32_e32 v4, v44, v4
	v_fma_f32 v5, -v3, v58, v5
	v_mov_b32_e32 v16, s12
	v_fma_f32 v6, -v26, v49, v6
	s_lshl_b32 s11, s11, 5
	v_fma_f32 v5, -v4, v45, v5
	ds_read2_b32 v[44:45], v16 offset1:1
	s_or_b32 s12, s6, 14
	v_fma_f32 v6, -v27, v38, v6
	v_fma_f32 v7, -v20, v19, v7
	s_add_i32 s11, s6, s11
	v_fma_f32 v6, -v0, v37, v6
	s_mul_i32 s13, s12, 0x84
	s_waitcnt lgkmcnt(2)
	v_fma_f32 v7, -v21, v28, v7
	s_lshl_b32 s11, s11, 2
	v_fma_f32 v6, -v1, v51, v6
	v_fma_f32 v7, -v22, v33, v7
	ds_read2_b32 v[32:33], v77 offset0:111 offset1:112
	v_mov_b32_e32 v16, s13
	s_or_b32 s13, s6, 15
	s_waitcnt lgkmcnt(2)
	v_fma_f32 v6, -v2, v40, v6
	v_mov_b32_e32 v100, s11
	s_lshl_b32 s11, s13, 5
	v_fma_f32 v6, -v3, v59, v6
	s_add_i32 s11, s6, s11
	s_waitcnt lgkmcnt(1)
	v_mul_f32_e32 v5, v44, v5
	v_fma_f32 v6, -v4, v46, v6
	ds_read2_b32 v[36:37], v77 offset0:175 offset1:176
	s_lshl_b32 s11, s11, 2
	v_fma_f32 v6, -v5, v45, v6
	ds_read2_b32 v[44:45], v77 offset0:207 offset1:208
	s_add_i32 s14, s9, 0x43c
	v_mov_b32_e32 v76, s11
	ds_read2_b64 v[48:51], v16 offset1:1
	ds_read2_b32 v[66:67], v76 offset0:17 offset1:18
	v_mov_b32_e32 v16, s14
	s_waitcnt lgkmcnt(4)
	v_fma_f32 v7, -v23, v32, v7
	ds_read2_b32 v[58:59], v16 offset1:1
	v_fma_f32 v7, -v24, v31, v7
	s_waitcnt lgkmcnt(4)
	v_fma_f32 v7, -v25, v36, v7
	s_waitcnt lgkmcnt(3)
	v_fma_f32 v7, -v26, v44, v7
	v_fma_f32 v7, -v27, v39, v7
	s_waitcnt lgkmcnt(0)
	v_fma_f32 v7, -v0, v58, v7
	v_fma_f32 v7, -v1, v60, v7
	;; [unrolled: 1-line block ×3, first 2 shown]
	ds_read2_b32 v[40:41], v70 offset0:15 offset1:16
	s_lshl_b32 s10, s12, 5
	s_add_i32 s10, s6, s10
	s_lshl_b32 s10, s10, 2
	s_mul_i32 s12, s13, 0x84
	s_waitcnt lgkmcnt(0)
	v_fma_f32 v7, -v3, v40, v7
	v_fma_f32 v7, -v4, v47, v7
	v_mul_f32_e32 v6, v48, v6
	v_fma_f32 v7, -v5, v62, v7
	v_mov_b32_e32 v16, s12
	v_mov_b32_e32 v83, s10
	v_fma_f32 v7, -v6, v49, v7
	ds_read2_b32 v[48:49], v16 offset1:1
	ds_read2_b64 v[88:91], v83 offset0:11 offset1:12
	ds_read_b128 v[16:19], v77 offset:64
	s_or_b32 s12, s6, 16
	s_mul_i32 s13, s12, 0x84
	s_waitcnt lgkmcnt(2)
	v_mul_f32_e32 v7, v48, v7
	s_add_i32 s14, s9, 0x444
	s_waitcnt lgkmcnt(0)
	v_fma_f32 v14, -v20, v16, v14
	v_fma_f32 v14, -v21, v29, v14
	ds_read_b128 v[28:31], v77 offset:576
	v_fma_f32 v14, -v22, v34, v14
	v_fma_f32 v14, -v23, v33, v14
	v_mov_b32_e32 v16, s13
	v_fma_f32 v17, -v20, v17, v15
	s_waitcnt lgkmcnt(0)
	v_fma_f32 v14, -v24, v28, v14
	v_fma_f32 v14, -v25, v37, v14
	ds_read_b128 v[36:39], v77 offset:960
	v_fma_f32 v14, -v26, v45, v14
	ds_read_b128 v[44:47], v100 offset:64
	v_fma_f32 v12, -v20, v18, v12
	s_or_b32 s13, s6, 17
	s_waitcnt lgkmcnt(1)
	v_fma_f32 v14, -v27, v36, v14
	v_fma_f32 v14, -v0, v59, v14
	;; [unrolled: 1-line block ×5, first 2 shown]
	ds_read_b128 v[58:61], v16
	ds_read2_b32 v[40:41], v77 offset0:113 offset1:114
	s_waitcnt lgkmcnt(2)
	v_fma_f32 v14, -v4, v44, v14
	v_fma_f32 v14, -v5, v63, v14
	;; [unrolled: 1-line block ×4, first 2 shown]
	s_waitcnt lgkmcnt(1)
	v_mul_f32_e32 v16, v58, v14
	ds_read2_b32 v[14:15], v77 offset0:49 offset1:50
	ds_read2_b32 v[48:49], v77 offset0:209 offset1:210
	;; [unrolled: 1-line block ×3, first 2 shown]
	s_lshl_b32 s11, s12, 5
	s_mul_i32 s12, s13, 0x84
	s_waitcnt lgkmcnt(2)
	v_fma_f32 v14, -v21, v14, v17
	v_fma_f32 v14, -v22, v35, v14
	;; [unrolled: 1-line block ×4, first 2 shown]
	ds_read2_b32 v[28:29], v77 offset0:177 offset1:178
	v_mov_b32_e32 v17, s14
	ds_read2_b64 v[32:35], v77 offset0:41 offset1:42
	v_fma_f32 v12, -v21, v15, v12
	s_lshl_b32 s10, s13, 5
	s_waitcnt lgkmcnt(1)
	v_fma_f32 v14, -v25, v28, v14
	v_fma_f32 v14, -v26, v48, v14
	;; [unrolled: 1-line block ×3, first 2 shown]
	ds_read2_b32 v[36:37], v17 offset1:1
	s_waitcnt lgkmcnt(1)
	v_fma_f32 v12, -v22, v32, v12
	v_fma_f32 v12, -v23, v41, v12
	v_fma_f32 v12, -v24, v30, v12
	v_fma_f32 v12, -v25, v29, v12
	s_waitcnt lgkmcnt(0)
	v_fma_f32 v14, -v0, v36, v14
	v_fma_f32 v14, -v1, v62, v14
	;; [unrolled: 1-line block ×5, first 2 shown]
	ds_read2_b32 v[44:45], v71 offset0:17 offset1:18
	ds_read2_b64 v[40:43], v82 offset0:9 offset1:10
	v_fma_f32 v12, -v26, v49, v12
	v_fma_f32 v12, -v27, v38, v12
	;; [unrolled: 1-line block ×3, first 2 shown]
	s_waitcnt lgkmcnt(1)
	v_fma_f32 v14, -v5, v44, v14
	v_fma_f32 v14, -v6, v51, v14
	v_fma_f32 v14, -v7, v66, v14
	v_mov_b32_e32 v17, s12
	v_fma_f32 v12, -v1, v63, v12
	ds_read2_b64 v[48:51], v83 offset0:9 offset1:10
	v_fma_f32 v14, -v16, v59, v14
	ds_read2_b32 v[58:59], v17 offset1:1
	ds_read2_b32 v[36:37], v77 offset0:179 offset1:180
	s_waitcnt lgkmcnt(3)
	v_fma_f32 v12, -v2, v40, v12
	v_fma_f32 v12, -v3, v65, v12
	;; [unrolled: 1-line block ×3, first 2 shown]
	s_or_b32 s12, s6, 18
	v_fma_f32 v12, -v5, v45, v12
	s_waitcnt lgkmcnt(2)
	v_fma_f32 v12, -v6, v48, v12
	s_mul_i32 s13, s12, 0x84
	v_fma_f32 v12, -v7, v67, v12
	ds_read2_b32 v[66:67], v79 offset0:19 offset1:20
	s_waitcnt lgkmcnt(2)
	v_mul_f32_e32 v17, v58, v14
	v_mov_b32_e32 v14, s13
	ds_read2_b64 v[62:65], v14 offset1:1
	ds_read2_b32 v[28:29], v77 offset0:51 offset1:52
	v_fma_f32 v12, -v16, v60, v12
	v_fma_f32 v12, -v17, v59, v12
	ds_read2_b32 v[44:45], v77 offset0:211 offset1:212
	s_waitcnt lgkmcnt(2)
	v_mul_f32_e32 v18, v62, v12
	v_fma_f32 v12, -v20, v19, v13
	s_waitcnt lgkmcnt(1)
	v_fma_f32 v12, -v21, v28, v12
	v_fma_f32 v12, -v22, v33, v12
	ds_read2_b32 v[32:33], v77 offset0:115 offset1:116
	s_add_i32 s14, s9, 0x44c
	v_mov_b32_e32 v13, s14
	ds_read2_b32 v[58:59], v13 offset1:1
	ds_read2_b32 v[68:69], v71 offset0:19 offset1:20
	s_waitcnt lgkmcnt(2)
	v_fma_f32 v12, -v23, v32, v12
	v_fma_f32 v12, -v24, v31, v12
	;; [unrolled: 1-line block ×5, first 2 shown]
	s_waitcnt lgkmcnt(1)
	v_fma_f32 v12, -v0, v58, v12
	v_fma_f32 v12, -v1, v66, v12
	;; [unrolled: 1-line block ×3, first 2 shown]
	ds_read2_b32 v[40:41], v70 offset0:19 offset1:20
	s_add_i32 s10, s6, s10
	s_lshl_b32 s10, s10, 2
	v_mov_b32_e32 v78, s10
	ds_read2_b32 v[80:81], v78 offset0:19 offset1:20
	s_waitcnt lgkmcnt(1)
	v_fma_f32 v12, -v3, v40, v12
	v_fma_f32 v12, -v4, v47, v12
	;; [unrolled: 1-line block ×4, first 2 shown]
	ds_read2_b32 v[48:49], v76 offset0:19 offset1:20
	s_or_b32 s13, s6, 19
	s_lshl_b32 s10, s12, 5
	s_mul_i32 s12, s13, 0x84
	v_mov_b32_e32 v13, s12
	s_waitcnt lgkmcnt(0)
	v_fma_f32 v12, -v7, v48, v12
	v_fma_f32 v12, -v16, v61, v12
	;; [unrolled: 1-line block ×4, first 2 shown]
	ds_read2_b32 v[62:63], v13 offset1:1
	ds_read2_b64 v[84:87], v82 offset0:11 offset1:12
	s_add_i32 s11, s6, s11
	s_lshl_b32 s11, s11, 2
	s_or_b32 s12, s6, 20
	s_waitcnt lgkmcnt(1)
	v_mul_f32_e32 v19, v62, v12
	ds_read_b128 v[12:15], v77 offset:80
	v_mov_b32_e32 v101, s11
	s_lshl_b32 s11, s13, 5
	s_mul_i32 s13, s12, 0x84
	s_add_i32 s14, s9, 0x454
	s_waitcnt lgkmcnt(0)
	v_fma_f32 v8, -v20, v12, v8
	v_fma_f32 v8, -v21, v29, v8
	ds_read_b128 v[28:31], v77 offset:592
	v_fma_f32 v8, -v22, v34, v8
	v_fma_f32 v8, -v23, v33, v8
	v_mov_b32_e32 v12, s13
	v_fma_f32 v9, -v20, v13, v9
	s_waitcnt lgkmcnt(0)
	v_fma_f32 v8, -v24, v28, v8
	v_fma_f32 v8, -v25, v37, v8
	ds_read_b128 v[36:39], v77 offset:976
	v_fma_f32 v8, -v26, v45, v8
	ds_read_b128 v[44:47], v100 offset:80
	ds_read2_b32 v[32:33], v77 offset0:117 offset1:118
	v_fma_f32 v10, -v20, v14, v10
	s_waitcnt lgkmcnt(2)
	v_fma_f32 v8, -v27, v36, v8
	v_fma_f32 v8, -v0, v59, v8
	;; [unrolled: 1-line block ×5, first 2 shown]
	ds_read2_b32 v[40:41], v79 offset0:21 offset1:22
	s_waitcnt lgkmcnt(2)
	v_fma_f32 v8, -v4, v44, v8
	v_fma_f32 v8, -v5, v69, v8
	v_fma_f32 v8, -v6, v50, v8
	v_fma_f32 v8, -v7, v49, v8
	ds_read_b128 v[66:69], v12
	ds_read2_b32 v[48:49], v76 offset0:21 offset1:22
	ds_read2_b32 v[12:13], v77 offset0:53 offset1:54
	v_fma_f32 v11, -v20, v15, v11
	ds_read2_b32 v[14:15], v77 offset0:119 offset1:120
	ds_read_b128 v[58:61], v101 offset:80
	s_add_i32 s11, s6, s11
	s_waitcnt lgkmcnt(2)
	v_fma_f32 v9, -v21, v12, v9
	v_fma_f32 v9, -v22, v35, v9
	;; [unrolled: 1-line block ×4, first 2 shown]
	ds_read2_b32 v[28:29], v77 offset0:181 offset1:182
	ds_read2_b32 v[34:35], v77 offset0:213 offset1:214
	v_mov_b32_e32 v12, s14
	s_lshl_b32 s11, s11, 2
	v_mov_b32_e32 v80, s11
	s_waitcnt lgkmcnt(1)
	v_fma_f32 v9, -v25, v28, v9
	s_waitcnt lgkmcnt(0)
	v_fma_f32 v9, -v26, v34, v9
	v_fma_f32 v9, -v27, v37, v9
	ds_read2_b32 v[36:37], v12 offset1:1
	v_fma_f32 v10, -v21, v13, v10
	s_add_i32 s10, s6, s10
	s_lshl_b32 s10, s10, 2
	s_or_b32 s13, s6, 21
	s_waitcnt lgkmcnt(0)
	v_fma_f32 v9, -v0, v36, v9
	v_fma_f32 v9, -v1, v40, v9
	;; [unrolled: 1-line block ×3, first 2 shown]
	ds_read2_b32 v[42:43], v70 offset0:21 offset1:22
	v_fma_f32 v8, -v16, v58, v8
	v_fma_f32 v8, -v17, v81, v8
	;; [unrolled: 1-line block ×4, first 2 shown]
	s_waitcnt lgkmcnt(0)
	v_fma_f32 v9, -v3, v42, v9
	v_fma_f32 v9, -v4, v45, v9
	ds_read2_b32 v[44:45], v71 offset0:21 offset1:22
	s_lshl_b32 s11, s12, 5
	s_mul_i32 s12, s13, 0x84
	v_mov_b32_e32 v12, s12
	s_or_b32 s12, s6, 22
	s_waitcnt lgkmcnt(0)
	v_fma_f32 v9, -v5, v44, v9
	v_fma_f32 v9, -v6, v51, v9
	ds_read2_b32 v[50:51], v78 offset0:21 offset1:22
	v_fma_f32 v9, -v7, v48, v9
	v_fma_f32 v9, -v16, v59, v9
	ds_read2_b32 v[58:59], v80 offset0:21 offset1:22
	v_mul_f32_e32 v8, v66, v8
	s_waitcnt lgkmcnt(1)
	v_fma_f32 v9, -v17, v50, v9
	v_fma_f32 v9, -v18, v65, v9
	ds_read2_b64 v[62:65], v77 offset0:43 offset1:44
	s_waitcnt lgkmcnt(1)
	v_fma_f32 v9, -v19, v58, v9
	v_fma_f32 v9, -v8, v67, v9
	ds_read2_b32 v[66:67], v12 offset1:1
	s_add_i32 s14, s9, 0x45c
	s_waitcnt lgkmcnt(1)
	v_fma_f32 v10, -v22, v62, v10
	v_fma_f32 v10, -v23, v33, v10
	;; [unrolled: 1-line block ×11, first 2 shown]
	v_mov_b32_e32 v84, s10
	v_fma_f32 v10, -v5, v45, v10
	ds_read2_b64 v[92:95], v84 offset0:11 offset1:12
	v_fma_f32 v10, -v6, v88, v10
	v_fma_f32 v10, -v7, v49, v10
	v_fma_f32 v10, -v16, v60, v10
	v_fma_f32 v10, -v17, v51, v10
	s_lshl_b32 s10, s13, 5
	s_mul_i32 s13, s12, 0x84
	s_waitcnt lgkmcnt(0)
	v_fma_f32 v10, -v18, v92, v10
	ds_read2_b32 v[28:29], v77 offset0:183 offset1:184
	ds_read2_b32 v[34:35], v79 offset0:23 offset1:24
	;; [unrolled: 1-line block ×3, first 2 shown]
	v_mov_b32_e32 v12, s13
	v_fma_f32 v10, -v19, v59, v10
	ds_read2_b64 v[96:99], v12 offset1:1
	ds_read2_b32 v[58:59], v71 offset0:23 offset1:24
	ds_read2_b32 v[12:13], v77 offset0:55 offset1:56
	ds_read_b128 v[40:43], v77 offset:992
	v_mul_f32_e32 v9, v66, v9
	v_fma_f32 v10, -v8, v68, v10
	v_fma_f32 v10, -v9, v67, v10
	s_waitcnt lgkmcnt(1)
	v_fma_f32 v11, -v21, v12, v11
	v_fma_f32 v11, -v22, v63, v11
	;; [unrolled: 1-line block ×4, first 2 shown]
	ds_read2_b32 v[30:31], v77 offset0:215 offset1:216
	ds_read2_b32 v[66:67], v80 offset0:23 offset1:24
	v_mov_b32_e32 v12, s14
	ds_read2_b32 v[32:33], v12 offset1:1
	ds_read2_b32 v[62:63], v76 offset0:23 offset1:24
	v_fma_f32 v11, -v25, v28, v11
	s_waitcnt lgkmcnt(3)
	v_fma_f32 v11, -v26, v30, v11
	v_fma_f32 v11, -v27, v39, v11
	s_waitcnt lgkmcnt(1)
	v_fma_f32 v11, -v0, v32, v11
	v_fma_f32 v11, -v1, v34, v11
	s_add_i32 s10, s6, s10
	v_fma_f32 v11, -v2, v85, v11
	s_lshl_b32 s10, s10, 2
	s_or_b32 s13, s6, 23
	v_fma_f32 v11, -v3, v36, v11
	v_fma_f32 v11, -v4, v47, v11
	v_mov_b32_e32 v81, s10
	s_lshl_b32 s10, s12, 5
	s_mul_i32 s12, s13, 0x84
	v_fma_f32 v11, -v5, v58, v11
	v_mov_b32_e32 v12, s12
	v_fma_f32 v11, -v6, v89, v11
	ds_read2_b32 v[88:89], v12 offset1:1
	ds_read_b128 v[48:51], v77 offset:96
	s_waitcnt lgkmcnt(2)
	v_fma_f32 v11, -v7, v62, v11
	v_fma_f32 v11, -v16, v61, v11
	ds_read2_b32 v[60:61], v78 offset0:23 offset1:24
	ds_read_b128 v[44:47], v77 offset:608
	s_waitcnt lgkmcnt(2)
	v_fma_f32 v12, -v20, v48, v56
	v_fma_f32 v12, -v21, v13, v12
	;; [unrolled: 1-line block ×4, first 2 shown]
	s_waitcnt lgkmcnt(0)
	v_fma_f32 v12, -v24, v44, v12
	v_fma_f32 v12, -v25, v29, v12
	;; [unrolled: 1-line block ×8, first 2 shown]
	ds_read_b128 v[36:39], v100 offset:96
	ds_read_b128 v[28:31], v101 offset:96
	s_add_i32 s11, s6, s11
	v_fma_f32 v11, -v17, v60, v11
	s_lshl_b32 s11, s11, 2
	s_waitcnt lgkmcnt(1)
	v_fma_f32 v12, -v4, v36, v12
	v_fma_f32 v11, -v18, v93, v11
	v_fma_f32 v12, -v5, v59, v12
	v_fma_f32 v11, -v19, v66, v11
	v_fma_f32 v12, -v6, v90, v12
	v_mov_b32_e32 v13, s11
	v_fma_f32 v11, -v8, v69, v11
	ds_read2_b32 v[68:69], v81 offset0:23 offset1:24
	ds_read2_b32 v[58:59], v79 offset0:25 offset1:26
	v_fma_f32 v12, -v7, v63, v12
	ds_read_b128 v[32:35], v13 offset:96
	ds_read2_b32 v[62:63], v76 offset0:25 offset1:26
	s_waitcnt lgkmcnt(4)
	v_fma_f32 v12, -v16, v28, v12
	v_fma_f32 v12, -v17, v61, v12
	;; [unrolled: 1-line block ×4, first 2 shown]
	v_mul_f32_e32 v10, v96, v10
	s_waitcnt lgkmcnt(3)
	v_fma_f32 v11, -v9, v68, v11
	s_waitcnt lgkmcnt(1)
	v_fma_f32 v12, -v8, v32, v12
	s_lshl_b32 s11, s13, 5
	v_fma_f32 v11, -v10, v97, v11
	s_or_b32 s12, s6, 24
	v_fma_f32 v12, -v9, v69, v12
	s_add_i32 s11, s6, s11
	v_mul_f32_e32 v11, v88, v11
	v_fma_f32 v12, -v10, v98, v12
	s_lshl_b32 s13, s11, 2
	s_mul_i32 s11, s12, 0x84
	v_fma_f32 v28, -v11, v89, v12
	v_mov_b32_e32 v12, s11
	ds_read_b128 v[12:15], v12
	ds_read2_b32 v[60:61], v70 offset0:25 offset1:26
	ds_read2_b32 v[88:89], v77 offset0:57 offset1:58
	s_addk_i32 s9, 0x464
	v_mov_b32_e32 v32, s9
	s_waitcnt lgkmcnt(2)
	v_mul_f32_e32 v12, v12, v28
	v_fma_f32 v28, -v20, v49, v57
	ds_read2_b32 v[48:49], v77 offset0:121 offset1:122
	ds_read2_b32 v[56:57], v77 offset0:217 offset1:218
	s_waitcnt lgkmcnt(2)
	v_fma_f32 v28, -v21, v88, v28
	v_fma_f32 v28, -v22, v65, v28
	ds_read2_b32 v[64:65], v80 offset0:25 offset1:26
	s_waitcnt lgkmcnt(2)
	v_fma_f32 v28, -v23, v48, v28
	v_fma_f32 v28, -v24, v45, v28
	ds_read2_b32 v[44:45], v77 offset0:185 offset1:186
	s_or_b32 s11, s6, 25
	s_mul_i32 s9, s11, 0x84
	s_add_i32 s10, s6, s10
	s_lshl_b32 s10, s10, 2
	s_waitcnt lgkmcnt(0)
	v_fma_f32 v28, -v25, v44, v28
	v_fma_f32 v28, -v26, v56, v28
	v_fma_f32 v28, -v27, v41, v28
	ds_read2_b32 v[40:41], v32 offset1:1
	v_mov_b32_e32 v44, s13
	ds_read2_b32 v[66:67], v44 offset0:25 offset1:26
	global_store_dwordx4 v[52:53], v[0:3], off offset:32
	global_store_dwordx4 v[52:53], v[4:7], off offset:48
	s_waitcnt lgkmcnt(1)
	v_fma_f32 v28, -v0, v40, v28
	v_fma_f32 v28, -v1, v58, v28
	;; [unrolled: 1-line block ×5, first 2 shown]
	ds_read2_b32 v[36:37], v71 offset0:25 offset1:26
	ds_read_b64 v[86:87], v77 offset:360
	global_store_dwordx4 v[52:53], v[16:19], off offset:64
	global_store_dwordx4 v[52:53], v[8:11], off offset:80
	s_waitcnt lgkmcnt(1)
	v_fma_f32 v28, -v5, v36, v28
	v_fma_f32 v28, -v6, v91, v28
	;; [unrolled: 1-line block ×4, first 2 shown]
	ds_read2_b32 v[28:29], v78 offset0:25 offset1:26
	s_waitcnt lgkmcnt(0)
	v_fma_f32 v28, -v17, v28, v32
	v_fma_f32 v28, -v18, v95, v28
	;; [unrolled: 1-line block ×4, first 2 shown]
	ds_read2_b32 v[32:33], v81 offset0:25 offset1:26
	s_waitcnt lgkmcnt(0)
	v_fma_f32 v28, -v9, v32, v28
	v_fma_f32 v28, -v10, v99, v28
	;; [unrolled: 1-line block ×4, first 2 shown]
	v_mov_b32_e32 v28, s9
	ds_read2_b32 v[68:69], v28 offset1:1
	v_fma_f32 v28, -v20, v50, v54
	v_fma_f32 v28, -v21, v89, v28
	;; [unrolled: 1-line block ×6, first 2 shown]
	ds_read_b64 v[48:49], v82 offset:104
	v_fma_f32 v28, -v26, v57, v28
	v_fma_f32 v28, -v27, v42, v28
	;; [unrolled: 1-line block ×3, first 2 shown]
	ds_read_b64 v[40:41], v83 offset:104
	v_fma_f32 v28, -v1, v59, v28
	s_waitcnt lgkmcnt(1)
	v_fma_f32 v28, -v2, v48, v28
	v_fma_f32 v28, -v3, v61, v28
	;; [unrolled: 1-line block ×4, first 2 shown]
	ds_read_b64 v[36:37], v84 offset:104
	s_waitcnt lgkmcnt(1)
	v_fma_f32 v28, -v6, v40, v28
	v_fma_f32 v28, -v7, v63, v28
	;; [unrolled: 1-line block ×4, first 2 shown]
	s_waitcnt lgkmcnt(0)
	v_fma_f32 v28, -v18, v36, v28
	v_fma_f32 v28, -v19, v65, v28
	;; [unrolled: 1-line block ×3, first 2 shown]
	v_mov_b32_e32 v29, s10
	v_fma_f32 v28, -v9, v33, v28
	ds_read_b64 v[32:33], v29 offset:104
	s_or_b32 s9, s6, 26
	s_mulk_i32 s9, 0x84
	v_mul_f32_e32 v13, v68, v13
	v_fma_f32 v20, -v20, v51, v55
	s_waitcnt lgkmcnt(0)
	v_fma_f32 v28, -v10, v32, v28
	v_fma_f32 v28, -v11, v67, v28
	;; [unrolled: 1-line block ×3, first 2 shown]
	v_mov_b32_e32 v28, s9
	ds_read_b64 v[28:29], v28
	v_fma_f32 v14, -v13, v69, v14
	s_lshl_b32 s10, s11, 5
	s_add_i32 s6, s6, s10
	s_lshl_b32 s6, s6, 2
	s_waitcnt lgkmcnt(0)
	v_mul_f32_e32 v14, v28, v14
	ds_read_b32 v28, v77 offset:236
	s_waitcnt lgkmcnt(0)
	v_fma_f32 v20, -v21, v28, v20
	v_fma_f32 v22, -v22, v87, v20
	ds_read2_b32 v[20:21], v77 offset0:123 offset1:187
	s_waitcnt lgkmcnt(0)
	v_fma_f32 v20, -v23, v20, v22
	v_fma_f32 v20, -v24, v47, v20
	;; [unrolled: 1-line block ×3, first 2 shown]
	v_add_u32_e32 v20, 0x6c, v77
	ds_read2st64_b32 v[20:21], v20 offset0:3 offset1:4
	s_waitcnt lgkmcnt(0)
	v_fma_f32 v20, -v26, v20, v22
	v_fma_f32 v20, -v27, v43, v20
	;; [unrolled: 1-line block ×3, first 2 shown]
	ds_read_b32 v20, v79 offset:108
	s_waitcnt lgkmcnt(0)
	v_fma_f32 v0, -v1, v20, v0
	ds_read_b32 v1, v70 offset:108
	v_fma_f32 v0, -v2, v49, v0
	s_waitcnt lgkmcnt(0)
	v_fma_f32 v0, -v3, v1, v0
	ds_read_b32 v1, v71 offset:108
	v_fma_f32 v0, -v4, v39, v0
	;; [unrolled: 4-line block ×7, first 2 shown]
	s_waitcnt lgkmcnt(0)
	v_fma_f32 v0, -v11, v1, v0
	v_mov_b32_e32 v1, s6
	ds_read_b32 v1, v1 offset:108
	v_fma_f32 v0, -v12, v15, v0
	s_mul_i32 s6, s7, 0x84
	s_waitcnt lgkmcnt(0)
	v_fma_f32 v0, -v13, v1, v0
	v_mov_b32_e32 v1, s6
	ds_read_b32 v1, v1
	v_fma_f32 v0, -v14, v29, v0
	s_mov_b32 s6, s8
	s_waitcnt lgkmcnt(0)
	v_mul_f32_e32 v15, v1, v0
	global_store_dwordx4 v[52:53], v[12:15], off offset:96
.LBB39_55:
	s_cmp_ge_i32 s6, s18
	s_cbranch_scc1 .LBB39_66
; %bb.56:
	s_add_i32 s8, s6, -1
	s_lshl_b32 s9, s6, 2
	s_add_u32 s2, s2, s4
	s_addc_u32 s3, s3, s5
	s_add_u32 s0, s2, s0
	s_addc_u32 s1, s3, s1
	v_mov_b32_e32 v0, s1
	v_add_co_u32_e32 v6, vcc, s0, v74
	v_addc_co_u32_e32 v7, vcc, v0, v75, vcc
	v_add_co_u32_e32 v0, vcc, 28, v6
	v_addc_co_u32_e32 v1, vcc, 0, v7, vcc
	s_mov_b32 s1, 0
	s_mov_b32 s3, s6
	s_mov_b32 s2, 0
	s_branch .LBB39_58
.LBB39_57:                              ;   in Loop: Header=BB39_58 Depth=1
	s_mul_i32 s0, s6, 0x84
	v_mov_b32_e32 v4, s0
	ds_read_b32 v4, v4
	s_add_i32 s6, s6, 1
	s_add_i32 s2, s2, 1
	;; [unrolled: 1-line block ×3, first 2 shown]
	v_add_u16_e64 v5, s3, 1
	s_waitcnt lgkmcnt(0)
	v_mul_f32_e32 v4, v4, v8
	s_cmp_ge_i32 s6, s18
	v_readfirstlane_b32 s3, v5
	global_store_dword v[2:3], v4, off
	s_cbranch_scc1 .LBB39_66
.LBB39_58:                              ; =>This Loop Header: Depth=1
                                        ;     Child Loop BB39_61 Depth 2
                                        ;     Child Loop BB39_65 Depth 2
	s_ashr_i32 s7, s6, 31
	s_lshl_b64 s[4:5], s[6:7], 2
	v_mov_b32_e32 v3, s5
	v_add_co_u32_e32 v2, vcc, s4, v72
	v_addc_co_u32_e32 v3, vcc, v73, v3, vcc
	global_load_dword v4, v[2:3], off
	s_cmp_eq_u32 s6, 0
	s_waitcnt vmcnt(0)
	v_mul_f32_e32 v8, s16, v4
	s_cbranch_scc1 .LBB39_57
; %bb.59:                               ;   in Loop: Header=BB39_58 Depth=1
	s_add_i32 s0, s8, s2
	s_cmp_lt_u32 s0, 7
	s_cbranch_scc1 .LBB39_63
; %bb.60:                               ;   in Loop: Header=BB39_58 Depth=1
	s_and_b32 s0, s6, -8
	s_mov_b32 s4, 0
	v_pk_mov_b32 v[4:5], v[0:1], v[0:1] op_sel:[0,1]
	s_mov_b32 s5, s9
.LBB39_61:                              ;   Parent Loop BB39_58 Depth=1
                                        ; =>  This Inner Loop Header: Depth=2
	global_load_dwordx4 v[10:13], v[4:5], off offset:-28
	global_load_dwordx4 v[14:17], v[4:5], off offset:-12
	v_mov_b32_e32 v9, s5
	ds_read2_b32 v[18:19], v9 offset1:32
	ds_read2_b32 v[20:21], v9 offset0:64 offset1:96
	ds_read2_b32 v[22:23], v9 offset0:128 offset1:160
	;; [unrolled: 1-line block ×3, first 2 shown]
	s_add_i32 s4, s4, 8
	s_addk_i32 s5, 0x400
	v_add_co_u32_e32 v4, vcc, 32, v4
	v_addc_co_u32_e32 v5, vcc, 0, v5, vcc
	s_cmp_lg_u32 s0, s4
	s_waitcnt vmcnt(1) lgkmcnt(3)
	v_fma_f32 v8, -v10, v18, v8
	v_fma_f32 v8, -v11, v19, v8
	s_waitcnt lgkmcnt(2)
	v_fma_f32 v8, -v12, v20, v8
	v_fma_f32 v8, -v13, v21, v8
	s_waitcnt vmcnt(0) lgkmcnt(1)
	v_fma_f32 v8, -v14, v22, v8
	v_fma_f32 v8, -v15, v23, v8
	s_waitcnt lgkmcnt(0)
	v_fma_f32 v8, -v16, v24, v8
	v_fma_f32 v8, -v17, v25, v8
	s_cbranch_scc1 .LBB39_61
; %bb.62:                               ;   in Loop: Header=BB39_58 Depth=1
	s_and_b32 s4, s6, 7
	s_cmp_eq_u32 s4, 0
	s_cbranch_scc0 .LBB39_64
	s_branch .LBB39_57
.LBB39_63:                              ;   in Loop: Header=BB39_58 Depth=1
	s_mov_b32 s0, 0
	s_and_b32 s4, s6, 7
	s_cmp_eq_u32 s4, 0
	s_cbranch_scc1 .LBB39_57
.LBB39_64:                              ;   in Loop: Header=BB39_58 Depth=1
	s_lshl_b64 s[10:11], s[0:1], 2
	v_mov_b32_e32 v5, s11
	v_add_co_u32_e32 v4, vcc, s10, v6
	s_and_b32 s4, s3, 7
	s_lshl_b32 s5, s0, 7
	v_addc_co_u32_e32 v5, vcc, v7, v5, vcc
.LBB39_65:                              ;   Parent Loop BB39_58 Depth=1
                                        ; =>  This Inner Loop Header: Depth=2
	global_load_dword v9, v[4:5], off
	s_add_i32 s0, s9, s5
	v_mov_b32_e32 v10, s0
	ds_read_b32 v10, v10
	s_addk_i32 s5, 0x80
	v_add_co_u32_e32 v4, vcc, 4, v4
	s_add_i32 s4, s4, -1
	v_addc_co_u32_e32 v5, vcc, 0, v5, vcc
	s_cmp_lg_u32 s4, 0
	s_waitcnt vmcnt(0) lgkmcnt(0)
	v_fma_f32 v8, -v9, v10, v8
	s_cbranch_scc1 .LBB39_65
	s_branch .LBB39_57
.LBB39_66:
	s_endpgm
	.section	.rodata,"a",@progbits
	.p2align	6, 0x0
	.amdhsa_kernel _ZL30rocblas_trsm_small_left_deviceILi32ELi32ELb1EffPKfPfEv13rocblas_fill_18rocblas_operation_17rocblas_diagonal_iiT3_T4_lilT5_lili
		.amdhsa_group_segment_fixed_size 4096
		.amdhsa_private_segment_fixed_size 0
		.amdhsa_kernarg_size 352
		.amdhsa_user_sgpr_count 6
		.amdhsa_user_sgpr_private_segment_buffer 1
		.amdhsa_user_sgpr_dispatch_ptr 0
		.amdhsa_user_sgpr_queue_ptr 0
		.amdhsa_user_sgpr_kernarg_segment_ptr 1
		.amdhsa_user_sgpr_dispatch_id 0
		.amdhsa_user_sgpr_flat_scratch_init 0
		.amdhsa_user_sgpr_kernarg_preload_length 0
		.amdhsa_user_sgpr_kernarg_preload_offset 0
		.amdhsa_user_sgpr_private_segment_size 0
		.amdhsa_uses_dynamic_stack 0
		.amdhsa_system_sgpr_private_segment_wavefront_offset 0
		.amdhsa_system_sgpr_workgroup_id_x 1
		.amdhsa_system_sgpr_workgroup_id_y 0
		.amdhsa_system_sgpr_workgroup_id_z 1
		.amdhsa_system_sgpr_workgroup_info 0
		.amdhsa_system_vgpr_workitem_id 0
		.amdhsa_next_free_vgpr 124
		.amdhsa_next_free_sgpr 43
		.amdhsa_accum_offset 124
		.amdhsa_reserve_vcc 1
		.amdhsa_reserve_flat_scratch 0
		.amdhsa_float_round_mode_32 0
		.amdhsa_float_round_mode_16_64 0
		.amdhsa_float_denorm_mode_32 3
		.amdhsa_float_denorm_mode_16_64 3
		.amdhsa_dx10_clamp 1
		.amdhsa_ieee_mode 1
		.amdhsa_fp16_overflow 0
		.amdhsa_tg_split 0
		.amdhsa_exception_fp_ieee_invalid_op 0
		.amdhsa_exception_fp_denorm_src 0
		.amdhsa_exception_fp_ieee_div_zero 0
		.amdhsa_exception_fp_ieee_overflow 0
		.amdhsa_exception_fp_ieee_underflow 0
		.amdhsa_exception_fp_ieee_inexact 0
		.amdhsa_exception_int_div_zero 0
	.end_amdhsa_kernel
	.section	.text._ZL30rocblas_trsm_small_left_deviceILi32ELi32ELb1EffPKfPfEv13rocblas_fill_18rocblas_operation_17rocblas_diagonal_iiT3_T4_lilT5_lili,"axG",@progbits,_ZL30rocblas_trsm_small_left_deviceILi32ELi32ELb1EffPKfPfEv13rocblas_fill_18rocblas_operation_17rocblas_diagonal_iiT3_T4_lilT5_lili,comdat
.Lfunc_end39:
	.size	_ZL30rocblas_trsm_small_left_deviceILi32ELi32ELb1EffPKfPfEv13rocblas_fill_18rocblas_operation_17rocblas_diagonal_iiT3_T4_lilT5_lili, .Lfunc_end39-_ZL30rocblas_trsm_small_left_deviceILi32ELi32ELb1EffPKfPfEv13rocblas_fill_18rocblas_operation_17rocblas_diagonal_iiT3_T4_lilT5_lili
                                        ; -- End function
	.section	.AMDGPU.csdata,"",@progbits
; Kernel info:
; codeLenInByte = 36400
; NumSgprs: 47
; NumVgprs: 124
; NumAgprs: 0
; TotalNumVgprs: 124
; ScratchSize: 0
; MemoryBound: 1
; FloatMode: 240
; IeeeMode: 1
; LDSByteSize: 4096 bytes/workgroup (compile time only)
; SGPRBlocks: 5
; VGPRBlocks: 15
; NumSGPRsForWavesPerEU: 47
; NumVGPRsForWavesPerEU: 124
; AccumOffset: 124
; Occupancy: 4
; WaveLimiterHint : 0
; COMPUTE_PGM_RSRC2:SCRATCH_EN: 0
; COMPUTE_PGM_RSRC2:USER_SGPR: 6
; COMPUTE_PGM_RSRC2:TRAP_HANDLER: 0
; COMPUTE_PGM_RSRC2:TGID_X_EN: 1
; COMPUTE_PGM_RSRC2:TGID_Y_EN: 0
; COMPUTE_PGM_RSRC2:TGID_Z_EN: 1
; COMPUTE_PGM_RSRC2:TIDIG_COMP_CNT: 0
; COMPUTE_PGM_RSRC3_GFX90A:ACCUM_OFFSET: 30
; COMPUTE_PGM_RSRC3_GFX90A:TG_SPLIT: 0
	.section	.text._ZL31rocblas_trsm_small_right_deviceIffPKfPfLi32EEv13rocblas_fill_18rocblas_operation_17rocblas_diagonal_iiT0_T1_lilT2_lili,"axG",@progbits,_ZL31rocblas_trsm_small_right_deviceIffPKfPfLi32EEv13rocblas_fill_18rocblas_operation_17rocblas_diagonal_iiT0_T1_lilT2_lili,comdat
	.globl	_ZL31rocblas_trsm_small_right_deviceIffPKfPfLi32EEv13rocblas_fill_18rocblas_operation_17rocblas_diagonal_iiT0_T1_lilT2_lili ; -- Begin function _ZL31rocblas_trsm_small_right_deviceIffPKfPfLi32EEv13rocblas_fill_18rocblas_operation_17rocblas_diagonal_iiT0_T1_lilT2_lili
	.p2align	8
	.type	_ZL31rocblas_trsm_small_right_deviceIffPKfPfLi32EEv13rocblas_fill_18rocblas_operation_17rocblas_diagonal_iiT0_T1_lilT2_lili,@function
_ZL31rocblas_trsm_small_right_deviceIffPKfPfLi32EEv13rocblas_fill_18rocblas_operation_17rocblas_diagonal_iiT0_T1_lilT2_lili: ; @_ZL31rocblas_trsm_small_right_deviceIffPKfPfLi32EEv13rocblas_fill_18rocblas_operation_17rocblas_diagonal_iiT0_T1_lilT2_lili
; %bb.0:
	s_load_dwordx4 s[12:15], s[4:5], 0x0
	s_load_dwordx2 s[20:21], s[4:5], 0x10
	s_load_dwordx4 s[8:11], s[4:5], 0x30
	s_load_dwordx2 s[2:3], s[4:5], 0x40
	s_mov_b32 s0, s7
	s_mov_b32 s28, 0
	s_waitcnt lgkmcnt(0)
	s_min_i32 s1, s20, 32
	v_cmp_gt_i32_e32 vcc, s1, v0
	s_and_saveexec_b64 s[22:23], vcc
	s_cbranch_execz .LBB40_14
; %bb.1:
	s_load_dword s24, s[4:5], 0x28
	s_load_dwordx4 s[16:19], s[4:5], 0x18
	s_cmp_gt_u32 s1, 1
	s_cselect_b64 s[26:27], -1, 0
	s_mov_b32 s7, 1
	s_waitcnt lgkmcnt(0)
	s_cmp_eq_u32 s24, 1
	s_cselect_b64 s[30:31], -1, 0
	s_and_b64 s[30:31], s[26:27], s[30:31]
	s_mov_b64 s[26:27], -1
	s_and_b64 vcc, exec, s[30:31]
	s_cbranch_vccz .LBB40_9
; %bb.2:
	s_add_i32 s26, s1, -2
	s_lshr_b32 s27, s26, 1
	s_add_i32 s27, s27, 1
	s_mov_b32 s25, 0
	s_cmp_lt_u32 s26, 14
	s_mov_b32 s26, s25
	s_cbranch_scc1 .LBB40_5
; %bb.3:
	s_mul_i32 s7, s9, s0
	s_mul_hi_u32 s25, s8, s0
	s_add_i32 s31, s25, s7
	s_mul_i32 s30, s8, s0
	s_and_b32 s28, s27, -8
	s_lshl_b64 s[30:31], s[30:31], 2
	s_lshl_b64 s[34:35], s[18:19], 2
	s_add_u32 s7, s30, s34
	s_addc_u32 s25, s31, s35
	s_add_u32 s7, s16, s7
	v_lshlrev_b32_e32 v1, 2, v0
	s_addc_u32 s25, s17, s25
	v_mov_b32_e32 v2, s25
	v_add_co_u32_e32 v1, vcc, s7, v1
	v_addc_co_u32_e32 v3, vcc, 0, v2, vcc
	v_add_co_u32_e32 v2, vcc, 56, v1
	v_addc_co_u32_e32 v3, vcc, 0, v3, vcc
	s_mov_b32 s7, 1
	s_mov_b32 s26, 0
	;; [unrolled: 1-line block ×3, first 2 shown]
.LBB40_4:                               ; =>This Inner Loop Header: Depth=1
	global_load_dwordx4 v[4:7], v[2:3], off offset:-56
	global_load_dwordx4 v[8:11], v[2:3], off offset:-40
	;; [unrolled: 1-line block ×4, first 2 shown]
	s_lshl_b32 s29, s25, 5
	s_lshl_b32 s30, s7, 5
	s_add_i32 s26, s26, 16
	s_add_i32 s7, s7, 16
	;; [unrolled: 1-line block ×3, first 2 shown]
	s_add_i32 s28, s28, -8
	v_add_co_u32_e32 v2, vcc, 64, v2
	v_or_b32_e32 v1, s30, v0
	v_or_b32_e32 v20, s29, v0
	s_add_i32 s31, s29, 64
	s_add_i32 s33, s30, 64
	;; [unrolled: 1-line block ×12, first 2 shown]
	s_addk_i32 s29, 0x1c0
	s_addk_i32 s30, 0x1c0
	v_addc_co_u32_e32 v3, vcc, 0, v3, vcc
	v_lshlrev_b32_e32 v20, 2, v20
	v_or_b32_e32 v21, s33, v0
	v_or_b32_e32 v22, s31, v0
	;; [unrolled: 1-line block ×14, first 2 shown]
	s_cmp_lg_u32 s28, 0
	v_lshlrev_b32_e32 v1, 2, v1
	v_lshlrev_b32_e32 v22, 2, v22
	;; [unrolled: 1-line block ×15, first 2 shown]
	s_waitcnt vmcnt(3)
	ds_write_b32 v20, v4
	ds_write_b32 v1, v5
	ds_write_b32 v22, v6
	ds_write_b32 v21, v7
	s_waitcnt vmcnt(2)
	ds_write_b32 v24, v8
	ds_write_b32 v23, v9
	ds_write_b32 v26, v10
	ds_write_b32 v25, v11
	;; [unrolled: 5-line block ×4, first 2 shown]
	s_cbranch_scc1 .LBB40_4
.LBB40_5:
	s_and_b32 s28, s27, 7
	s_cmp_eq_u32 s28, 0
	s_mov_b32 s27, 0
	s_cbranch_scc1 .LBB40_8
; %bb.6:
	s_mul_i32 s29, s9, s0
	s_mul_hi_u32 s30, s8, s0
	s_add_i32 s31, s30, s29
	s_mul_i32 s30, s8, s0
	s_lshl_b64 s[30:31], s[30:31], 2
	s_lshl_b64 s[34:35], s[18:19], 2
	s_add_u32 s29, s30, s34
	s_addc_u32 s30, s31, s35
	s_lshl_b64 s[26:27], s[26:27], 2
	s_add_u32 s26, s16, s26
	s_addc_u32 s27, s17, s27
	s_add_u32 s26, s26, s29
	v_lshlrev_b32_e32 v1, 2, v0
	s_addc_u32 s27, s27, s30
	v_mov_b32_e32 v3, s27
	v_add_co_u32_e32 v2, vcc, s26, v1
	v_addc_co_u32_e32 v3, vcc, 0, v3, vcc
	s_lshl_b32 s26, s28, 3
.LBB40_7:                               ; =>This Inner Loop Header: Depth=1
	global_load_dwordx2 v[4:5], v[2:3], off
	v_lshl_or_b32 v6, s25, 7, v1
	v_lshl_or_b32 v7, s7, 7, v1
	s_add_i32 s7, s7, 2
	s_add_i32 s25, s25, 2
	v_add_co_u32_e32 v2, vcc, 8, v2
	s_add_i32 s26, s26, -8
	v_addc_co_u32_e32 v3, vcc, 0, v3, vcc
	s_cmp_lg_u32 s26, 0
	s_waitcnt vmcnt(0)
	ds_write_b32 v6, v4
	ds_write_b32 v7, v5
	s_cbranch_scc1 .LBB40_7
.LBB40_8:
	s_and_b32 s28, s1, -2
	s_cmp_lg_u32 s1, s28
	s_cselect_b64 s[26:27], -1, 0
.LBB40_9:
	s_and_b64 vcc, exec, s[26:27]
	s_cbranch_vccz .LBB40_12
; %bb.10:
	s_ashr_i32 s25, s24, 31
	s_mul_i32 s7, s9, s0
	s_mul_hi_u32 s9, s8, s0
	s_add_i32 s9, s9, s7
	s_mul_hi_u32 s7, s24, s28
	s_mul_i32 s26, s25, s28
	s_mul_i32 s8, s8, s0
	s_add_i32 s27, s7, s26
	s_mul_i32 s26, s24, s28
	s_lshl_b64 s[8:9], s[8:9], 2
	s_lshl_b64 s[26:27], s[26:27], 2
	s_add_u32 s7, s8, s26
	s_addc_u32 s26, s9, s27
	s_lshl_b64 s[8:9], s[18:19], 2
	s_add_u32 s7, s7, s8
	s_addc_u32 s8, s26, s9
	s_add_u32 s7, s16, s7
	v_lshlrev_b32_e32 v1, 2, v0
	s_addc_u32 s8, s17, s8
	v_mov_b32_e32 v3, s8
	v_add_co_u32_e32 v2, vcc, s7, v1
	s_lshl_b64 s[8:9], s[24:25], 2
	v_addc_co_u32_e32 v3, vcc, 0, v3, vcc
	v_lshl_or_b32 v1, s28, 7, v1
	s_sub_i32 s7, s1, s28
	v_mov_b32_e32 v4, s9
.LBB40_11:                              ; =>This Inner Loop Header: Depth=1
	global_load_dword v5, v[2:3], off
	v_add_co_u32_e32 v2, vcc, s8, v2
	s_add_i32 s7, s7, -1
	v_addc_co_u32_e32 v3, vcc, v3, v4, vcc
	s_cmp_eq_u32 s7, 0
	s_waitcnt vmcnt(0)
	ds_write_b32 v1, v5
	v_add_u32_e32 v1, 0x80, v1
	s_cbranch_scc0 .LBB40_11
.LBB40_12:
	s_cmpk_eq_i32 s14, 0x84
	s_cbranch_scc0 .LBB40_14
; %bb.13:
	v_mul_u32_u24_e32 v1, 33, v0
	v_lshlrev_b32_e32 v1, 2, v1
	v_mov_b32_e32 v2, 1.0
	ds_write_b32 v1, v2
.LBB40_14:
	s_or_b64 exec, exec, s[22:23]
	s_load_dword s7, s[4:5], 0x60
	s_load_dword s8, s[4:5], 0x48
	s_load_dwordx2 s[16:17], s[4:5], 0x50
	s_lshl_b32 s4, s6, 5
	s_sub_i32 s4, s15, s4
	s_waitcnt lgkmcnt(0)
	s_add_i32 s7, s7, -1
	s_cmp_ge_u32 s6, s7
	s_cselect_b32 s9, s4, 32
	s_ashr_i32 s7, s6, 31
	s_lshl_b64 s[4:5], s[6:7], 7
	s_cmp_gt_i32 s20, 0
	v_cmp_gt_i32_e32 vcc, s9, v0
	s_cselect_b64 s[6:7], -1, 0
	s_mov_b32 s23, 0
	s_and_b64 s[6:7], vcc, s[6:7]
	s_and_saveexec_b64 s[14:15], s[6:7]
	s_cbranch_execz .LBB40_26
; %bb.15:
	s_cmp_lt_u32 s20, 2
	s_cselect_b64 s[24:25], -1, 0
	s_cmp_lg_u32 s8, 1
	s_cselect_b64 s[26:27], -1, 0
	s_or_b64 s[24:25], s[24:25], s[26:27]
	s_mov_b32 s9, 1
	s_mov_b64 s[18:19], -1
	s_and_b64 vcc, exec, s[24:25]
	s_cbranch_vccnz .LBB40_23
; %bb.16:
	s_add_i32 s22, s20, -2
	s_lshr_b32 s23, s22, 1
	s_add_i32 s23, s23, 1
	s_mov_b32 s24, 0
	s_mov_b32 s18, s21
	;; [unrolled: 1-line block ×3, first 2 shown]
	s_cmp_lt_u32 s22, 14
	s_mov_b32 s22, s24
	s_cbranch_scc1 .LBB40_19
; %bb.17:
	s_mul_i32 s9, s17, s0
	s_mul_hi_u32 s22, s16, s0
	s_add_i32 s27, s22, s9
	s_mul_i32 s26, s16, s0
	s_and_b32 s25, s23, -8
	s_lshl_b64 s[26:27], s[26:27], 2
	s_add_u32 s9, s26, s4
	s_addc_u32 s22, s27, s5
	s_lshl_b64 s[26:27], s[2:3], 2
	s_add_u32 s9, s9, s26
	s_addc_u32 s22, s22, s27
	s_add_u32 s9, s10, s9
	v_lshlrev_b32_e32 v1, 2, v0
	s_addc_u32 s22, s11, s22
	v_mov_b32_e32 v2, s22
	v_add_co_u32_e32 v1, vcc, s9, v1
	v_addc_co_u32_e32 v3, vcc, 0, v2, vcc
	v_add_co_u32_e32 v2, vcc, 56, v1
	v_addc_co_u32_e32 v3, vcc, 0, v3, vcc
	s_mov_b32 s9, 1
	s_mov_b32 s22, 0
.LBB40_18:                              ; =>This Inner Loop Header: Depth=1
	global_load_dwordx4 v[4:7], v[2:3], off offset:-56
	global_load_dwordx4 v[8:11], v[2:3], off offset:-40
	;; [unrolled: 1-line block ×4, first 2 shown]
	s_lshl_b32 s26, s24, 5
	s_lshl_b32 s27, s9, 5
	s_add_i32 s22, s22, 16
	s_add_i32 s9, s9, 16
	;; [unrolled: 1-line block ×3, first 2 shown]
	s_add_i32 s25, s25, -8
	v_add_co_u32_e32 v2, vcc, 64, v2
	v_or_b32_e32 v1, s27, v0
	v_or_b32_e32 v20, s26, v0
	s_add_i32 s28, s26, 64
	s_add_i32 s29, s27, 64
	;; [unrolled: 1-line block ×12, first 2 shown]
	s_addk_i32 s26, 0x1c0
	s_addk_i32 s27, 0x1c0
	v_addc_co_u32_e32 v3, vcc, 0, v3, vcc
	v_lshlrev_b32_e32 v20, 2, v20
	v_or_b32_e32 v21, s29, v0
	v_or_b32_e32 v22, s28, v0
	;; [unrolled: 1-line block ×14, first 2 shown]
	s_cmp_lg_u32 s25, 0
	v_lshlrev_b32_e32 v1, 2, v1
	v_lshlrev_b32_e32 v22, 2, v22
	;; [unrolled: 1-line block ×15, first 2 shown]
	s_waitcnt vmcnt(3)
	v_pk_mul_f32 v[4:5], v[4:5], s[18:19]
	v_pk_mul_f32 v[6:7], v[6:7], s[18:19]
	s_waitcnt vmcnt(2)
	v_pk_mul_f32 v[8:9], v[8:9], s[18:19]
	v_pk_mul_f32 v[10:11], v[10:11], s[18:19]
	;; [unrolled: 3-line block ×4, first 2 shown]
	ds_write_b32 v20, v4 offset:4096
	ds_write_b32 v1, v5 offset:4096
	;; [unrolled: 1-line block ×16, first 2 shown]
	s_cbranch_scc1 .LBB40_18
.LBB40_19:
	s_and_b32 s25, s23, 7
	s_cmp_eq_u32 s25, 0
	s_mov_b32 s23, 0
	s_cbranch_scc1 .LBB40_22
; %bb.20:
	s_mul_i32 s26, s17, s0
	s_mul_hi_u32 s27, s16, s0
	s_add_i32 s27, s27, s26
	s_mul_i32 s26, s16, s0
	s_lshl_b64 s[26:27], s[26:27], 2
	s_add_u32 s28, s26, s4
	s_addc_u32 s29, s27, s5
	s_lshl_b64 s[26:27], s[2:3], 2
	s_add_u32 s26, s28, s26
	s_addc_u32 s27, s29, s27
	;; [unrolled: 3-line block ×3, first 2 shown]
	s_add_u32 s22, s22, s26
	v_lshlrev_b32_e32 v1, 2, v0
	s_addc_u32 s23, s23, s27
	v_mov_b32_e32 v3, s23
	v_add_co_u32_e32 v2, vcc, s22, v1
	v_addc_co_u32_e32 v3, vcc, 0, v3, vcc
.LBB40_21:                              ; =>This Inner Loop Header: Depth=1
	global_load_dwordx2 v[4:5], v[2:3], off
	v_lshl_or_b32 v6, s24, 7, v1
	v_lshl_or_b32 v7, s9, 7, v1
	s_add_i32 s9, s9, 2
	s_add_i32 s24, s24, 2
	v_add_co_u32_e32 v2, vcc, 8, v2
	s_add_i32 s25, s25, -1
	v_addc_co_u32_e32 v3, vcc, 0, v3, vcc
	s_cmp_lg_u32 s25, 0
	s_waitcnt vmcnt(0)
	v_pk_mul_f32 v[4:5], v[4:5], s[18:19]
	ds_write_b32 v6, v4 offset:4096
	ds_write_b32 v7, v5 offset:4096
	s_cbranch_scc1 .LBB40_21
.LBB40_22:
	s_and_b32 s23, s20, 0x7ffffffe
	s_cmp_lg_u32 s23, s20
	s_cselect_b64 s[18:19], -1, 0
.LBB40_23:
	s_and_b64 vcc, exec, s[18:19]
	s_cbranch_vccz .LBB40_26
; %bb.24:
	s_mul_i32 s18, s17, s0
	s_mul_hi_u32 s19, s16, s0
	s_add_i32 s19, s19, s18
	s_mul_i32 s18, s16, s0
	s_mul_hi_i32 s25, s8, s23
	s_mul_i32 s24, s8, s23
	s_ashr_i32 s9, s8, 31
	s_sub_i32 s22, s20, s23
	s_lshl_b64 s[18:19], s[18:19], 2
	s_lshl_b64 s[24:25], s[24:25], 2
	s_add_u32 s18, s18, s24
	v_lshlrev_b32_e32 v2, 2, v0
	s_addc_u32 s19, s19, s25
	v_lshl_or_b32 v1, s23, 7, v2
	s_add_u32 s23, s18, s4
	s_addc_u32 s24, s19, s5
	s_lshl_b64 s[18:19], s[2:3], 2
	s_add_u32 s18, s23, s18
	s_addc_u32 s19, s24, s19
	s_add_u32 s18, s10, s18
	s_addc_u32 s19, s11, s19
	v_mov_b32_e32 v3, s19
	v_add_co_u32_e32 v2, vcc, s18, v2
	s_lshl_b64 s[18:19], s[8:9], 2
	v_add_u32_e32 v1, 0x1000, v1
	v_addc_co_u32_e32 v3, vcc, 0, v3, vcc
	v_mov_b32_e32 v4, s19
.LBB40_25:                              ; =>This Inner Loop Header: Depth=1
	global_load_dword v5, v[2:3], off
	s_add_i32 s22, s22, -1
	v_add_co_u32_e32 v2, vcc, s18, v2
	v_addc_co_u32_e32 v3, vcc, v3, v4, vcc
	s_cmp_lg_u32 s22, 0
	s_waitcnt vmcnt(0)
	v_mul_f32_e32 v5, s21, v5
	ds_write_b32 v1, v5
	v_add_u32_e32 v1, 0x80, v1
	s_cbranch_scc1 .LBB40_25
.LBB40_26:
	s_or_b64 exec, exec, s[14:15]
	s_cmpk_eq_i32 s13, 0x6f
	s_cselect_b64 s[18:19], -1, 0
	s_cmpk_eq_i32 s12, 0x79
	s_cselect_b64 s[22:23], -1, 0
	s_cmpk_lg_i32 s12, 0x79
	s_cselect_b64 s[14:15], -1, 0
	s_and_b64 s[22:23], s[22:23], s[18:19]
	s_andn2_b64 vcc, exec, s[22:23]
	s_mov_b64 s[22:23], -1
	s_waitcnt lgkmcnt(0)
	; wave barrier
	s_waitcnt lgkmcnt(0)
	s_cbranch_vccz .LBB40_101
; %bb.27:
	s_cmpk_lg_i32 s12, 0x7a
	s_cselect_b64 s[12:13], -1, 0
	s_xor_b64 s[18:19], s[18:19], -1
	s_add_i32 s9, s1, -1
	s_or_b64 s[18:19], s[12:13], s[18:19]
	s_cmp_gt_i32 s20, 3
	s_cselect_b64 s[12:13], -1, 0
	s_and_b64 vcc, exec, s[18:19]
	s_cbranch_vccz .LBB40_80
; %bb.28:
	s_andn2_b64 vcc, exec, s[14:15]
	s_mov_b64 s[14:15], -1
	s_cbranch_vccnz .LBB40_53
; %bb.29:
	s_andn2_b64 vcc, exec, s[12:13]
	s_mov_b32 s21, 0
	s_cbranch_vccnz .LBB40_41
; %bb.30:
	v_mov_b32_e32 v1, 0x1000
	v_lshl_or_b32 v1, v0, 2, v1
	s_mov_b32 s18, 0
	s_mov_b32 s19, 0
	s_mov_b64 s[14:15], 0
.LBB40_31:                              ; =>This Loop Header: Depth=1
                                        ;     Child Loop BB40_34 Depth 2
                                        ;     Child Loop BB40_38 Depth 2
	s_lshl_b32 s21, s19, 5
	s_lshl_b32 s22, s19, 7
	v_or_b32_e32 v2, s21, v0
	s_or_b32 s21, s21, 32
	v_lshlrev_b32_e32 v6, 2, v2
	v_or_b32_e32 v2, s21, v0
	v_lshl_or_b32 v8, v0, 2, s22
	v_lshlrev_b32_e32 v7, 2, v2
	v_add_u32_e32 v2, 0x1000, v8
	ds_read_b32 v4, v6 offset:4096
	ds_read_b32 v5, v7 offset:4096
	ds_read2_b32 v[2:3], v2 offset0:64 offset1:96
	s_cmp_eq_u32 s19, 0
	s_cbranch_scc1 .LBB40_39
; %bb.32:                               ;   in Loop: Header=BB40_31 Depth=1
	s_cmp_lt_u32 s19, 8
	s_cbranch_scc1 .LBB40_36
; %bb.33:                               ;   in Loop: Header=BB40_31 Depth=1
	s_and_b32 s22, s19, -8
	s_mov_b32 s23, 0
	v_mov_b32_e32 v9, v1
	s_mov_b32 s24, s18
.LBB40_34:                              ;   Parent Loop BB40_31 Depth=1
                                        ; =>  This Inner Loop Header: Depth=2
	ds_read2_b32 v[42:43], v9 offset1:32
	v_mov_b32_e32 v38, s24
	ds_read2_b32 v[44:45], v9 offset0:64 offset1:96
	ds_read2_b32 v[46:47], v9 offset0:128 offset1:160
	;; [unrolled: 1-line block ×3, first 2 shown]
	ds_read_b128 v[10:13], v38
	ds_read_b128 v[14:17], v38 offset:128
	ds_read_b128 v[18:21], v38 offset:256
	;; [unrolled: 1-line block ×7, first 2 shown]
	s_add_i32 s23, s23, 8
	s_waitcnt lgkmcnt(11)
	v_mov_b32_e32 v50, v43
	s_waitcnt lgkmcnt(7)
	v_pk_fma_f32 v[4:5], v[42:43], v[10:11], v[4:5] op_sel_hi:[0,1,1] neg_lo:[1,0,0] neg_hi:[1,0,0]
	v_pk_fma_f32 v[2:3], v[42:43], v[12:13], v[2:3] op_sel_hi:[0,1,1] neg_lo:[1,0,0] neg_hi:[1,0,0]
	s_waitcnt lgkmcnt(6)
	v_pk_fma_f32 v[4:5], v[50:51], v[14:15], v[4:5] op_sel_hi:[0,1,1] neg_lo:[1,0,0] neg_hi:[1,0,0]
	v_pk_fma_f32 v[2:3], v[50:51], v[16:17], v[2:3] op_sel_hi:[0,1,1] neg_lo:[1,0,0] neg_hi:[1,0,0]
	v_mov_b32_e32 v52, v45
	s_waitcnt lgkmcnt(5)
	v_pk_fma_f32 v[4:5], v[44:45], v[18:19], v[4:5] op_sel_hi:[0,1,1] neg_lo:[1,0,0] neg_hi:[1,0,0]
	v_pk_fma_f32 v[2:3], v[44:45], v[20:21], v[2:3] op_sel_hi:[0,1,1] neg_lo:[1,0,0] neg_hi:[1,0,0]
	s_waitcnt lgkmcnt(4)
	v_pk_fma_f32 v[4:5], v[52:53], v[22:23], v[4:5] op_sel_hi:[0,1,1] neg_lo:[1,0,0] neg_hi:[1,0,0]
	v_pk_fma_f32 v[2:3], v[52:53], v[24:25], v[2:3] op_sel_hi:[0,1,1] neg_lo:[1,0,0] neg_hi:[1,0,0]
	;; [unrolled: 7-line block ×3, first 2 shown]
	s_addk_i32 s24, 0x400
	v_mov_b32_e32 v56, v49
	s_waitcnt lgkmcnt(1)
	v_pk_fma_f32 v[4:5], v[48:49], v[34:35], v[4:5] op_sel_hi:[0,1,1] neg_lo:[1,0,0] neg_hi:[1,0,0]
	v_pk_fma_f32 v[2:3], v[48:49], v[36:37], v[2:3] op_sel_hi:[0,1,1] neg_lo:[1,0,0] neg_hi:[1,0,0]
	v_add_u32_e32 v9, 0x400, v9
	s_cmp_eq_u32 s22, s23
	s_waitcnt lgkmcnt(0)
	v_pk_fma_f32 v[4:5], v[56:57], v[38:39], v[4:5] op_sel_hi:[0,1,1] neg_lo:[1,0,0] neg_hi:[1,0,0]
	v_pk_fma_f32 v[2:3], v[56:57], v[40:41], v[2:3] op_sel_hi:[0,1,1] neg_lo:[1,0,0] neg_hi:[1,0,0]
	s_cbranch_scc0 .LBB40_34
; %bb.35:                               ;   in Loop: Header=BB40_31 Depth=1
	s_bitcmp0_b32 s19, 2
	s_cbranch_scc0 .LBB40_37
	s_branch .LBB40_39
.LBB40_36:                              ;   in Loop: Header=BB40_31 Depth=1
	s_mov_b32 s22, 0
	s_bitcmp0_b32 s19, 2
	s_cbranch_scc1 .LBB40_39
.LBB40_37:                              ;   in Loop: Header=BB40_31 Depth=1
	v_cndmask_b32_e64 v9, 0, 1, s[14:15]
	v_readfirstlane_b32 s23, v9
	s_lshl_b32 s23, s23, 2
	s_lshl_b32 s22, s22, 7
.LBB40_38:                              ;   Parent Loop BB40_31 Depth=1
                                        ; =>  This Inner Loop Header: Depth=2
	v_add_u32_e32 v9, s22, v1
	s_add_i32 s24, s18, s22
	ds_read_b32 v14, v9
	v_mov_b32_e32 v9, s24
	ds_read_b128 v[10:13], v9
	s_addk_i32 s22, 0x80
	s_add_i32 s23, s23, -1
	s_cmp_lg_u32 s23, 0
	s_waitcnt lgkmcnt(0)
	v_pk_fma_f32 v[4:5], v[14:15], v[10:11], v[4:5] op_sel_hi:[0,1,1] neg_lo:[1,0,0] neg_hi:[1,0,0]
	v_pk_fma_f32 v[2:3], v[14:15], v[12:13], v[2:3] op_sel_hi:[0,1,1] neg_lo:[1,0,0] neg_hi:[1,0,0]
	s_cbranch_scc1 .LBB40_38
.LBB40_39:                              ;   in Loop: Header=BB40_31 Depth=1
	s_mul_i32 s22, s19, 0x84
	v_add_u32_e32 v9, 0x1000, v6
	v_add_u32_e32 v10, 0x1100, v8
	;; [unrolled: 1-line block ×3, first 2 shown]
	v_mov_b32_e32 v8, s22
	ds_read_b128 v[12:15], v8
	ds_read2_b32 v[16:17], v8 offset0:33 offset1:34
	s_add_i32 s21, s21, s19
	s_lshl_b32 s21, s21, 2
	v_add_u32_e32 v7, 0x1000, v7
	s_waitcnt lgkmcnt(1)
	v_div_scale_f32 v11, s[22:23], v12, v12, v4
	v_rcp_f32_e32 v18, v11
	v_div_scale_f32 v19, vcc, v4, v12, v4
	s_add_i32 s18, s18, 16
	v_fma_f32 v20, -v11, v18, 1.0
	v_fmac_f32_e32 v18, v20, v18
	v_mul_f32_e32 v20, v19, v18
	v_fma_f32 v21, -v11, v20, v19
	v_fmac_f32_e32 v20, v21, v18
	v_fma_f32 v11, -v11, v20, v19
	v_div_fmas_f32 v11, v11, v18, v20
	v_div_fixup_f32 v11, v11, v12, v4
	v_fma_f32 v4, -v11, v13, v5
	s_waitcnt lgkmcnt(0)
	v_div_scale_f32 v5, s[22:23], v16, v16, v4
	v_rcp_f32_e32 v12, v5
	v_fma_f32 v2, -v11, v14, v2
	v_div_scale_f32 v13, vcc, v4, v16, v4
	v_fma_f32 v14, -v5, v12, 1.0
	v_fmac_f32_e32 v12, v14, v12
	v_mul_f32_e32 v14, v13, v12
	v_fma_f32 v18, -v5, v14, v13
	v_fmac_f32_e32 v14, v18, v12
	v_fma_f32 v5, -v5, v14, v13
	v_div_fmas_f32 v5, v5, v12, v14
	v_div_fixup_f32 v12, v5, v16, v4
	ds_read_b64 v[4:5], v8 offset:264
	v_fma_f32 v2, -v12, v17, v2
	v_mov_b32_e32 v16, s21
	ds_read_b32 v16, v16 offset:12
	ds_read_b32 v8, v8 offset:396
	s_waitcnt lgkmcnt(2)
	v_div_scale_f32 v13, s[22:23], v4, v4, v2
	v_rcp_f32_e32 v14, v13
	v_fma_f32 v3, -v11, v15, v3
	s_waitcnt lgkmcnt(1)
	v_fma_f32 v3, -v12, v16, v3
	s_add_i32 s21, s19, 4
	v_fma_f32 v17, -v13, v14, 1.0
	v_fmac_f32_e32 v14, v17, v14
	v_div_scale_f32 v17, vcc, v2, v4, v2
	v_mul_f32_e32 v18, v17, v14
	v_fma_f32 v19, -v13, v18, v17
	v_fmac_f32_e32 v18, v19, v14
	v_fma_f32 v13, -v13, v18, v17
	v_div_fmas_f32 v13, v13, v14, v18
	v_div_fixup_f32 v2, v13, v4, v2
	v_fma_f32 v3, -v2, v5, v3
	s_waitcnt lgkmcnt(0)
	v_div_scale_f32 v4, s[22:23], v8, v8, v3
	v_rcp_f32_e32 v5, v4
	ds_write_b32 v9, v11
	ds_write_b32 v7, v12
	;; [unrolled: 1-line block ×3, first 2 shown]
	s_add_i32 s19, s19, 7
	s_not_b64 s[14:15], s[14:15]
	v_fma_f32 v2, -v4, v5, 1.0
	v_fmac_f32_e32 v5, v2, v5
	v_div_scale_f32 v2, vcc, v3, v8, v3
	v_mul_f32_e32 v7, v2, v5
	v_fma_f32 v9, -v4, v7, v2
	v_fmac_f32_e32 v7, v9, v5
	v_fma_f32 v2, -v4, v7, v2
	v_div_fmas_f32 v2, v2, v5, v7
	v_div_fixup_f32 v2, v2, v8, v3
	s_cmp_ge_i32 s19, s1
	ds_write_b32 v6, v2
	s_cbranch_scc1 .LBB40_41
; %bb.40:                               ;   in Loop: Header=BB40_31 Depth=1
	s_mov_b32 s19, s21
	s_branch .LBB40_31
.LBB40_41:
	s_cmp_ge_i32 s21, s1
	s_cbranch_scc1 .LBB40_52
; %bb.42:
	v_mov_b32_e32 v1, 0x1000
	s_add_i32 s14, s21, -1
	v_lshl_or_b32 v1, v0, 2, v1
	s_lshl_b32 s15, s21, 2
	s_mov_b32 s18, 0
	v_lshlrev_b32_e32 v2, 2, v0
	s_mov_b32 s19, s21
	s_branch .LBB40_44
.LBB40_43:                              ;   in Loop: Header=BB40_44 Depth=1
	s_mul_i32 s22, s21, 0x84
	v_mov_b32_e32 v5, s22
	ds_read_b32 v5, v5
	v_add_u32_e32 v4, 0x1000, v4
	s_add_i32 s21, s21, 1
	s_add_i32 s18, s18, 1
	;; [unrolled: 1-line block ×3, first 2 shown]
	s_waitcnt lgkmcnt(0)
	v_div_scale_f32 v6, s[22:23], v5, v5, v3
	v_rcp_f32_e32 v7, v6
	v_div_scale_f32 v8, vcc, v3, v5, v3
	s_cmp_ge_i32 s21, s1
	v_fma_f32 v9, -v6, v7, 1.0
	v_fmac_f32_e32 v7, v9, v7
	v_mul_f32_e32 v9, v8, v7
	v_fma_f32 v10, -v6, v9, v8
	v_fmac_f32_e32 v9, v10, v7
	v_fma_f32 v6, -v6, v9, v8
	v_div_fmas_f32 v6, v6, v7, v9
	v_div_fixup_f32 v3, v6, v5, v3
	ds_write_b32 v4, v3
	v_add_u16_e64 v3, s19, 1
	v_readfirstlane_b32 s19, v3
	s_cbranch_scc1 .LBB40_52
.LBB40_44:                              ; =>This Loop Header: Depth=1
                                        ;     Child Loop BB40_47 Depth 2
                                        ;     Child Loop BB40_51 Depth 2
	v_lshl_or_b32 v4, s21, 7, v2
	ds_read_b32 v3, v4 offset:4096
	s_cmp_eq_u32 s21, 0
	s_cbranch_scc1 .LBB40_43
; %bb.45:                               ;   in Loop: Header=BB40_44 Depth=1
	s_add_i32 s22, s14, s18
	s_cmp_lt_u32 s22, 7
	s_cbranch_scc1 .LBB40_49
; %bb.46:                               ;   in Loop: Header=BB40_44 Depth=1
	s_and_b32 s22, s21, -8
	s_mov_b32 s23, 0
	s_mov_b32 s24, s15
	v_mov_b32_e32 v5, v1
.LBB40_47:                              ;   Parent Loop BB40_44 Depth=1
                                        ; =>  This Inner Loop Header: Depth=2
	ds_read2_b32 v[6:7], v5 offset1:32
	v_mov_b32_e32 v20, s24
	ds_read2_b32 v[8:9], v5 offset0:64 offset1:96
	ds_read2_b32 v[10:11], v5 offset0:128 offset1:160
	;; [unrolled: 1-line block ×3, first 2 shown]
	ds_read2_b32 v[14:15], v20 offset1:32
	ds_read2_b32 v[16:17], v20 offset0:64 offset1:96
	ds_read2_b32 v[18:19], v20 offset0:128 offset1:160
	ds_read2_b32 v[20:21], v20 offset0:192 offset1:224
	s_add_i32 s23, s23, 8
	s_waitcnt lgkmcnt(3)
	v_fma_f32 v3, -v6, v14, v3
	v_fma_f32 v3, -v7, v15, v3
	s_waitcnt lgkmcnt(2)
	v_fma_f32 v3, -v8, v16, v3
	v_fma_f32 v3, -v9, v17, v3
	;; [unrolled: 3-line block ×3, first 2 shown]
	s_addk_i32 s24, 0x400
	s_waitcnt lgkmcnt(0)
	v_fma_f32 v3, -v12, v20, v3
	v_add_u32_e32 v5, 0x400, v5
	s_cmp_eq_u32 s22, s23
	v_fma_f32 v3, -v13, v21, v3
	s_cbranch_scc0 .LBB40_47
; %bb.48:                               ;   in Loop: Header=BB40_44 Depth=1
	s_and_b32 s23, s21, 7
	s_cmp_eq_u32 s23, 0
	s_cbranch_scc0 .LBB40_50
	s_branch .LBB40_43
.LBB40_49:                              ;   in Loop: Header=BB40_44 Depth=1
	s_mov_b32 s22, 0
	s_and_b32 s23, s21, 7
	s_cmp_eq_u32 s23, 0
	s_cbranch_scc1 .LBB40_43
.LBB40_50:                              ;   in Loop: Header=BB40_44 Depth=1
	s_and_b32 s23, s19, 7
	s_lshl_b32 s22, s22, 7
.LBB40_51:                              ;   Parent Loop BB40_44 Depth=1
                                        ; =>  This Inner Loop Header: Depth=2
	s_add_i32 s24, s15, s22
	v_add_u32_e32 v5, s22, v1
	v_mov_b32_e32 v6, s24
	ds_read_b32 v5, v5
	ds_read_b32 v6, v6
	s_addk_i32 s22, 0x80
	s_add_i32 s23, s23, -1
	s_cmp_lg_u32 s23, 0
	s_waitcnt lgkmcnt(0)
	v_fma_f32 v3, -v5, v6, v3
	s_cbranch_scc1 .LBB40_51
	s_branch .LBB40_43
.LBB40_52:
	s_mov_b64 s[14:15], 0
.LBB40_53:
	s_and_b64 vcc, exec, s[14:15]
	s_cbranch_vccz .LBB40_79
; %bb.54:
	s_andn2_b64 vcc, exec, s[12:13]
	s_mov_b32 s23, s9
	s_cbranch_vccnz .LBB40_66
; %bb.55:
	s_mul_i32 s14, s1, 0x84
	v_lshlrev_b32_e32 v1, 2, v0
	s_add_i32 s18, s14, 0xffffff70
	v_lshl_or_b32 v2, s1, 7, v1
	s_lshl_b32 s14, s1, 2
	v_add_u32_e32 v6, 0xf80, v2
	v_or_b32_e32 v7, 0xc80, v1
	s_add_i32 s19, s14, 0xfffffc70
	s_mov_b32 s21, 0
	s_mov_b64 s[14:15], 0
	s_mov_b32 s22, s9
.LBB40_56:                              ; =>This Loop Header: Depth=1
                                        ;     Child Loop BB40_59 Depth 2
                                        ;     Child Loop BB40_63 Depth 2
	s_lshl_b32 s25, s22, 5
	s_add_i32 s27, s22, -1
	v_or_b32_e32 v2, s25, v0
	s_lshl_b32 s26, s27, 5
	v_lshlrev_b32_e32 v8, 2, v2
	v_or_b32_e32 v2, s26, v0
	s_sub_i32 s23, s25, 64
	v_lshlrev_b32_e32 v9, 2, v2
	v_or_b32_e32 v2, s23, v0
	s_add_i32 s24, s22, -3
	v_lshlrev_b32_e32 v10, 2, v2
	v_lshl_or_b32 v11, s24, 7, v1
	ds_read_b32 v5, v8 offset:4096
	ds_read_b32 v4, v9 offset:4096
	;; [unrolled: 1-line block ×4, first 2 shown]
	s_cmp_le_i32 s9, s22
	s_cbranch_scc1 .LBB40_64
; %bb.57:                               ;   in Loop: Header=BB40_56 Depth=1
	s_lshl_b32 s29, s21, 2
	s_bitcmp0_b32 s29, 2
	s_cbranch_scc1 .LBB40_61
; %bb.58:                               ;   in Loop: Header=BB40_56 Depth=1
	v_cndmask_b32_e64 v12, 0, 1, s[14:15]
	v_readfirstlane_b32 s28, v12
	s_lshl_b32 s30, s28, 2
	v_mov_b32_e32 v12, v6
	s_mov_b32 s31, s18
	s_mov_b32 s28, s9
.LBB40_59:                              ;   Parent Loop BB40_56 Depth=1
                                        ; =>  This Inner Loop Header: Depth=2
	v_mov_b32_e32 v13, s31
	ds_read_b32 v14, v12
	ds_read2_b32 v[16:17], v13 offset0:2 offset1:3
	ds_read2_b32 v[18:19], v13 offset1:1
	s_add_i32 s28, s28, -1
	s_addk_i32 s31, 0xff80
	s_add_i32 s30, s30, -1
	v_add_u32_e32 v12, 0xffffff80, v12
	s_cmp_lg_u32 s30, 0
	s_waitcnt lgkmcnt(1)
	v_pk_fma_f32 v[4:5], v[14:15], v[16:17], v[4:5] op_sel_hi:[0,1,1] neg_lo:[1,0,0] neg_hi:[1,0,0]
	s_waitcnt lgkmcnt(0)
	v_pk_fma_f32 v[2:3], v[14:15], v[18:19], v[2:3] op_sel_hi:[0,1,1] neg_lo:[1,0,0] neg_hi:[1,0,0]
	s_cbranch_scc1 .LBB40_59
; %bb.60:                               ;   in Loop: Header=BB40_56 Depth=1
	s_add_i32 s29, s29, -1
	s_cmp_lt_u32 s29, 7
	s_cbranch_scc0 .LBB40_62
	s_branch .LBB40_64
.LBB40_61:                              ;   in Loop: Header=BB40_56 Depth=1
	s_mov_b32 s28, s9
	s_add_i32 s29, s29, -1
	s_cmp_lt_u32 s29, 7
	s_cbranch_scc1 .LBB40_64
.LBB40_62:                              ;   in Loop: Header=BB40_56 Depth=1
	s_lshl_b32 s29, s28, 7
	v_add_u32_e32 v12, s29, v7
	s_add_i32 s29, s19, s29
.LBB40_63:                              ;   Parent Loop BB40_56 Depth=1
                                        ; =>  This Inner Loop Header: Depth=2
	ds_read2_b32 v[14:15], v12 offset0:192 offset1:224
	ds_read2_b32 v[16:17], v12 offset0:128 offset1:160
	;; [unrolled: 1-line block ×3, first 2 shown]
	ds_read2_b32 v[20:21], v12 offset1:32
	v_mov_b32_e32 v13, s29
	ds_read2_b32 v[22:23], v13 offset0:226 offset1:227
	ds_read2_b32 v[24:25], v13 offset0:224 offset1:225
	;; [unrolled: 1-line block ×15, first 2 shown]
	ds_read2_b32 v[52:53], v13 offset1:1
	s_waitcnt lgkmcnt(14)
	v_mov_b32_e32 v56, v17
	v_mov_b32_e32 v54, v15
	v_pk_fma_f32 v[4:5], v[54:55], v[22:23], v[4:5] op_sel_hi:[0,1,1] neg_lo:[1,0,0] neg_hi:[1,0,0]
	v_pk_fma_f32 v[2:3], v[54:55], v[24:25], v[2:3] op_sel_hi:[0,1,1] neg_lo:[1,0,0] neg_hi:[1,0,0]
	s_waitcnt lgkmcnt(13)
	v_pk_fma_f32 v[4:5], v[14:15], v[26:27], v[4:5] op_sel_hi:[0,1,1] neg_lo:[1,0,0] neg_hi:[1,0,0]
	s_waitcnt lgkmcnt(12)
	;; [unrolled: 2-line block ×4, first 2 shown]
	v_pk_fma_f32 v[2:3], v[56:57], v[32:33], v[2:3] op_sel_hi:[0,1,1] neg_lo:[1,0,0] neg_hi:[1,0,0]
	v_mov_b32_e32 v58, v19
	s_waitcnt lgkmcnt(9)
	v_pk_fma_f32 v[4:5], v[16:17], v[34:35], v[4:5] op_sel_hi:[0,1,1] neg_lo:[1,0,0] neg_hi:[1,0,0]
	s_waitcnt lgkmcnt(8)
	v_pk_fma_f32 v[2:3], v[16:17], v[36:37], v[2:3] op_sel_hi:[0,1,1] neg_lo:[1,0,0] neg_hi:[1,0,0]
	;; [unrolled: 2-line block ×4, first 2 shown]
	v_mov_b32_e32 v60, v21
	s_waitcnt lgkmcnt(5)
	v_pk_fma_f32 v[4:5], v[18:19], v[42:43], v[4:5] op_sel_hi:[0,1,1] neg_lo:[1,0,0] neg_hi:[1,0,0]
	s_waitcnt lgkmcnt(4)
	v_pk_fma_f32 v[2:3], v[18:19], v[44:45], v[2:3] op_sel_hi:[0,1,1] neg_lo:[1,0,0] neg_hi:[1,0,0]
	s_add_i32 s28, s28, -8
	s_addk_i32 s29, 0xfc00
	s_waitcnt lgkmcnt(3)
	v_pk_fma_f32 v[4:5], v[60:61], v[46:47], v[4:5] op_sel_hi:[0,1,1] neg_lo:[1,0,0] neg_hi:[1,0,0]
	s_waitcnt lgkmcnt(2)
	v_pk_fma_f32 v[2:3], v[60:61], v[48:49], v[2:3] op_sel_hi:[0,1,1] neg_lo:[1,0,0] neg_hi:[1,0,0]
	v_add_u32_e32 v12, 0xfffffc00, v12
	s_cmp_le_i32 s28, s22
	s_waitcnt lgkmcnt(1)
	v_pk_fma_f32 v[4:5], v[20:21], v[50:51], v[4:5] op_sel_hi:[0,1,1] neg_lo:[1,0,0] neg_hi:[1,0,0]
	s_waitcnt lgkmcnt(0)
	v_pk_fma_f32 v[2:3], v[20:21], v[52:53], v[2:3] op_sel_hi:[0,1,1] neg_lo:[1,0,0] neg_hi:[1,0,0]
	s_cbranch_scc0 .LBB40_63
.LBB40_64:                              ;   in Loop: Header=BB40_56 Depth=1
	s_add_i32 s27, s25, s27
	s_add_i32 s25, s25, s24
	s_lshl_b32 s25, s25, 2
	s_add_i32 s26, s26, s24
	s_mul_i32 s28, s22, 0x84
	s_lshl_b32 s27, s27, 2
	v_mov_b32_e32 v16, s25
	s_lshl_b32 s25, s26, 2
	v_add_u32_e32 v12, 0x1000, v8
	v_add_u32_e32 v8, 0x1000, v11
	v_mov_b32_e32 v11, s27
	s_add_i32 s27, s28, 0xffffff7c
	v_mov_b32_e32 v18, s25
	v_mov_b32_e32 v13, s27
	ds_read2_b32 v[14:15], v11 offset1:1
	ds_read_b32 v11, v13
	ds_read2_b32 v[16:17], v16 offset1:1
	ds_read2_b32 v[18:19], v18 offset1:1
	s_add_i32 s23, s23, s24
	s_waitcnt lgkmcnt(3)
	v_div_scale_f32 v13, s[26:27], v15, v15, v5
	v_rcp_f32_e32 v20, v13
	s_lshl_b32 s23, s23, 2
	v_add_u32_e32 v9, 0x1000, v9
	v_add_u32_e32 v10, 0x1000, v10
	v_fma_f32 v21, -v13, v20, 1.0
	v_fmac_f32_e32 v20, v21, v20
	v_div_scale_f32 v21, vcc, v5, v15, v5
	v_mul_f32_e32 v22, v21, v20
	v_fma_f32 v23, -v13, v22, v21
	v_fmac_f32_e32 v22, v23, v20
	v_fma_f32 v13, -v13, v22, v21
	v_div_fmas_f32 v13, v13, v20, v22
	v_div_fixup_f32 v13, v13, v15, v5
	v_fma_f32 v4, -v13, v14, v4
	s_waitcnt lgkmcnt(2)
	v_div_scale_f32 v5, s[26:27], v11, v11, v4
	v_rcp_f32_e32 v14, v5
	s_waitcnt lgkmcnt(1)
	v_fma_f32 v3, -v13, v17, v3
	v_fma_f32 v2, -v13, v16, v2
	s_add_i32 s21, s21, 1
	v_fma_f32 v15, -v5, v14, 1.0
	v_fmac_f32_e32 v14, v15, v14
	v_div_scale_f32 v15, vcc, v4, v11, v4
	v_mul_f32_e32 v20, v15, v14
	v_fma_f32 v21, -v5, v20, v15
	v_fmac_f32_e32 v20, v21, v14
	v_fma_f32 v5, -v5, v20, v15
	v_div_fmas_f32 v5, v5, v14, v20
	v_div_fixup_f32 v11, v5, v11, v4
	v_mov_b32_e32 v4, s23
	ds_read2_b32 v[4:5], v4 offset1:1
	s_add_i32 s23, s28, 0xfffffe74
	s_waitcnt lgkmcnt(1)
	v_fma_f32 v3, -v11, v19, v3
	v_mov_b32_e32 v14, s23
	ds_read_b32 v14, v14
	s_waitcnt lgkmcnt(1)
	v_div_scale_f32 v15, s[24:25], v5, v5, v3
	v_rcp_f32_e32 v17, v15
	v_fma_f32 v2, -v11, v18, v2
	s_add_i32 s23, s22, -4
	s_add_i32 s18, s18, -16
	v_fma_f32 v19, -v15, v17, 1.0
	v_fmac_f32_e32 v17, v19, v17
	v_div_scale_f32 v19, vcc, v3, v5, v3
	v_mul_f32_e32 v20, v19, v17
	v_fma_f32 v21, -v15, v20, v19
	v_fmac_f32_e32 v20, v21, v17
	v_fma_f32 v15, -v15, v20, v19
	v_div_fmas_f32 v15, v15, v17, v20
	v_div_fixup_f32 v3, v15, v5, v3
	v_fma_f32 v2, -v3, v4, v2
	s_waitcnt lgkmcnt(0)
	v_div_scale_f32 v4, s[24:25], v14, v14, v2
	v_rcp_f32_e32 v5, v4
	ds_write_b32 v12, v13
	ds_write_b32 v9, v11
	;; [unrolled: 1-line block ×3, first 2 shown]
	s_not_b64 s[14:15], s[14:15]
	s_add_i32 s19, s19, -16
	v_fma_f32 v3, -v4, v5, 1.0
	v_fmac_f32_e32 v5, v3, v5
	v_div_scale_f32 v3, vcc, v2, v14, v2
	v_mul_f32_e32 v9, v3, v5
	v_fma_f32 v10, -v4, v9, v3
	v_fmac_f32_e32 v9, v10, v5
	v_fma_f32 v3, -v4, v9, v3
	v_div_fmas_f32 v3, v3, v5, v9
	v_div_fixup_f32 v2, v3, v14, v2
	s_cmp_lt_i32 s22, 7
	ds_write_b32 v8, v2
	s_cbranch_scc1 .LBB40_66
; %bb.65:                               ;   in Loop: Header=BB40_56 Depth=1
	s_mov_b32 s22, s23
	s_branch .LBB40_56
.LBB40_66:
	s_cmp_lt_i32 s23, 0
	s_cbranch_scc1 .LBB40_79
; %bb.67:
	s_bitcmp1_b32 s23, 0
	s_cselect_b64 s[14:15], -1, 0
	s_and_b64 vcc, exec, s[14:15]
	s_mov_b32 s14, s23
	s_cbranch_vccnz .LBB40_72
; %bb.68:
	v_lshlrev_b32_e32 v1, 2, v0
	v_lshl_or_b32 v2, s23, 7, v1
	ds_read_b32 v1, v2 offset:4096
	s_cmp_le_i32 s9, s23
	s_cbranch_scc1 .LBB40_71
; %bb.69:
	s_lshl_b32 s15, s1, 7
	s_lshl_b32 s14, s23, 2
	s_add_i32 s14, s15, s14
	v_lshl_or_b32 v3, v0, 2, s15
	s_addk_i32 s14, 0xff80
	v_add_u32_e32 v3, 0xf80, v3
	s_mov_b32 s15, s9
.LBB40_70:                              ; =>This Inner Loop Header: Depth=1
	v_mov_b32_e32 v5, s14
	ds_read_b32 v4, v3
	ds_read_b32 v5, v5
	s_add_i32 s15, s15, -1
	s_addk_i32 s14, 0xff80
	v_add_u32_e32 v3, 0xffffff80, v3
	s_cmp_gt_i32 s15, s23
	s_waitcnt lgkmcnt(0)
	v_fma_f32 v1, -v4, v5, v1
	s_cbranch_scc1 .LBB40_70
.LBB40_71:
	s_mul_i32 s14, s23, 0x84
	v_mov_b32_e32 v3, s14
	ds_read_b32 v3, v3
	v_add_u32_e32 v2, 0x1000, v2
	s_waitcnt lgkmcnt(0)
	v_div_scale_f32 v4, s[14:15], v3, v3, v1
	v_rcp_f32_e32 v5, v4
	v_div_scale_f32 v6, vcc, v1, v3, v1
	s_add_i32 s14, s23, -1
	v_fma_f32 v7, -v4, v5, 1.0
	v_fmac_f32_e32 v5, v7, v5
	v_mul_f32_e32 v7, v6, v5
	v_fma_f32 v8, -v4, v7, v6
	v_fmac_f32_e32 v7, v8, v5
	v_fma_f32 v4, -v4, v7, v6
	v_div_fmas_f32 v4, v4, v5, v7
	v_div_fixup_f32 v1, v4, v3, v1
	ds_write_b32 v2, v1
.LBB40_72:
	s_cmp_eq_u32 s23, 0
	s_cbranch_scc1 .LBB40_79
; %bb.73:
	s_lshl_b32 s15, s1, 7
	s_lshl_b32 s18, s14, 2
	v_lshl_or_b32 v1, v0, 2, s15
	s_add_i32 s18, s15, s18
	v_add_u32_e32 v1, 0xf80, v1
	s_add_i32 s15, s18, 0xffffff80
	s_addk_i32 s18, 0xff7c
	v_lshlrev_b32_e32 v2, 2, v0
	s_branch .LBB40_75
.LBB40_74:                              ;   in Loop: Header=BB40_75 Depth=1
	s_addk_i32 s19, 0xff7c
	v_add_u32_e32 v4, 0x1000, v5
	v_mov_b32_e32 v5, s19
	ds_read_b32 v5, v5
	s_add_i32 s19, s14, -2
	s_add_i32 s15, s15, -8
	;; [unrolled: 1-line block ×3, first 2 shown]
	s_cmp_lt_i32 s14, 2
	s_waitcnt lgkmcnt(0)
	v_div_scale_f32 v6, s[22:23], v5, v5, v3
	v_rcp_f32_e32 v7, v6
	v_div_scale_f32 v8, vcc, v3, v5, v3
	s_mov_b32 s14, s19
	v_fma_f32 v9, -v6, v7, 1.0
	v_fmac_f32_e32 v7, v9, v7
	v_mul_f32_e32 v9, v8, v7
	v_fma_f32 v10, -v6, v9, v8
	v_fmac_f32_e32 v9, v10, v7
	v_fma_f32 v6, -v6, v9, v8
	v_div_fmas_f32 v6, v6, v7, v9
	v_div_fixup_f32 v3, v6, v5, v3
	ds_write_b32 v4, v3
	s_cbranch_scc1 .LBB40_79
.LBB40_75:                              ; =>This Loop Header: Depth=1
                                        ;     Child Loop BB40_76 Depth 2
                                        ;     Child Loop BB40_78 Depth 2
	v_lshl_or_b32 v3, s14, 7, v2
	ds_read_b32 v4, v3 offset:4096
	s_cmp_le_i32 s9, s14
	s_mov_b32 s19, s15
	v_mov_b32_e32 v5, v1
	s_mov_b32 s21, s9
	s_cbranch_scc1 .LBB40_77
.LBB40_76:                              ;   Parent Loop BB40_75 Depth=1
                                        ; =>  This Inner Loop Header: Depth=2
	v_mov_b32_e32 v7, s19
	ds_read_b32 v6, v5
	ds_read_b32 v7, v7
	s_add_i32 s21, s21, -1
	s_addk_i32 s19, 0xff80
	v_add_u32_e32 v5, 0xffffff80, v5
	s_cmp_le_i32 s21, s14
	s_waitcnt lgkmcnt(0)
	v_fma_f32 v4, -v6, v7, v4
	s_cbranch_scc0 .LBB40_76
.LBB40_77:                              ;   in Loop: Header=BB40_75 Depth=1
	s_mul_i32 s19, s14, 0x84
	v_add_u32_e32 v6, 0x1000, v3
	v_mov_b32_e32 v3, s19
	ds_read_b32 v7, v3
	s_lshl_b32 s21, s14, 7
	s_addk_i32 s21, 0xff80
	v_lshl_or_b32 v5, v0, 2, s21
	ds_read_b32 v3, v5 offset:4096
	s_waitcnt lgkmcnt(1)
	v_div_scale_f32 v8, s[22:23], v7, v7, v4
	v_rcp_f32_e32 v9, v8
	v_div_scale_f32 v10, vcc, v4, v7, v4
	s_cmp_le_i32 s1, s14
	v_fma_f32 v11, -v8, v9, 1.0
	v_fmac_f32_e32 v9, v11, v9
	v_mul_f32_e32 v11, v10, v9
	v_fma_f32 v12, -v8, v11, v10
	v_fmac_f32_e32 v11, v12, v9
	v_fma_f32 v8, -v8, v11, v10
	v_div_fmas_f32 v8, v8, v9, v11
	v_div_fixup_f32 v4, v8, v7, v4
	ds_write_b32 v6, v4
	v_mov_b32_e32 v4, v1
	s_mov_b32 s21, s18
	s_mov_b32 s22, s1
	s_cbranch_scc1 .LBB40_74
.LBB40_78:                              ;   Parent Loop BB40_75 Depth=1
                                        ; =>  This Inner Loop Header: Depth=2
	v_mov_b32_e32 v7, s21
	ds_read_b32 v6, v4
	ds_read_b32 v7, v7
	s_add_i32 s22, s22, -1
	s_addk_i32 s21, 0xff80
	v_add_u32_e32 v4, 0xffffff80, v4
	s_cmp_gt_i32 s22, s14
	s_waitcnt lgkmcnt(0)
	v_fma_f32 v3, -v6, v7, v3
	s_cbranch_scc1 .LBB40_78
	s_branch .LBB40_74
.LBB40_79:
	s_mov_b64 s[22:23], 0
.LBB40_80:
	s_andn2_b64 vcc, exec, s[22:23]
	s_cbranch_vccnz .LBB40_100
; %bb.81:
	s_andn2_b64 vcc, exec, s[12:13]
	s_mov_b32 s14, s9
	s_cbranch_vccnz .LBB40_87
; %bb.82:
	v_lshlrev_b32_e32 v1, 2, v0
	s_mul_i32 s12, s1, 0x84
	v_lshl_or_b32 v2, s1, 7, v1
	s_addk_i32 s12, 0xfdf0
	v_add_u32_e32 v2, 0xe00, v2
	s_mov_b32 s13, s9
.LBB40_83:                              ; =>This Loop Header: Depth=1
                                        ;     Child Loop BB40_84 Depth 2
	s_lshl_b32 s15, s13, 5
	v_or_b32_e32 v3, s15, v0
	s_sub_i32 s18, s15, 64
	v_lshlrev_b32_e32 v7, 2, v3
	v_or_b32_e32 v3, s18, v0
	s_addk_i32 s15, 0xffa0
	s_add_i32 s14, s13, -1
	v_lshlrev_b32_e32 v10, 2, v3
	v_or_b32_e32 v3, s15, v0
	v_lshl_or_b32 v9, s14, 7, v1
	v_lshlrev_b32_e32 v11, 2, v3
	ds_read_b32 v6, v7 offset:4096
	ds_read_b32 v5, v9 offset:4096
	;; [unrolled: 1-line block ×4, first 2 shown]
	s_cmp_le_i32 s9, s13
	v_mov_b32_e32 v8, v2
	s_mov_b32 s19, s12
	s_mov_b32 s21, s9
	s_cbranch_scc1 .LBB40_85
.LBB40_84:                              ;   Parent Loop BB40_83 Depth=1
                                        ; =>  This Inner Loop Header: Depth=2
	ds_read2_b32 v[12:13], v8 offset0:64 offset1:96
	v_mov_b32_e32 v30, s19
	ds_read2_b32 v[14:15], v8 offset1:32
	ds_read2_b32 v[16:17], v30 offset0:98 offset1:99
	ds_read2_b32 v[18:19], v30 offset0:96 offset1:97
	;; [unrolled: 1-line block ×7, first 2 shown]
	ds_read2_b32 v[30:31], v30 offset1:1
	s_add_i32 s21, s21, -4
	s_waitcnt lgkmcnt(7)
	v_fma_f32 v6, -v13, v17, v6
	s_waitcnt lgkmcnt(5)
	v_fma_f32 v5, -v13, v21, v5
	s_waitcnt lgkmcnt(3)
	v_fma_f32 v4, -v13, v25, v4
	s_waitcnt lgkmcnt(1)
	v_fma_f32 v3, -v13, v29, v3
	v_fma_f32 v6, -v12, v16, v6
	v_fma_f32 v5, -v12, v20, v5
	;; [unrolled: 1-line block ×4, first 2 shown]
	s_add_i32 s19, s19, -16
	v_fma_f32 v6, -v15, v19, v6
	v_fma_f32 v5, -v15, v23, v5
	;; [unrolled: 1-line block ×3, first 2 shown]
	s_waitcnt lgkmcnt(0)
	v_fma_f32 v3, -v15, v31, v3
	v_add_u32_e32 v8, 0xfffffe00, v8
	s_cmp_le_i32 s21, s13
	v_fma_f32 v6, -v14, v18, v6
	v_fma_f32 v5, -v14, v22, v5
	;; [unrolled: 1-line block ×4, first 2 shown]
	s_cbranch_scc0 .LBB40_84
.LBB40_85:                              ;   in Loop: Header=BB40_83 Depth=1
	s_add_i32 s18, s18, s13
	s_mul_i32 s21, s13, 0x84
	s_lshl_b32 s18, s18, 2
	s_add_i32 s19, s21, 0xffffff7c
	v_mov_b32_e32 v14, s18
	s_add_i32 s18, s21, 0xfffffef8
	v_add_u32_e32 v8, 0x1000, v7
	v_add_u32_e32 v7, 0x1000, v11
	v_mov_b32_e32 v11, s21
	v_mov_b32_e32 v12, s19
	;; [unrolled: 1-line block ×3, first 2 shown]
	ds_read_b32 v11, v11
	ds_read2_b32 v[12:13], v12 offset1:1
	ds_read_b32 v16, v14
	ds_read2_b32 v[14:15], v15 offset1:1
	s_add_i32 s15, s15, s14
	s_waitcnt lgkmcnt(3)
	v_div_scale_f32 v17, s[18:19], v11, v11, v6
	v_rcp_f32_e32 v18, v17
	s_lshl_b32 s14, s15, 2
	v_add_u32_e32 v9, 0x1000, v9
	v_add_u32_e32 v10, 0x1000, v10
	v_fma_f32 v19, -v17, v18, 1.0
	v_fmac_f32_e32 v18, v19, v18
	v_div_scale_f32 v19, vcc, v6, v11, v6
	v_mul_f32_e32 v20, v19, v18
	v_fma_f32 v21, -v17, v20, v19
	v_fmac_f32_e32 v20, v21, v18
	v_fma_f32 v17, -v17, v20, v19
	v_div_fmas_f32 v17, v17, v18, v20
	v_div_fixup_f32 v6, v17, v11, v6
	s_waitcnt lgkmcnt(2)
	v_fma_f32 v5, -v6, v13, v5
	v_div_scale_f32 v11, s[18:19], v12, v12, v5
	v_rcp_f32_e32 v13, v11
	s_waitcnt lgkmcnt(1)
	v_fma_f32 v4, -v6, v16, v4
	s_addk_i32 s12, 0xfe00
	v_fma_f32 v17, -v11, v13, 1.0
	v_fmac_f32_e32 v13, v17, v13
	v_div_scale_f32 v17, vcc, v5, v12, v5
	v_mul_f32_e32 v18, v17, v13
	v_fma_f32 v19, -v11, v18, v17
	v_fmac_f32_e32 v18, v19, v13
	v_fma_f32 v11, -v11, v18, v17
	v_div_fmas_f32 v11, v11, v13, v18
	v_div_fixup_f32 v11, v11, v12, v5
	s_waitcnt lgkmcnt(0)
	v_fma_f32 v15, -v11, v15, v4
	v_div_scale_f32 v4, s[18:19], v14, v14, v15
	v_rcp_f32_e32 v16, v4
	v_fma_f32 v5, -v4, v16, 1.0
	v_fmac_f32_e32 v16, v5, v16
	v_div_scale_f32 v5, vcc, v15, v14, v15
	v_mul_f32_e32 v17, v5, v16
	v_fma_f32 v12, -v4, v17, v5
	v_fmac_f32_e32 v17, v12, v16
	v_fma_f32 v18, -v4, v17, v5
	v_mov_b32_e32 v4, s14
	s_add_i32 s14, s21, 0xfffffe74
	v_mov_b32_e32 v12, s14
	ds_read2_b32 v[4:5], v4 offset1:1
	ds_read2_b32 v[12:13], v12 offset1:1
	v_div_fmas_f32 v16, v18, v16, v17
	v_div_fixup_f32 v14, v16, v14, v15
	ds_write_b32 v8, v6
	ds_write_b32 v9, v11
	ds_write_b32 v10, v14
	s_waitcnt lgkmcnt(4)
	v_fma_f32 v3, -v6, v5, v3
	v_fma_f32 v3, -v11, v4, v3
	s_waitcnt lgkmcnt(3)
	v_fma_f32 v3, -v14, v13, v3
	v_div_scale_f32 v4, s[14:15], v12, v12, v3
	v_rcp_f32_e32 v5, v4
	s_add_i32 s14, s13, -4
	s_cmp_lt_i32 s13, 7
	v_fma_f32 v6, -v4, v5, 1.0
	v_fmac_f32_e32 v5, v6, v5
	v_div_scale_f32 v6, vcc, v3, v12, v3
	v_mul_f32_e32 v8, v6, v5
	v_fma_f32 v9, -v4, v8, v6
	v_fmac_f32_e32 v8, v9, v5
	v_fma_f32 v4, -v4, v8, v6
	v_div_fmas_f32 v4, v4, v5, v8
	v_div_fixup_f32 v3, v4, v12, v3
	ds_write_b32 v7, v3
	s_cbranch_scc1 .LBB40_87
; %bb.86:                               ;   in Loop: Header=BB40_83 Depth=1
	s_mov_b32 s13, s14
	s_branch .LBB40_83
.LBB40_87:
	s_cmp_lt_i32 s14, 0
	s_cbranch_scc1 .LBB40_100
; %bb.88:
	s_bitcmp1_b32 s14, 0
	s_cselect_b64 s[12:13], -1, 0
	s_and_b64 vcc, exec, s[12:13]
	s_mov_b32 s12, s14
	s_cbranch_vccnz .LBB40_93
; %bb.89:
	v_lshlrev_b32_e32 v3, 2, v0
	v_lshl_or_b32 v2, s14, 7, v3
	ds_read_b32 v1, v2 offset:4096
	s_cmp_le_i32 s9, s14
	s_cbranch_scc1 .LBB40_92
; %bb.90:
	s_lshl_b32 s12, s14, 7
	s_lshl_b32 s13, s1, 2
	s_add_i32 s12, s12, s13
	v_lshl_or_b32 v3, s1, 7, v3
	s_add_i32 s12, s12, -4
	v_add_u32_e32 v3, 0xf80, v3
	s_mov_b32 s13, s9
.LBB40_91:                              ; =>This Inner Loop Header: Depth=1
	v_mov_b32_e32 v5, s12
	ds_read_b32 v4, v3
	ds_read_b32 v5, v5
	s_add_i32 s13, s13, -1
	s_add_i32 s12, s12, -4
	v_add_u32_e32 v3, 0xffffff80, v3
	s_cmp_gt_i32 s13, s14
	s_waitcnt lgkmcnt(0)
	v_fma_f32 v1, -v4, v5, v1
	s_cbranch_scc1 .LBB40_91
.LBB40_92:
	s_mul_i32 s12, s14, 0x84
	v_mov_b32_e32 v3, s12
	ds_read_b32 v3, v3
	v_add_u32_e32 v2, 0x1000, v2
	s_waitcnt lgkmcnt(0)
	v_div_scale_f32 v4, s[12:13], v3, v3, v1
	v_rcp_f32_e32 v5, v4
	v_div_scale_f32 v6, vcc, v1, v3, v1
	s_add_i32 s12, s14, -1
	v_fma_f32 v7, -v4, v5, 1.0
	v_fmac_f32_e32 v5, v7, v5
	v_mul_f32_e32 v7, v6, v5
	v_fma_f32 v8, -v4, v7, v6
	v_fmac_f32_e32 v7, v8, v5
	v_fma_f32 v4, -v4, v7, v6
	v_div_fmas_f32 v4, v4, v5, v7
	v_div_fixup_f32 v1, v4, v3, v1
	ds_write_b32 v2, v1
.LBB40_93:
	s_cmp_eq_u32 s14, 0
	s_cbranch_scc1 .LBB40_100
; %bb.94:
	v_lshlrev_b32_e32 v1, 2, v0
	s_lshl_b32 s13, s12, 7
	s_lshl_b32 s14, s1, 2
	v_lshl_or_b32 v2, s1, 7, v1
	s_add_i32 s14, s13, s14
	v_add_u32_e32 v2, 0xf80, v2
	s_add_i32 s13, s14, -4
	s_addk_i32 s14, 0xff7c
	s_branch .LBB40_96
.LBB40_95:                              ;   in Loop: Header=BB40_96 Depth=1
	s_addk_i32 s15, 0xff7c
	v_add_u32_e32 v4, 0x1000, v5
	v_mov_b32_e32 v5, s15
	ds_read_b32 v5, v5
	s_add_i32 s15, s12, -2
	s_addk_i32 s13, 0xff00
	s_addk_i32 s14, 0xff00
	s_cmp_lt_i32 s12, 2
	s_waitcnt lgkmcnt(0)
	v_div_scale_f32 v6, s[18:19], v5, v5, v3
	v_rcp_f32_e32 v7, v6
	v_div_scale_f32 v8, vcc, v3, v5, v3
	s_mov_b32 s12, s15
	v_fma_f32 v9, -v6, v7, 1.0
	v_fmac_f32_e32 v7, v9, v7
	v_mul_f32_e32 v9, v8, v7
	v_fma_f32 v10, -v6, v9, v8
	v_fmac_f32_e32 v9, v10, v7
	v_fma_f32 v6, -v6, v9, v8
	v_div_fmas_f32 v6, v6, v7, v9
	v_div_fixup_f32 v3, v6, v5, v3
	ds_write_b32 v4, v3
	s_cbranch_scc1 .LBB40_100
.LBB40_96:                              ; =>This Loop Header: Depth=1
                                        ;     Child Loop BB40_97 Depth 2
                                        ;     Child Loop BB40_99 Depth 2
	v_lshl_or_b32 v3, s12, 7, v1
	ds_read_b32 v4, v3 offset:4096
	s_cmp_le_i32 s9, s12
	s_mov_b32 s15, s13
	v_mov_b32_e32 v5, v2
	s_mov_b32 s18, s9
	s_cbranch_scc1 .LBB40_98
.LBB40_97:                              ;   Parent Loop BB40_96 Depth=1
                                        ; =>  This Inner Loop Header: Depth=2
	v_mov_b32_e32 v7, s15
	ds_read_b32 v6, v5
	ds_read_b32 v7, v7
	s_add_i32 s18, s18, -1
	s_add_i32 s15, s15, -4
	v_add_u32_e32 v5, 0xffffff80, v5
	s_cmp_le_i32 s18, s12
	s_waitcnt lgkmcnt(0)
	v_fma_f32 v4, -v6, v7, v4
	s_cbranch_scc0 .LBB40_97
.LBB40_98:                              ;   in Loop: Header=BB40_96 Depth=1
	s_mul_i32 s15, s12, 0x84
	v_add_u32_e32 v6, 0x1000, v3
	v_mov_b32_e32 v3, s15
	ds_read_b32 v7, v3
	s_lshl_b32 s18, s12, 7
	s_addk_i32 s18, 0xff80
	v_lshl_or_b32 v5, v0, 2, s18
	ds_read_b32 v3, v5 offset:4096
	s_waitcnt lgkmcnt(1)
	v_div_scale_f32 v8, s[18:19], v7, v7, v4
	v_rcp_f32_e32 v9, v8
	v_div_scale_f32 v10, vcc, v4, v7, v4
	s_cmp_le_i32 s1, s12
	v_fma_f32 v11, -v8, v9, 1.0
	v_fmac_f32_e32 v9, v11, v9
	v_mul_f32_e32 v11, v10, v9
	v_fma_f32 v12, -v8, v11, v10
	v_fmac_f32_e32 v11, v12, v9
	v_fma_f32 v8, -v8, v11, v10
	v_div_fmas_f32 v8, v8, v9, v11
	v_div_fixup_f32 v4, v8, v7, v4
	ds_write_b32 v6, v4
	v_mov_b32_e32 v4, v2
	s_mov_b32 s18, s14
	s_mov_b32 s19, s1
	s_cbranch_scc1 .LBB40_95
.LBB40_99:                              ;   Parent Loop BB40_96 Depth=1
                                        ; =>  This Inner Loop Header: Depth=2
	v_mov_b32_e32 v7, s18
	ds_read_b32 v6, v4
	ds_read_b32 v7, v7
	s_add_i32 s19, s19, -1
	s_add_i32 s18, s18, -4
	v_add_u32_e32 v4, 0xffffff80, v4
	s_cmp_gt_i32 s19, s12
	s_waitcnt lgkmcnt(0)
	v_fma_f32 v3, -v6, v7, v3
	s_cbranch_scc1 .LBB40_99
	s_branch .LBB40_95
.LBB40_100:
	s_mov_b64 s[22:23], 0
.LBB40_101:
	s_andn2_b64 vcc, exec, s[22:23]
	s_cbranch_vccnz .LBB40_120
; %bb.102:
	s_cmp_lt_i32 s20, 4
	s_mov_b32 s13, 0
	s_cbranch_scc1 .LBB40_109
; %bb.103:
	v_mov_b32_e32 v1, 0x1000
	v_lshl_or_b32 v1, v0, 2, v1
	s_mov_b32 s9, 0
	s_mov_b32 s12, 0
.LBB40_104:                             ; =>This Loop Header: Depth=1
                                        ;     Child Loop BB40_106 Depth 2
	s_lshl_b32 s13, s12, 5
	v_or_b32_e32 v2, s13, v0
	s_or_b32 s15, s13, 32
	v_lshlrev_b32_e32 v6, 2, v2
	v_or_b32_e32 v2, s15, v0
	s_or_b32 s14, s13, 64
	v_lshlrev_b32_e32 v7, 2, v2
	;; [unrolled: 3-line block ×3, first 2 shown]
	v_or_b32_e32 v2, s13, v0
	v_lshlrev_b32_e32 v10, 2, v2
	ds_read_b32 v5, v6 offset:4096
	ds_read_b32 v4, v7 offset:4096
	;; [unrolled: 1-line block ×4, first 2 shown]
	s_cmp_eq_u32 s12, 0
	s_cbranch_scc1 .LBB40_107
; %bb.105:                              ;   in Loop: Header=BB40_104 Depth=1
	s_mov_b32 s18, 0
	s_mov_b32 s19, s9
	v_mov_b32_e32 v8, v1
.LBB40_106:                             ;   Parent Loop BB40_104 Depth=1
                                        ; =>  This Inner Loop Header: Depth=2
	v_mov_b32_e32 v11, s19
	ds_read2_b32 v[28:29], v8 offset1:32
	ds_read2_b32 v[30:31], v8 offset0:64 offset1:96
	ds_read_b128 v[12:15], v11
	ds_read_b128 v[16:19], v11 offset:128
	ds_read_b128 v[20:23], v11 offset:256
	;; [unrolled: 1-line block ×3, first 2 shown]
	s_add_i32 s18, s18, 4
	s_add_i32 s19, s19, 16
	s_waitcnt lgkmcnt(3)
	v_fma_f32 v5, -v28, v12, v5
	s_waitcnt lgkmcnt(2)
	v_fma_f32 v4, -v28, v16, v4
	;; [unrolled: 2-line block ×4, first 2 shown]
	v_fma_f32 v5, -v29, v13, v5
	v_fma_f32 v4, -v29, v17, v4
	;; [unrolled: 1-line block ×8, first 2 shown]
	v_add_u32_e32 v8, 0x200, v8
	s_cmp_ge_u32 s18, s12
	v_fma_f32 v5, -v31, v15, v5
	v_fma_f32 v4, -v31, v19, v4
	;; [unrolled: 1-line block ×4, first 2 shown]
	s_cbranch_scc0 .LBB40_106
.LBB40_107:                             ;   in Loop: Header=BB40_104 Depth=1
	s_mul_i32 s18, s12, 0x84
	v_add_u32_e32 v8, 0x1000, v6
	v_add_u32_e32 v6, 0x1000, v10
	v_mov_b32_e32 v10, s18
	ds_read_b32 v15, v10
	s_add_i32 s15, s15, s12
	s_add_i32 s14, s14, s12
	s_lshl_b32 s15, s15, 2
	s_lshl_b32 s14, s14, 2
	v_mov_b32_e32 v11, s15
	v_mov_b32_e32 v12, s14
	s_waitcnt lgkmcnt(0)
	v_div_scale_f32 v16, s[14:15], v15, v15, v5
	v_rcp_f32_e32 v17, v16
	ds_read_b64 v[10:11], v11
	ds_read_b96 v[12:14], v12
	s_add_i32 s13, s13, s12
	s_lshl_b32 s13, s13, 2
	v_fma_f32 v18, -v16, v17, 1.0
	v_fmac_f32_e32 v17, v18, v17
	v_div_scale_f32 v18, vcc, v5, v15, v5
	v_mul_f32_e32 v19, v18, v17
	v_fma_f32 v20, -v16, v19, v18
	v_fmac_f32_e32 v19, v20, v17
	v_fma_f32 v16, -v16, v19, v18
	v_div_fmas_f32 v16, v16, v17, v19
	v_div_fixup_f32 v5, v16, v15, v5
	s_waitcnt lgkmcnt(1)
	v_fma_f32 v4, -v5, v10, v4
	v_div_scale_f32 v10, s[14:15], v11, v11, v4
	v_rcp_f32_e32 v15, v10
	s_waitcnt lgkmcnt(0)
	v_fma_f32 v3, -v5, v12, v3
	v_add_u32_e32 v7, 0x1000, v7
	v_add_u32_e32 v9, 0x1000, v9
	v_fma_f32 v16, -v10, v15, 1.0
	v_fmac_f32_e32 v15, v16, v15
	v_div_scale_f32 v16, vcc, v4, v11, v4
	v_mul_f32_e32 v17, v16, v15
	v_fma_f32 v18, -v10, v17, v16
	v_fmac_f32_e32 v17, v18, v15
	v_fma_f32 v10, -v10, v17, v16
	v_div_fmas_f32 v10, v10, v15, v17
	v_div_fixup_f32 v4, v10, v11, v4
	v_fma_f32 v3, -v4, v13, v3
	v_div_scale_f32 v15, s[14:15], v14, v14, v3
	v_rcp_f32_e32 v16, v15
	v_div_scale_f32 v17, vcc, v3, v14, v3
	s_addk_i32 s9, 0x200
	v_fma_f32 v10, -v15, v16, 1.0
	v_fmac_f32_e32 v16, v10, v16
	v_mul_f32_e32 v18, v17, v16
	v_fma_f32 v10, -v15, v18, v17
	v_fmac_f32_e32 v18, v10, v16
	v_mov_b32_e32 v10, s13
	ds_read_b128 v[10:13], v10
	v_fma_f32 v15, -v15, v18, v17
	v_div_fmas_f32 v15, v15, v16, v18
	v_div_fixup_f32 v3, v15, v14, v3
	ds_write_b32 v8, v5
	ds_write_b32 v7, v4
	;; [unrolled: 1-line block ×3, first 2 shown]
	s_waitcnt lgkmcnt(3)
	v_fma_f32 v2, -v5, v10, v2
	v_fma_f32 v2, -v4, v11, v2
	;; [unrolled: 1-line block ×3, first 2 shown]
	v_div_scale_f32 v10, s[14:15], v13, v13, v2
	v_rcp_f32_e32 v11, v10
	s_add_i32 s13, s12, 4
	s_add_i32 s12, s12, 7
	s_cmp_ge_i32 s12, s1
	v_fma_f32 v3, -v10, v11, 1.0
	v_fmac_f32_e32 v11, v3, v11
	v_div_scale_f32 v3, vcc, v2, v13, v2
	v_mul_f32_e32 v4, v3, v11
	v_fma_f32 v5, -v10, v4, v3
	v_fmac_f32_e32 v4, v5, v11
	v_fma_f32 v3, -v10, v4, v3
	v_div_fmas_f32 v3, v3, v11, v4
	v_div_fixup_f32 v2, v3, v13, v2
	ds_write_b32 v6, v2
	s_cbranch_scc1 .LBB40_109
; %bb.108:                              ;   in Loop: Header=BB40_104 Depth=1
	s_mov_b32 s12, s13
	s_branch .LBB40_104
.LBB40_109:
	s_cmp_ge_i32 s13, s1
	s_cbranch_scc1 .LBB40_120
; %bb.110:
	v_mov_b32_e32 v1, 0x1000
	s_add_i32 s9, s13, -1
	v_lshl_or_b32 v1, v0, 2, v1
	s_lshl_b32 s12, s13, 7
	s_mov_b32 s14, 0
	v_lshlrev_b32_e32 v2, 2, v0
	s_mov_b32 s15, s13
	s_branch .LBB40_112
.LBB40_111:                             ;   in Loop: Header=BB40_112 Depth=1
	s_mul_i32 s18, s13, 0x84
	v_mov_b32_e32 v5, s18
	ds_read_b32 v5, v5
	v_add_u32_e32 v4, 0x1000, v4
	s_add_i32 s13, s13, 1
	s_add_i32 s14, s14, 1
	s_addk_i32 s12, 0x80
	s_waitcnt lgkmcnt(0)
	v_div_scale_f32 v6, s[18:19], v5, v5, v3
	v_rcp_f32_e32 v7, v6
	v_div_scale_f32 v8, vcc, v3, v5, v3
	s_cmp_ge_i32 s13, s1
	v_fma_f32 v9, -v6, v7, 1.0
	v_fmac_f32_e32 v7, v9, v7
	v_mul_f32_e32 v9, v8, v7
	v_fma_f32 v10, -v6, v9, v8
	v_fmac_f32_e32 v9, v10, v7
	v_fma_f32 v6, -v6, v9, v8
	v_div_fmas_f32 v6, v6, v7, v9
	v_div_fixup_f32 v3, v6, v5, v3
	ds_write_b32 v4, v3
	v_add_u16_e64 v3, s15, 1
	v_readfirstlane_b32 s15, v3
	s_cbranch_scc1 .LBB40_120
.LBB40_112:                             ; =>This Loop Header: Depth=1
                                        ;     Child Loop BB40_115 Depth 2
                                        ;     Child Loop BB40_119 Depth 2
	v_lshl_or_b32 v4, s13, 7, v2
	ds_read_b32 v3, v4 offset:4096
	s_cmp_eq_u32 s13, 0
	s_cbranch_scc1 .LBB40_111
; %bb.113:                              ;   in Loop: Header=BB40_112 Depth=1
	s_add_i32 s18, s9, s14
	s_cmp_lt_u32 s18, 7
	s_cbranch_scc1 .LBB40_117
; %bb.114:                              ;   in Loop: Header=BB40_112 Depth=1
	s_and_b32 s18, s13, -8
	s_mov_b32 s19, 0
	s_mov_b32 s21, s12
	v_mov_b32_e32 v5, v1
.LBB40_115:                             ;   Parent Loop BB40_112 Depth=1
                                        ; =>  This Inner Loop Header: Depth=2
	v_mov_b32_e32 v10, s21
	ds_read2_b32 v[14:15], v5 offset1:32
	ds_read2_b32 v[16:17], v5 offset0:64 offset1:96
	ds_read2_b32 v[18:19], v5 offset0:128 offset1:160
	;; [unrolled: 1-line block ×3, first 2 shown]
	ds_read_b128 v[6:9], v10
	ds_read_b128 v[10:13], v10 offset:16
	s_add_i32 s19, s19, 8
	s_add_i32 s21, s21, 32
	v_add_u32_e32 v5, 0x400, v5
	s_waitcnt lgkmcnt(1)
	v_fma_f32 v3, -v14, v6, v3
	v_fma_f32 v3, -v15, v7, v3
	v_fma_f32 v3, -v16, v8, v3
	v_fma_f32 v3, -v17, v9, v3
	s_waitcnt lgkmcnt(0)
	v_fma_f32 v3, -v18, v10, v3
	v_fma_f32 v3, -v19, v11, v3
	;; [unrolled: 1-line block ×3, first 2 shown]
	s_cmp_eq_u32 s18, s19
	v_fma_f32 v3, -v21, v13, v3
	s_cbranch_scc0 .LBB40_115
; %bb.116:                              ;   in Loop: Header=BB40_112 Depth=1
	s_and_b32 s19, s13, 7
	s_cmp_eq_u32 s19, 0
	s_cbranch_scc0 .LBB40_118
	s_branch .LBB40_111
.LBB40_117:                             ;   in Loop: Header=BB40_112 Depth=1
	s_mov_b32 s18, 0
	s_and_b32 s19, s13, 7
	s_cmp_eq_u32 s19, 0
	s_cbranch_scc1 .LBB40_111
.LBB40_118:                             ;   in Loop: Header=BB40_112 Depth=1
	s_and_b32 s19, s15, 7
	s_lshl_b32 s21, s18, 2
	v_lshl_add_u32 v5, s18, 7, v1
.LBB40_119:                             ;   Parent Loop BB40_112 Depth=1
                                        ; =>  This Inner Loop Header: Depth=2
	s_add_i32 s18, s12, s21
	v_mov_b32_e32 v7, s18
	ds_read_b32 v6, v5
	ds_read_b32 v7, v7
	s_add_i32 s21, s21, 4
	s_add_i32 s19, s19, -1
	v_add_u32_e32 v5, 0x80, v5
	s_cmp_lg_u32 s19, 0
	s_waitcnt lgkmcnt(0)
	v_fma_f32 v3, -v6, v7, v3
	s_cbranch_scc1 .LBB40_119
	s_branch .LBB40_111
.LBB40_120:
	s_and_saveexec_b64 s[12:13], s[6:7]
	s_cbranch_execz .LBB40_132
; %bb.121:
	s_cmp_lt_u32 s20, 2
	s_cselect_b64 s[6:7], -1, 0
	s_cmp_lg_u32 s8, 1
	s_cselect_b64 s[12:13], -1, 0
	s_or_b64 s[6:7], s[6:7], s[12:13]
	s_mov_b32 s1, 1
	s_and_b64 vcc, exec, s[6:7]
	s_cbranch_vccnz .LBB40_129
; %bb.122:
	s_add_i32 s6, s20, -2
	s_lshr_b32 s7, s6, 1
	s_add_i32 s7, s7, 1
	s_mov_b32 s9, 0
	s_cmp_lt_u32 s6, 14
	s_mov_b32 s6, s9
	s_cbranch_scc1 .LBB40_125
; %bb.123:
	s_mul_i32 s1, s17, s0
	s_mul_hi_u32 s6, s16, s0
	s_add_i32 s15, s6, s1
	s_mul_i32 s14, s16, s0
	s_and_b32 s12, s7, -8
	s_lshl_b64 s[14:15], s[14:15], 2
	s_add_u32 s1, s14, s4
	s_addc_u32 s6, s15, s5
	s_lshl_b64 s[14:15], s[2:3], 2
	s_add_u32 s1, s1, s14
	s_addc_u32 s6, s6, s15
	s_add_u32 s1, s10, s1
	v_lshlrev_b32_e32 v1, 2, v0
	s_addc_u32 s6, s11, s6
	v_mov_b32_e32 v2, s6
	v_add_co_u32_e32 v1, vcc, s1, v1
	v_addc_co_u32_e32 v3, vcc, 0, v2, vcc
	v_add_co_u32_e32 v2, vcc, 56, v1
	v_addc_co_u32_e32 v3, vcc, 0, v3, vcc
	s_mov_b32 s1, 1
	s_mov_b32 s6, 0
.LBB40_124:                             ; =>This Inner Loop Header: Depth=1
	s_lshl_b32 s13, s9, 5
	s_lshl_b32 s14, s1, 5
	v_or_b32_e32 v4, s13, v0
	s_add_i32 s15, s13, 64
	s_add_i32 s18, s14, 64
	;; [unrolled: 1-line block ×7, first 2 shown]
	s_addk_i32 s13, 0x1c0
	v_or_b32_e32 v1, s14, v0
	s_add_i32 s21, s14, 0x80
	s_add_i32 s23, s14, 0xc0
	;; [unrolled: 1-line block ×5, first 2 shown]
	s_addk_i32 s14, 0x1c0
	v_or_b32_e32 v5, s18, v0
	v_or_b32_e32 v6, s15, v0
	;; [unrolled: 1-line block ×8, first 2 shown]
	v_lshlrev_b32_e32 v4, 2, v4
	v_or_b32_e32 v7, s21, v0
	v_or_b32_e32 v9, s23, v0
	;; [unrolled: 1-line block ×6, first 2 shown]
	v_lshlrev_b32_e32 v6, 2, v6
	v_lshlrev_b32_e32 v19, 2, v5
	;; [unrolled: 1-line block ×15, first 2 shown]
	ds_read_b32 v4, v4 offset:4096
	ds_read_b32 v5, v1 offset:4096
	;; [unrolled: 1-line block ×16, first 2 shown]
	s_add_i32 s6, s6, 16
	s_add_i32 s1, s1, 16
	;; [unrolled: 1-line block ×3, first 2 shown]
	s_add_i32 s12, s12, -8
	s_waitcnt lgkmcnt(12)
	global_store_dwordx4 v[2:3], v[4:7], off offset:-56
	s_waitcnt lgkmcnt(8)
	global_store_dwordx4 v[2:3], v[8:11], off offset:-40
	;; [unrolled: 2-line block ×4, first 2 shown]
	v_add_co_u32_e32 v2, vcc, 64, v2
	s_cmp_lg_u32 s12, 0
	v_addc_co_u32_e32 v3, vcc, 0, v3, vcc
	s_cbranch_scc1 .LBB40_124
.LBB40_125:
	s_and_b32 s12, s7, 7
	s_cmp_eq_u32 s12, 0
	s_mov_b32 s7, 0
	s_cbranch_scc1 .LBB40_128
; %bb.126:
	s_mul_i32 s13, s17, s0
	s_mul_hi_u32 s14, s16, s0
	s_add_i32 s15, s14, s13
	s_mul_i32 s14, s16, s0
	s_lshl_b64 s[14:15], s[14:15], 2
	s_add_u32 s13, s14, s4
	s_addc_u32 s18, s15, s5
	s_lshl_b64 s[14:15], s[2:3], 2
	s_add_u32 s13, s13, s14
	s_addc_u32 s14, s18, s15
	;; [unrolled: 3-line block ×3, first 2 shown]
	s_add_u32 s6, s6, s13
	v_lshlrev_b32_e32 v1, 2, v0
	s_addc_u32 s7, s7, s14
	v_mov_b32_e32 v3, s7
	v_add_co_u32_e32 v2, vcc, s6, v1
	v_addc_co_u32_e32 v3, vcc, 0, v3, vcc
.LBB40_127:                             ; =>This Inner Loop Header: Depth=1
	v_lshl_or_b32 v4, s9, 7, v1
	v_lshl_or_b32 v5, s1, 7, v1
	ds_read_b32 v4, v4 offset:4096
	ds_read_b32 v5, v5 offset:4096
	s_add_i32 s1, s1, 2
	s_add_i32 s9, s9, 2
	s_add_i32 s12, s12, -1
	s_cmp_lg_u32 s12, 0
	s_waitcnt lgkmcnt(0)
	global_store_dwordx2 v[2:3], v[4:5], off
	v_add_co_u32_e32 v2, vcc, 8, v2
	v_addc_co_u32_e32 v3, vcc, 0, v3, vcc
	s_cbranch_scc1 .LBB40_127
.LBB40_128:
	s_and_b32 s1, s20, 0x7ffffffe
	s_cmp_lg_u32 s1, s20
	s_cselect_b64 s[6:7], -1, 0
	s_and_b64 vcc, exec, s[6:7]
	s_cbranch_vccnz .LBB40_130
	s_branch .LBB40_132
.LBB40_129:
	s_mov_b32 s1, 0
	s_cbranch_execz .LBB40_132
.LBB40_130:
	s_mul_i32 s7, s17, s0
	s_mul_hi_u32 s12, s16, s0
	v_lshlrev_b32_e32 v0, 2, v0
	s_add_i32 s13, s12, s7
	s_mul_i32 s12, s16, s0
	s_mul_hi_i32 s15, s8, s1
	s_mul_i32 s14, s8, s1
	s_ashr_i32 s9, s8, 31
	v_lshl_or_b32 v1, s1, 7, v0
	s_sub_i32 s6, s20, s1
	s_lshl_b64 s[12:13], s[12:13], 2
	s_lshl_b64 s[0:1], s[14:15], 2
	s_add_u32 s0, s12, s0
	s_addc_u32 s1, s13, s1
	s_add_u32 s4, s0, s4
	s_addc_u32 s5, s1, s5
	s_lshl_b64 s[0:1], s[2:3], 2
	s_add_u32 s0, s4, s0
	s_addc_u32 s1, s5, s1
	s_add_u32 s0, s10, s0
	s_addc_u32 s1, s11, s1
	v_add_u32_e32 v2, 0x1000, v1
	v_mov_b32_e32 v1, s1
	v_add_co_u32_e32 v0, vcc, s0, v0
	s_lshl_b64 s[0:1], s[8:9], 2
	v_addc_co_u32_e32 v1, vcc, 0, v1, vcc
	v_mov_b32_e32 v3, s1
.LBB40_131:                             ; =>This Inner Loop Header: Depth=1
	ds_read_b32 v4, v2
	s_add_i32 s6, s6, -1
	v_add_u32_e32 v2, 0x80, v2
	s_cmp_lg_u32 s6, 0
	s_waitcnt lgkmcnt(0)
	global_store_dword v[0:1], v4, off
	v_add_co_u32_e32 v0, vcc, s0, v0
	v_addc_co_u32_e32 v1, vcc, v1, v3, vcc
	s_cbranch_scc1 .LBB40_131
.LBB40_132:
	s_endpgm
	.section	.rodata,"a",@progbits
	.p2align	6, 0x0
	.amdhsa_kernel _ZL31rocblas_trsm_small_right_deviceIffPKfPfLi32EEv13rocblas_fill_18rocblas_operation_17rocblas_diagonal_iiT0_T1_lilT2_lili
		.amdhsa_group_segment_fixed_size 8192
		.amdhsa_private_segment_fixed_size 0
		.amdhsa_kernarg_size 352
		.amdhsa_user_sgpr_count 6
		.amdhsa_user_sgpr_private_segment_buffer 1
		.amdhsa_user_sgpr_dispatch_ptr 0
		.amdhsa_user_sgpr_queue_ptr 0
		.amdhsa_user_sgpr_kernarg_segment_ptr 1
		.amdhsa_user_sgpr_dispatch_id 0
		.amdhsa_user_sgpr_flat_scratch_init 0
		.amdhsa_user_sgpr_kernarg_preload_length 0
		.amdhsa_user_sgpr_kernarg_preload_offset 0
		.amdhsa_user_sgpr_private_segment_size 0
		.amdhsa_uses_dynamic_stack 0
		.amdhsa_system_sgpr_private_segment_wavefront_offset 0
		.amdhsa_system_sgpr_workgroup_id_x 1
		.amdhsa_system_sgpr_workgroup_id_y 0
		.amdhsa_system_sgpr_workgroup_id_z 1
		.amdhsa_system_sgpr_workgroup_info 0
		.amdhsa_system_vgpr_workitem_id 0
		.amdhsa_next_free_vgpr 62
		.amdhsa_next_free_sgpr 44
		.amdhsa_accum_offset 64
		.amdhsa_reserve_vcc 1
		.amdhsa_reserve_flat_scratch 0
		.amdhsa_float_round_mode_32 0
		.amdhsa_float_round_mode_16_64 0
		.amdhsa_float_denorm_mode_32 3
		.amdhsa_float_denorm_mode_16_64 3
		.amdhsa_dx10_clamp 1
		.amdhsa_ieee_mode 1
		.amdhsa_fp16_overflow 0
		.amdhsa_tg_split 0
		.amdhsa_exception_fp_ieee_invalid_op 0
		.amdhsa_exception_fp_denorm_src 0
		.amdhsa_exception_fp_ieee_div_zero 0
		.amdhsa_exception_fp_ieee_overflow 0
		.amdhsa_exception_fp_ieee_underflow 0
		.amdhsa_exception_fp_ieee_inexact 0
		.amdhsa_exception_int_div_zero 0
	.end_amdhsa_kernel
	.section	.text._ZL31rocblas_trsm_small_right_deviceIffPKfPfLi32EEv13rocblas_fill_18rocblas_operation_17rocblas_diagonal_iiT0_T1_lilT2_lili,"axG",@progbits,_ZL31rocblas_trsm_small_right_deviceIffPKfPfLi32EEv13rocblas_fill_18rocblas_operation_17rocblas_diagonal_iiT0_T1_lilT2_lili,comdat
.Lfunc_end40:
	.size	_ZL31rocblas_trsm_small_right_deviceIffPKfPfLi32EEv13rocblas_fill_18rocblas_operation_17rocblas_diagonal_iiT0_T1_lilT2_lili, .Lfunc_end40-_ZL31rocblas_trsm_small_right_deviceIffPKfPfLi32EEv13rocblas_fill_18rocblas_operation_17rocblas_diagonal_iiT0_T1_lilT2_lili
                                        ; -- End function
	.section	.AMDGPU.csdata,"",@progbits
; Kernel info:
; codeLenInByte = 10012
; NumSgprs: 48
; NumVgprs: 62
; NumAgprs: 0
; TotalNumVgprs: 62
; ScratchSize: 0
; MemoryBound: 0
; FloatMode: 240
; IeeeMode: 1
; LDSByteSize: 8192 bytes/workgroup (compile time only)
; SGPRBlocks: 5
; VGPRBlocks: 7
; NumSGPRsForWavesPerEU: 48
; NumVGPRsForWavesPerEU: 62
; AccumOffset: 64
; Occupancy: 2
; WaveLimiterHint : 0
; COMPUTE_PGM_RSRC2:SCRATCH_EN: 0
; COMPUTE_PGM_RSRC2:USER_SGPR: 6
; COMPUTE_PGM_RSRC2:TRAP_HANDLER: 0
; COMPUTE_PGM_RSRC2:TGID_X_EN: 1
; COMPUTE_PGM_RSRC2:TGID_Y_EN: 0
; COMPUTE_PGM_RSRC2:TGID_Z_EN: 1
; COMPUTE_PGM_RSRC2:TIDIG_COMP_CNT: 0
; COMPUTE_PGM_RSRC3_GFX90A:ACCUM_OFFSET: 15
; COMPUTE_PGM_RSRC3_GFX90A:TG_SPLIT: 0
	.section	.text._ZL38rocblas_trsm_small_left_device_sharedBILi64ELi32ELb0EffPKfPfEv13rocblas_fill_18rocblas_operation_17rocblas_diagonal_iiT3_T4_lilT5_lili,"axG",@progbits,_ZL38rocblas_trsm_small_left_device_sharedBILi64ELi32ELb0EffPKfPfEv13rocblas_fill_18rocblas_operation_17rocblas_diagonal_iiT3_T4_lilT5_lili,comdat
	.globl	_ZL38rocblas_trsm_small_left_device_sharedBILi64ELi32ELb0EffPKfPfEv13rocblas_fill_18rocblas_operation_17rocblas_diagonal_iiT3_T4_lilT5_lili ; -- Begin function _ZL38rocblas_trsm_small_left_device_sharedBILi64ELi32ELb0EffPKfPfEv13rocblas_fill_18rocblas_operation_17rocblas_diagonal_iiT3_T4_lilT5_lili
	.p2align	8
	.type	_ZL38rocblas_trsm_small_left_device_sharedBILi64ELi32ELb0EffPKfPfEv13rocblas_fill_18rocblas_operation_17rocblas_diagonal_iiT3_T4_lilT5_lili,@function
_ZL38rocblas_trsm_small_left_device_sharedBILi64ELi32ELb0EffPKfPfEv13rocblas_fill_18rocblas_operation_17rocblas_diagonal_iiT3_T4_lilT5_lili: ; @_ZL38rocblas_trsm_small_left_device_sharedBILi64ELi32ELb0EffPKfPfEv13rocblas_fill_18rocblas_operation_17rocblas_diagonal_iiT3_T4_lilT5_lili
; %bb.0:
	s_load_dwordx4 s[8:11], s[4:5], 0x4
	s_load_dword s18, s[4:5], 0x14
	s_load_dwordx4 s[0:3], s[4:5], 0x30
	s_load_dwordx2 s[16:17], s[4:5], 0x40
	s_mov_b32 s27, 0
	s_waitcnt lgkmcnt(0)
	s_min_i32 s26, s10, 64
	v_cmp_gt_i32_e32 vcc, s26, v0
	s_and_saveexec_b64 s[20:21], vcc
	s_cbranch_execz .LBB41_15
; %bb.1:
	s_load_dword s22, s[4:5], 0x28
	s_load_dwordx4 s[12:15], s[4:5], 0x18
	s_cmp_gt_u32 s26, 1
	s_cselect_b64 s[24:25], -1, 0
	s_mov_b32 s19, 1
	s_waitcnt lgkmcnt(0)
	s_cmp_eq_u32 s22, 1
	s_cselect_b64 s[28:29], -1, 0
	s_and_b64 s[28:29], s[24:25], s[28:29]
	s_mov_b64 s[24:25], -1
	s_and_b64 vcc, exec, s[28:29]
	s_cbranch_vccz .LBB41_9
; %bb.2:
	s_add_i32 s24, s26, -2
	s_lshr_b32 s25, s24, 1
	s_add_i32 s25, s25, 1
	s_mov_b32 s23, 0
	s_cmp_lt_u32 s24, 14
	s_mov_b32 s24, s23
	s_cbranch_scc1 .LBB41_5
; %bb.3:
	s_mul_i32 s19, s1, s7
	s_mul_hi_u32 s23, s0, s7
	s_add_i32 s29, s23, s19
	s_mul_i32 s28, s0, s7
	s_and_b32 s27, s25, -8
	s_lshl_b64 s[28:29], s[28:29], 2
	s_lshl_b64 s[30:31], s[14:15], 2
	s_add_u32 s19, s28, s30
	s_addc_u32 s23, s29, s31
	s_add_u32 s19, s12, s19
	v_lshlrev_b32_e32 v1, 2, v0
	s_addc_u32 s23, s13, s23
	v_mov_b32_e32 v2, s23
	v_add_co_u32_e32 v1, vcc, s19, v1
	v_addc_co_u32_e32 v3, vcc, 0, v2, vcc
	v_add_co_u32_e32 v2, vcc, 56, v1
	v_addc_co_u32_e32 v3, vcc, 0, v3, vcc
	s_mov_b32 s19, 1
	s_mov_b32 s24, 0
	s_mov_b32 s23, 0
.LBB41_4:                               ; =>This Inner Loop Header: Depth=1
	global_load_dwordx4 v[4:7], v[2:3], off offset:-56
	global_load_dwordx4 v[8:11], v[2:3], off offset:-40
	;; [unrolled: 1-line block ×4, first 2 shown]
	s_lshl_b32 s28, s23, 6
	s_lshl_b32 s29, s19, 6
	s_add_i32 s24, s24, 16
	s_add_i32 s19, s19, 16
	;; [unrolled: 1-line block ×3, first 2 shown]
	s_add_i32 s27, s27, -8
	v_add_co_u32_e32 v2, vcc, 64, v2
	v_or_b32_e32 v1, s29, v0
	v_or_b32_e32 v20, s28, v0
	s_add_i32 s30, s28, 0x80
	s_add_i32 s31, s29, 0x80
	;; [unrolled: 1-line block ×12, first 2 shown]
	s_addk_i32 s28, 0x380
	s_addk_i32 s29, 0x380
	v_addc_co_u32_e32 v3, vcc, 0, v3, vcc
	v_lshlrev_b32_e32 v20, 2, v20
	v_or_b32_e32 v21, s31, v0
	v_or_b32_e32 v22, s30, v0
	v_or_b32_e32 v23, s34, v0
	v_or_b32_e32 v24, s33, v0
	v_or_b32_e32 v25, s36, v0
	v_or_b32_e32 v26, s35, v0
	v_or_b32_e32 v27, s38, v0
	v_or_b32_e32 v28, s37, v0
	v_or_b32_e32 v29, s40, v0
	v_or_b32_e32 v30, s39, v0
	v_or_b32_e32 v31, s42, v0
	v_or_b32_e32 v32, s41, v0
	v_or_b32_e32 v33, s29, v0
	v_or_b32_e32 v34, s28, v0
	s_cmp_lg_u32 s27, 0
	v_lshlrev_b32_e32 v1, 2, v1
	v_lshlrev_b32_e32 v22, 2, v22
	;; [unrolled: 1-line block ×15, first 2 shown]
	s_waitcnt vmcnt(3)
	ds_write_b32 v20, v4
	ds_write_b32 v1, v5
	ds_write_b32 v22, v6
	ds_write_b32 v21, v7
	s_waitcnt vmcnt(2)
	ds_write_b32 v24, v8
	ds_write_b32 v23, v9
	ds_write_b32 v26, v10
	ds_write_b32 v25, v11
	;; [unrolled: 5-line block ×4, first 2 shown]
	s_cbranch_scc1 .LBB41_4
.LBB41_5:
	s_and_b32 s27, s25, 7
	s_cmp_eq_u32 s27, 0
	s_mov_b32 s25, 0
	s_cbranch_scc1 .LBB41_8
; %bb.6:
	s_mul_i32 s28, s1, s7
	s_mul_hi_u32 s29, s0, s7
	s_add_i32 s29, s29, s28
	s_mul_i32 s28, s0, s7
	s_lshl_b64 s[28:29], s[28:29], 2
	s_lshl_b64 s[30:31], s[14:15], 2
	s_add_u32 s28, s28, s30
	s_addc_u32 s29, s29, s31
	s_lshl_b64 s[24:25], s[24:25], 2
	s_add_u32 s24, s12, s24
	s_addc_u32 s25, s13, s25
	s_add_u32 s24, s24, s28
	v_lshlrev_b32_e32 v1, 2, v0
	s_addc_u32 s25, s25, s29
	v_mov_b32_e32 v3, s25
	v_add_co_u32_e32 v2, vcc, s24, v1
	v_addc_co_u32_e32 v3, vcc, 0, v3, vcc
	s_lshl_b32 s24, s27, 3
.LBB41_7:                               ; =>This Inner Loop Header: Depth=1
	global_load_dwordx2 v[4:5], v[2:3], off
	v_lshl_or_b32 v6, s23, 8, v1
	v_lshl_or_b32 v7, s19, 8, v1
	s_add_i32 s19, s19, 2
	s_add_i32 s23, s23, 2
	v_add_co_u32_e32 v2, vcc, 8, v2
	s_add_i32 s24, s24, -8
	v_addc_co_u32_e32 v3, vcc, 0, v3, vcc
	s_cmp_lg_u32 s24, 0
	s_waitcnt vmcnt(0)
	ds_write_b32 v6, v4
	ds_write_b32 v7, v5
	s_cbranch_scc1 .LBB41_7
.LBB41_8:
	s_and_b32 s27, s26, -2
	s_cmp_lg_u32 s26, s27
	s_cselect_b64 s[24:25], -1, 0
.LBB41_9:
	s_and_b64 vcc, exec, s[24:25]
	s_cbranch_vccz .LBB41_12
; %bb.10:
	s_ashr_i32 s23, s22, 31
	s_mul_i32 s1, s1, s7
	s_mul_hi_u32 s19, s0, s7
	s_add_i32 s1, s19, s1
	s_mul_hi_u32 s19, s22, s27
	s_mul_i32 s24, s23, s27
	s_mul_i32 s0, s0, s7
	s_add_i32 s25, s19, s24
	s_mul_i32 s24, s22, s27
	s_lshl_b64 s[0:1], s[0:1], 2
	s_lshl_b64 s[24:25], s[24:25], 2
	s_add_u32 s19, s0, s24
	s_addc_u32 s24, s1, s25
	s_lshl_b64 s[0:1], s[14:15], 2
	s_add_u32 s0, s19, s0
	s_addc_u32 s1, s24, s1
	s_add_u32 s0, s12, s0
	v_lshlrev_b32_e32 v1, 2, v0
	s_addc_u32 s1, s13, s1
	v_mov_b32_e32 v3, s1
	v_add_co_u32_e32 v2, vcc, s0, v1
	s_lshl_b64 s[0:1], s[22:23], 2
	v_addc_co_u32_e32 v3, vcc, 0, v3, vcc
	v_lshl_or_b32 v1, s27, 8, v1
	s_sub_i32 s12, s26, s27
	v_mov_b32_e32 v4, s1
.LBB41_11:                              ; =>This Inner Loop Header: Depth=1
	global_load_dword v5, v[2:3], off
	v_add_co_u32_e32 v2, vcc, s0, v2
	s_add_i32 s12, s12, -1
	v_addc_co_u32_e32 v3, vcc, v3, v4, vcc
	s_cmp_eq_u32 s12, 0
	s_waitcnt vmcnt(0)
	ds_write_b32 v1, v5
	v_add_u32_e32 v1, 0x100, v1
	s_cbranch_scc0 .LBB41_11
.LBB41_12:
	v_mul_u32_u24_e32 v1, 0x41, v0
	s_cmpk_lg_i32 s9, 0x84
	v_lshlrev_b32_e32 v1, 2, v1
	v_mov_b32_e32 v2, 1.0
	s_cbranch_scc0 .LBB41_14
; %bb.13:
	ds_read_b32 v2, v1
	s_waitcnt lgkmcnt(0)
	v_div_scale_f32 v3, s[0:1], v2, v2, 1.0
	v_rcp_f32_e32 v4, v3
	v_div_scale_f32 v5, vcc, 1.0, v2, 1.0
	v_fma_f32 v6, -v3, v4, 1.0
	v_fmac_f32_e32 v4, v6, v4
	v_mul_f32_e32 v6, v5, v4
	v_fma_f32 v7, -v3, v6, v5
	v_fmac_f32_e32 v6, v7, v4
	v_fma_f32 v3, -v3, v6, v5
	v_div_fmas_f32 v3, v3, v4, v6
	v_div_fixup_f32 v2, v3, v2, 1.0
.LBB41_14:
	ds_write_b32 v1, v2
.LBB41_15:
	s_or_b64 exec, exec, s[20:21]
	s_load_dword s9, s[4:5], 0x60
	s_load_dword s22, s[4:5], 0x48
	s_load_dwordx2 s[0:1], s[4:5], 0x50
	s_lshl_b32 s4, s6, 6
	s_sub_i32 s5, s11, s4
	s_waitcnt lgkmcnt(0)
	s_add_i32 s9, s9, -1
	s_ashr_i32 s11, s22, 31
	s_cmp_ge_u32 s6, s9
	s_cselect_b32 s6, s5, 64
	s_ashr_i32 s5, s4, 31
	s_cmp_gt_i32 s10, 0
	v_cmp_gt_i32_e32 vcc, s6, v0
	s_cselect_b64 s[12:13], -1, 0
	s_mov_b32 s9, 0
	s_and_b64 s[12:13], vcc, s[12:13]
	s_and_saveexec_b64 s[14:15], s[12:13]
	s_cbranch_execz .LBB41_27
; %bb.16:
	s_cmp_lt_i32 s10, 2
	s_mov_b64 s[20:21], -1
	s_cbranch_scc1 .LBB41_24
; %bb.17:
	s_add_i32 s20, s26, -2
	s_lshr_b32 s21, s20, 1
	s_add_i32 s21, s21, 1
	s_mov_b32 s19, s18
	s_mov_b32 s6, 1
	s_cmp_lt_u32 s20, 14
	s_mov_b32 s20, s9
	s_cbranch_scc1 .LBB41_20
; %bb.18:
	s_mul_i32 s9, s1, s7
	s_mul_hi_u32 s20, s0, s7
	s_add_i32 s25, s20, s9
	s_mul_i32 s24, s0, s7
	s_lshl_b64 s[28:29], s[4:5], 2
	v_lshlrev_b32_e32 v1, 2, v0
	s_and_b32 s23, s21, -8
	s_lshl_b64 s[24:25], s[24:25], 2
	v_mov_b32_e32 v2, s29
	v_add_co_u32_e32 v1, vcc, s28, v1
	s_lshl_b64 s[28:29], s[16:17], 2
	s_add_u32 s9, s2, s28
	s_addc_u32 s20, s3, s29
	s_add_u32 s24, s9, s24
	s_addc_u32 s25, s20, s25
	v_addc_co_u32_e32 v4, vcc, 0, v2, vcc
	v_pk_mov_b32 v[2:3], s[24:25], s[24:25] op_sel:[0,1]
	v_mad_u64_u32 v[2:3], s[24:25], v1, s22, v[2:3]
	v_mul_lo_u32 v1, v1, s11
	v_mul_lo_u32 v4, v4, s22
	v_add3_u32 v1, v4, v3, v1
	v_add_co_u32_e32 v2, vcc, 56, v2
	v_addc_co_u32_e32 v3, vcc, 0, v1, vcc
	s_mov_b32 s20, 0
	s_mov_b32 s9, 0
.LBB41_19:                              ; =>This Inner Loop Header: Depth=1
	global_load_dwordx4 v[4:7], v[2:3], off offset:-56
	global_load_dwordx4 v[8:11], v[2:3], off offset:-40
	;; [unrolled: 1-line block ×4, first 2 shown]
	s_lshl_b32 s24, s9, 6
	s_lshl_b32 s25, s6, 6
	s_add_i32 s20, s20, 16
	s_add_i32 s6, s6, 16
	;; [unrolled: 1-line block ×3, first 2 shown]
	s_add_i32 s23, s23, -8
	v_add_co_u32_e32 v2, vcc, 64, v2
	v_or_b32_e32 v1, s25, v0
	v_or_b32_e32 v20, s24, v0
	s_add_i32 s27, s24, 0x80
	s_add_i32 s28, s25, 0x80
	;; [unrolled: 1-line block ×12, first 2 shown]
	s_addk_i32 s24, 0x380
	s_addk_i32 s25, 0x380
	v_addc_co_u32_e32 v3, vcc, 0, v3, vcc
	v_lshlrev_b32_e32 v20, 2, v20
	v_or_b32_e32 v21, s28, v0
	v_or_b32_e32 v22, s27, v0
	v_or_b32_e32 v23, s30, v0
	v_or_b32_e32 v24, s29, v0
	v_or_b32_e32 v25, s33, v0
	v_or_b32_e32 v26, s31, v0
	v_or_b32_e32 v27, s35, v0
	v_or_b32_e32 v28, s34, v0
	v_or_b32_e32 v29, s37, v0
	v_or_b32_e32 v30, s36, v0
	v_or_b32_e32 v31, s39, v0
	v_or_b32_e32 v32, s38, v0
	v_or_b32_e32 v33, s25, v0
	v_or_b32_e32 v34, s24, v0
	s_cmp_lg_u32 s23, 0
	v_lshlrev_b32_e32 v1, 2, v1
	v_lshlrev_b32_e32 v22, 2, v22
	;; [unrolled: 1-line block ×15, first 2 shown]
	s_waitcnt vmcnt(3)
	v_pk_mul_f32 v[4:5], v[4:5], s[18:19]
	v_pk_mul_f32 v[6:7], v[6:7], s[18:19]
	s_waitcnt vmcnt(2)
	v_pk_mul_f32 v[8:9], v[8:9], s[18:19]
	v_pk_mul_f32 v[10:11], v[10:11], s[18:19]
	;; [unrolled: 3-line block ×4, first 2 shown]
	ds_write_b32 v20, v4 offset:16384
	ds_write_b32 v1, v5 offset:16384
	;; [unrolled: 1-line block ×16, first 2 shown]
	s_cbranch_scc1 .LBB41_19
.LBB41_20:
	s_and_b32 s23, s21, 7
	s_cmp_eq_u32 s23, 0
	s_mov_b32 s21, 0
	s_cbranch_scc1 .LBB41_23
; %bb.21:
	s_mul_i32 s24, s1, s7
	s_mul_hi_u32 s25, s0, s7
	s_add_i32 s25, s25, s24
	s_mul_i32 s24, s0, s7
	s_lshl_b64 s[28:29], s[4:5], 2
	v_lshlrev_b32_e32 v1, 2, v0
	s_lshl_b64 s[24:25], s[24:25], 2
	v_mov_b32_e32 v2, s29
	v_add_co_u32_e32 v4, vcc, s28, v1
	s_lshl_b64 s[28:29], s[16:17], 2
	s_lshl_b64 s[20:21], s[20:21], 2
	s_add_u32 s20, s2, s20
	s_addc_u32 s21, s3, s21
	s_add_u32 s20, s20, s28
	s_addc_u32 s21, s21, s29
	;; [unrolled: 2-line block ×3, first 2 shown]
	v_addc_co_u32_e32 v5, vcc, 0, v2, vcc
	v_pk_mov_b32 v[2:3], s[20:21], s[20:21] op_sel:[0,1]
	v_mad_u64_u32 v[2:3], s[20:21], v4, s22, v[2:3]
	v_mul_lo_u32 v4, v4, s11
	v_mul_lo_u32 v5, v5, s22
	v_add3_u32 v3, v5, v3, v4
	s_lshl_b32 s20, s23, 3
.LBB41_22:                              ; =>This Inner Loop Header: Depth=1
	global_load_dwordx2 v[4:5], v[2:3], off
	v_lshl_or_b32 v6, s9, 8, v1
	v_lshl_or_b32 v7, s6, 8, v1
	s_add_i32 s6, s6, 2
	s_add_i32 s9, s9, 2
	v_add_co_u32_e32 v2, vcc, 8, v2
	s_add_i32 s20, s20, -8
	v_addc_co_u32_e32 v3, vcc, 0, v3, vcc
	s_cmp_lg_u32 s20, 0
	s_waitcnt vmcnt(0)
	v_pk_mul_f32 v[4:5], v[4:5], s[18:19]
	ds_write_b32 v6, v4 offset:16384
	ds_write_b32 v7, v5 offset:16384
	s_cbranch_scc1 .LBB41_22
.LBB41_23:
	s_and_b32 s9, s26, 0x7e
	s_cmp_lg_u32 s26, s9
	s_cselect_b64 s[20:21], -1, 0
.LBB41_24:
	s_and_b64 vcc, exec, s[20:21]
	s_cbranch_vccz .LBB41_27
; %bb.25:
	s_mul_i32 s19, s1, s7
	s_mul_hi_u32 s20, s0, s7
	v_lshlrev_b32_e32 v2, 2, v0
	s_add_i32 s21, s20, s19
	s_mul_i32 s20, s0, s7
	s_lshl_b64 s[24:25], s[4:5], 2
	v_lshl_or_b32 v1, s9, 8, v2
	s_sub_i32 s6, s26, s9
	s_lshl_b64 s[20:21], s[20:21], 2
	v_mov_b32_e32 v3, s25
	v_add_co_u32_e32 v4, vcc, s24, v2
	s_lshl_b64 s[24:25], s[16:17], 2
	s_lshl_b32 s9, s9, 2
	s_add_u32 s9, s2, s9
	s_addc_u32 s19, s3, 0
	s_add_u32 s9, s9, s24
	s_addc_u32 s19, s19, s25
	;; [unrolled: 2-line block ×3, first 2 shown]
	v_addc_co_u32_e32 v5, vcc, 0, v3, vcc
	v_pk_mov_b32 v[2:3], s[20:21], s[20:21] op_sel:[0,1]
	v_mad_u64_u32 v[2:3], s[20:21], v4, s22, v[2:3]
	v_mul_lo_u32 v4, v4, s11
	v_mul_lo_u32 v5, v5, s22
	v_add_u32_e32 v1, 0x4000, v1
	v_add3_u32 v3, v5, v3, v4
.LBB41_26:                              ; =>This Inner Loop Header: Depth=1
	global_load_dword v4, v[2:3], off
	s_add_i32 s6, s6, -1
	v_add_co_u32_e32 v2, vcc, 4, v2
	v_addc_co_u32_e32 v3, vcc, 0, v3, vcc
	s_cmp_lg_u32 s6, 0
	s_waitcnt vmcnt(0)
	v_mul_f32_e32 v4, s18, v4
	ds_write_b32 v1, v4
	v_add_u32_e32 v1, 0x100, v1
	s_cbranch_scc1 .LBB41_26
.LBB41_27:
	s_or_b64 exec, exec, s[14:15]
	s_cmpk_eq_i32 s8, 0x6f
	s_mov_b64 s[8:9], -1
	s_waitcnt lgkmcnt(0)
	; wave barrier
	s_waitcnt lgkmcnt(0)
	s_cbranch_scc1 .LBB41_61
; %bb.28:
	s_cmp_lt_i32 s10, 32
	s_mov_b32 s9, 0
	s_cbranch_scc1 .LBB41_35
; %bb.29:
	v_mov_b32_e32 v1, 0x4000
	v_lshl_or_b32 v1, v0, 2, v1
	s_mov_b32 s6, 0
	s_mov_b32 s8, 0
	v_lshlrev_b32_e32 v34, 2, v0
.LBB41_30:                              ; =>This Loop Header: Depth=1
                                        ;     Child Loop BB41_32 Depth 2
	v_lshl_or_b32 v35, s8, 8, v34
	ds_read2st64_b32 v[32:33], v35 offset0:64 offset1:65
	ds_read2st64_b32 v[30:31], v35 offset0:66 offset1:67
	;; [unrolled: 1-line block ×16, first 2 shown]
	s_cmp_eq_u32 s8, 0
	s_cbranch_scc1 .LBB41_33
; %bb.31:                               ;   in Loop: Header=BB41_30 Depth=1
	s_mov_b32 s9, 0
	s_mov_b32 s14, s6
	v_mov_b32_e32 v36, v1
.LBB41_32:                              ;   Parent Loop BB41_30 Depth=1
                                        ; =>  This Inner Loop Header: Depth=2
	v_mov_b32_e32 v68, s14
	ds_read_b32 v37, v36
	ds_read2st64_b32 v[38:39], v68 offset1:1
	ds_read2st64_b32 v[40:41], v68 offset0:2 offset1:3
	ds_read2st64_b32 v[42:43], v68 offset0:4 offset1:5
	;; [unrolled: 1-line block ×15, first 2 shown]
	s_add_i32 s9, s9, 1
	s_add_i32 s14, s14, 4
	v_add_u32_e32 v36, 0x100, v36
	s_cmp_lt_u32 s9, s8
	s_waitcnt lgkmcnt(14)
	v_fma_f32 v32, -v37, v38, v32
	v_fma_f32 v33, -v37, v39, v33
	;; [unrolled: 1-line block ×4, first 2 shown]
	s_waitcnt lgkmcnt(13)
	v_fma_f32 v28, -v37, v42, v28
	v_fma_f32 v29, -v37, v43, v29
	s_waitcnt lgkmcnt(12)
	v_fma_f32 v26, -v37, v44, v26
	v_fma_f32 v27, -v37, v45, v27
	;; [unrolled: 3-line block ×14, first 2 shown]
	s_cbranch_scc1 .LBB41_32
.LBB41_33:                              ;   in Loop: Header=BB41_30 Depth=1
	s_mul_i32 s9, s8, 0x104
	v_mov_b32_e32 v48, s9
	ds_read_b32 v36, v48
	ds_read_b32 v50, v48 offset:3380
	s_lshl_b32 s9, s8, 6
	s_or_b32 s14, s9, 64
	s_add_i32 s15, s14, s8
	v_add_u32_e32 v35, 0x4000, v35
	s_waitcnt lgkmcnt(1)
	v_mul_f32_e32 v32, v36, v32
	s_lshl_b32 s15, s15, 2
	ds_write_b32 v35, v32
	v_mov_b32_e32 v35, s15
	s_or_b32 s15, s9, 0x80
	s_add_i32 s18, s15, s8
	s_lshl_b32 s18, s18, 2
	ds_read_b64 v[40:41], v35
	v_mov_b32_e32 v35, s18
	ds_read_b96 v[36:38], v35
	v_or_b32_e32 v35, s14, v0
	v_lshlrev_b32_e32 v35, 2, v35
	s_waitcnt lgkmcnt(1)
	v_fma_f32 v33, -v32, v40, v33
	v_mul_f32_e32 v33, v41, v33
	s_waitcnt lgkmcnt(0)
	v_fma_f32 v30, -v32, v36, v30
	s_or_b32 s14, s9, 0xc0
	ds_write_b32 v35, v33 offset:16384
	v_fma_f32 v30, -v33, v37, v30
	v_or_b32_e32 v35, s15, v0
	s_add_i32 s15, s14, s8
	v_mul_f32_e32 v30, v38, v30
	v_lshlrev_b32_e32 v35, 2, v35
	s_lshl_b32 s15, s15, 2
	ds_write_b32 v35, v30 offset:16384
	v_mov_b32_e32 v35, s15
	ds_read_b128 v[36:39], v35
	s_or_b32 s15, s9, 0x100
	s_add_i32 s18, s15, s8
	s_lshl_b32 s18, s18, 2
	v_mov_b32_e32 v35, s18
	s_waitcnt lgkmcnt(0)
	v_fma_f32 v31, -v32, v36, v31
	ds_read_b128 v[40:43], v35
	v_fma_f32 v31, -v33, v37, v31
	v_fma_f32 v31, -v30, v38, v31
	v_or_b32_e32 v35, s14, v0
	s_or_b32 s14, s9, 0x140
	v_mul_f32_e32 v31, v39, v31
	v_lshlrev_b32_e32 v35, 2, v35
	s_add_i32 s18, s14, s8
	ds_write_b32 v35, v31 offset:16384
	v_add_u32_e32 v35, 0x400, v48
	s_lshl_b32 s18, s18, 2
	ds_read2_b32 v[44:45], v35 offset0:4 offset1:134
	v_mov_b32_e32 v35, s18
	s_waitcnt lgkmcnt(2)
	v_fma_f32 v28, -v32, v40, v28
	ds_read_b128 v[36:39], v35
	v_fma_f32 v28, -v33, v41, v28
	v_fma_f32 v28, -v30, v42, v28
	;; [unrolled: 1-line block ×3, first 2 shown]
	v_or_b32_e32 v40, s15, v0
	s_waitcnt lgkmcnt(1)
	v_mul_f32_e32 v28, v44, v28
	v_lshlrev_b32_e32 v40, 2, v40
	s_or_b32 s15, s9, 0x180
	ds_write_b32 v40, v28 offset:16384
	ds_read_b64 v[40:41], v35 offset:16
	s_waitcnt lgkmcnt(2)
	v_fma_f32 v29, -v32, v36, v29
	s_add_i32 s18, s15, s8
	v_fma_f32 v29, -v33, v37, v29
	s_lshl_b32 s18, s18, 2
	v_fma_f32 v29, -v30, v38, v29
	v_mov_b32_e32 v35, s18
	v_fma_f32 v29, -v31, v39, v29
	ds_read_b128 v[36:39], v35
	s_waitcnt lgkmcnt(1)
	v_fma_f32 v29, -v28, v40, v29
	v_or_b32_e32 v40, s14, v0
	v_mul_f32_e32 v29, v41, v29
	v_lshlrev_b32_e32 v40, 2, v40
	ds_write_b32 v40, v29 offset:16384
	ds_read_b64 v[40:41], v35 offset:16
	s_or_b32 s14, s9, 0x1c0
	s_waitcnt lgkmcnt(2)
	v_fma_f32 v26, -v32, v36, v26
	s_add_i32 s18, s14, s8
	v_fma_f32 v26, -v33, v37, v26
	s_lshl_b32 s18, s18, 2
	v_fma_f32 v26, -v30, v38, v26
	v_mov_b32_e32 v35, s18
	v_fma_f32 v26, -v31, v39, v26
	ds_read_b128 v[36:39], v35
	s_waitcnt lgkmcnt(1)
	v_fma_f32 v26, -v28, v40, v26
	v_fma_f32 v26, -v29, v41, v26
	v_or_b32_e32 v40, s15, v0
	v_mul_f32_e32 v26, v45, v26
	v_lshlrev_b32_e32 v40, 2, v40
	ds_write_b32 v40, v26 offset:16384
	ds_read_b96 v[40:42], v35 offset:16
	s_waitcnt lgkmcnt(2)
	v_fma_f32 v27, -v32, v36, v27
	s_or_b32 s15, s9, 0x200
	v_fma_f32 v27, -v33, v37, v27
	v_add_u32_e32 v35, 0x600, v48
	s_add_i32 s18, s15, s8
	v_fma_f32 v27, -v30, v38, v27
	ds_read2_b32 v[44:45], v35 offset0:71 offset1:136
	s_lshl_b32 s18, s18, 2
	v_fma_f32 v27, -v31, v39, v27
	v_mov_b32_e32 v35, s18
	s_waitcnt lgkmcnt(1)
	v_fma_f32 v27, -v28, v40, v27
	ds_read_b128 v[36:39], v35
	v_fma_f32 v27, -v29, v41, v27
	v_fma_f32 v27, -v26, v42, v27
	v_or_b32_e32 v40, s14, v0
	s_waitcnt lgkmcnt(1)
	v_mul_f32_e32 v27, v44, v27
	v_lshlrev_b32_e32 v40, 2, v40
	ds_write_b32 v40, v27 offset:16384
	ds_read_b128 v[40:43], v35 offset:16
	s_waitcnt lgkmcnt(2)
	v_fma_f32 v24, -v32, v36, v24
	v_fma_f32 v24, -v33, v37, v24
	s_or_b32 s14, s9, 0x240
	v_fma_f32 v24, -v30, v38, v24
	s_add_i32 s18, s14, s8
	v_fma_f32 v24, -v31, v39, v24
	s_lshl_b32 s18, s18, 2
	s_waitcnt lgkmcnt(0)
	v_fma_f32 v24, -v28, v40, v24
	v_mov_b32_e32 v35, s18
	v_fma_f32 v24, -v29, v41, v24
	ds_read_b128 v[36:39], v35
	v_fma_f32 v24, -v26, v42, v24
	v_fma_f32 v24, -v27, v43, v24
	v_or_b32_e32 v40, s15, v0
	v_mul_f32_e32 v24, v45, v24
	v_lshlrev_b32_e32 v40, 2, v40
	ds_write_b32 v40, v24 offset:16384
	ds_read_b128 v[40:43], v35 offset:16
	s_waitcnt lgkmcnt(2)
	v_fma_f32 v25, -v32, v36, v25
	v_fma_f32 v25, -v33, v37, v25
	v_fma_f32 v25, -v30, v38, v25
	s_or_b32 s15, s9, 0x280
	v_fma_f32 v25, -v31, v39, v25
	v_add_u32_e32 v36, 0x800, v48
	ds_read_b32 v35, v35 offset:32
	s_add_i32 s18, s15, s8
	s_waitcnt lgkmcnt(1)
	v_fma_f32 v25, -v28, v40, v25
	ds_read2_b32 v[44:45], v36 offset0:73 offset1:138
	s_lshl_b32 s18, s18, 2
	v_fma_f32 v25, -v29, v41, v25
	v_mov_b32_e32 v46, s18
	ds_read_b128 v[36:39], v46
	v_fma_f32 v25, -v26, v42, v25
	v_fma_f32 v25, -v27, v43, v25
	s_waitcnt lgkmcnt(2)
	v_fma_f32 v25, -v24, v35, v25
	v_or_b32_e32 v35, s14, v0
	s_waitcnt lgkmcnt(1)
	v_mul_f32_e32 v25, v44, v25
	v_lshlrev_b32_e32 v35, 2, v35
	ds_write_b32 v35, v25 offset:16384
	ds_read_b128 v[40:43], v46 offset:16
	ds_read_b64 v[46:47], v46 offset:32
	s_waitcnt lgkmcnt(3)
	v_fma_f32 v22, -v32, v36, v22
	v_fma_f32 v22, -v33, v37, v22
	v_fma_f32 v22, -v30, v38, v22
	v_fma_f32 v22, -v31, v39, v22
	s_or_b32 s14, s9, 0x2c0
	s_waitcnt lgkmcnt(1)
	v_fma_f32 v22, -v28, v40, v22
	s_add_i32 s18, s14, s8
	v_fma_f32 v22, -v29, v41, v22
	s_lshl_b32 s18, s18, 2
	v_fma_f32 v22, -v26, v42, v22
	v_mov_b32_e32 v35, s18
	v_fma_f32 v22, -v27, v43, v22
	ds_read_b128 v[36:39], v35
	s_waitcnt lgkmcnt(1)
	v_fma_f32 v22, -v24, v46, v22
	v_fma_f32 v22, -v25, v47, v22
	v_or_b32_e32 v40, s15, v0
	v_mul_f32_e32 v22, v45, v22
	v_lshlrev_b32_e32 v40, 2, v40
	ds_write_b32 v40, v22 offset:16384
	ds_read_b128 v[40:43], v35 offset:16
	s_waitcnt lgkmcnt(2)
	v_fma_f32 v23, -v32, v36, v23
	v_fma_f32 v23, -v33, v37, v23
	;; [unrolled: 1-line block ×4, first 2 shown]
	s_waitcnt lgkmcnt(0)
	v_fma_f32 v23, -v28, v40, v23
	v_fma_f32 v23, -v29, v41, v23
	;; [unrolled: 1-line block ×3, first 2 shown]
	ds_read_b96 v[40:42], v35 offset:32
	s_or_b32 s15, s9, 0x300
	v_add_u32_e32 v36, 0xa00, v48
	s_add_i32 s18, s15, s8
	ds_read2_b32 v[48:49], v36 offset0:75 offset1:140
	s_lshl_b32 s18, s18, 2
	v_fma_f32 v23, -v27, v43, v23
	v_mov_b32_e32 v35, s18
	ds_read_b128 v[36:39], v35
	s_waitcnt lgkmcnt(2)
	v_fma_f32 v23, -v24, v40, v23
	v_fma_f32 v23, -v25, v41, v23
	;; [unrolled: 1-line block ×3, first 2 shown]
	v_or_b32_e32 v40, s14, v0
	s_waitcnt lgkmcnt(1)
	v_mul_f32_e32 v23, v48, v23
	v_lshlrev_b32_e32 v40, 2, v40
	ds_write_b32 v40, v23 offset:16384
	ds_read_b128 v[40:43], v35 offset:16
	ds_read_b128 v[44:47], v35 offset:32
	s_waitcnt lgkmcnt(3)
	v_fma_f32 v20, -v32, v36, v20
	v_fma_f32 v20, -v33, v37, v20
	;; [unrolled: 1-line block ×4, first 2 shown]
	s_waitcnt lgkmcnt(1)
	v_fma_f32 v20, -v28, v40, v20
	s_or_b32 s14, s9, 0x340
	v_fma_f32 v20, -v29, v41, v20
	v_or_b32_e32 v35, s15, v0
	s_add_i32 s15, s14, s8
	v_fma_f32 v20, -v26, v42, v20
	s_lshl_b32 s15, s15, 2
	v_fma_f32 v20, -v27, v43, v20
	v_mov_b32_e32 v48, s15
	s_waitcnt lgkmcnt(0)
	v_fma_f32 v20, -v24, v44, v20
	ds_read_b128 v[36:39], v48
	v_fma_f32 v20, -v25, v45, v20
	v_fma_f32 v20, -v22, v46, v20
	v_fma_f32 v20, -v23, v47, v20
	v_mul_f32_e32 v20, v49, v20
	v_lshlrev_b32_e32 v35, 2, v35
	ds_write_b32 v35, v20 offset:16384
	s_waitcnt lgkmcnt(1)
	v_fma_f32 v21, -v32, v36, v21
	ds_read_b128 v[40:43], v48 offset:16
	ds_read_b128 v[44:47], v48 offset:32
	ds_read_b32 v35, v48 offset:48
	v_fma_f32 v21, -v33, v37, v21
	v_fma_f32 v21, -v30, v38, v21
	v_fma_f32 v21, -v31, v39, v21
	s_waitcnt lgkmcnt(2)
	v_fma_f32 v21, -v28, v40, v21
	v_fma_f32 v21, -v29, v41, v21
	v_fma_f32 v21, -v26, v42, v21
	v_fma_f32 v21, -v27, v43, v21
	s_waitcnt lgkmcnt(1)
	v_fma_f32 v21, -v24, v44, v21
	;; [unrolled: 5-line block ×3, first 2 shown]
	v_or_b32_e32 v35, s14, v0
	s_or_b32 s14, s9, 0x380
	s_add_i32 s15, s14, s8
	s_lshl_b32 s15, s15, 2
	v_mov_b32_e32 v48, s15
	ds_read_b128 v[36:39], v48
	v_mul_f32_e32 v21, v50, v21
	v_lshlrev_b32_e32 v35, 2, v35
	ds_write_b32 v35, v21 offset:16384
	ds_read_b128 v[40:43], v48 offset:16
	ds_read_b128 v[44:47], v48 offset:32
	ds_read_b96 v[48:50], v48 offset:48
	s_waitcnt lgkmcnt(4)
	v_fma_f32 v18, -v32, v36, v18
	v_fma_f32 v18, -v33, v37, v18
	;; [unrolled: 1-line block ×4, first 2 shown]
	s_waitcnt lgkmcnt(2)
	v_fma_f32 v18, -v28, v40, v18
	v_fma_f32 v18, -v29, v41, v18
	v_fma_f32 v18, -v26, v42, v18
	v_fma_f32 v18, -v27, v43, v18
	s_waitcnt lgkmcnt(1)
	v_fma_f32 v18, -v24, v44, v18
	v_fma_f32 v18, -v25, v45, v18
	v_or_b32_e32 v35, s14, v0
	s_or_b32 s14, s9, 0x3c0
	v_fma_f32 v18, -v22, v46, v18
	s_add_i32 s15, s14, s8
	v_fma_f32 v18, -v23, v47, v18
	s_lshl_b32 s15, s15, 2
	s_waitcnt lgkmcnt(0)
	v_fma_f32 v18, -v20, v48, v18
	v_mov_b32_e32 v48, s15
	ds_read_b128 v[36:39], v48
	v_fma_f32 v18, -v21, v49, v18
	v_mul_f32_e32 v18, v50, v18
	v_lshlrev_b32_e32 v35, 2, v35
	ds_write_b32 v35, v18 offset:16384
	s_waitcnt lgkmcnt(1)
	v_fma_f32 v19, -v32, v36, v19
	ds_read_b128 v[40:43], v48 offset:16
	ds_read_b128 v[44:47], v48 offset:32
	;; [unrolled: 1-line block ×3, first 2 shown]
	v_fma_f32 v19, -v33, v37, v19
	v_fma_f32 v19, -v30, v38, v19
	;; [unrolled: 1-line block ×3, first 2 shown]
	s_waitcnt lgkmcnt(2)
	v_fma_f32 v19, -v28, v40, v19
	v_fma_f32 v19, -v29, v41, v19
	;; [unrolled: 1-line block ×4, first 2 shown]
	s_waitcnt lgkmcnt(1)
	v_fma_f32 v19, -v24, v44, v19
	v_or_b32_e32 v35, s14, v0
	s_or_b32 s14, s8, 16
	v_fma_f32 v19, -v25, v45, v19
	s_lshl_b32 s15, s14, 6
	v_fma_f32 v19, -v22, v46, v19
	s_add_i32 s18, s15, s8
	v_fma_f32 v19, -v23, v47, v19
	s_lshl_b32 s18, s18, 2
	s_waitcnt lgkmcnt(0)
	v_fma_f32 v19, -v20, v48, v19
	v_mov_b32_e32 v48, s18
	ds_read_b128 v[36:39], v48
	v_fma_f32 v19, -v21, v49, v19
	v_fma_f32 v19, -v18, v50, v19
	v_mul_f32_e32 v19, v51, v19
	v_lshlrev_b32_e32 v35, 2, v35
	ds_write_b32 v35, v19 offset:16384
	s_waitcnt lgkmcnt(1)
	v_fma_f32 v16, -v32, v36, v16
	ds_read_b128 v[40:43], v48 offset:16
	ds_read_b128 v[44:47], v48 offset:32
	;; [unrolled: 1-line block ×3, first 2 shown]
	v_fma_f32 v16, -v33, v37, v16
	v_fma_f32 v16, -v30, v38, v16
	;; [unrolled: 1-line block ×3, first 2 shown]
	s_waitcnt lgkmcnt(2)
	v_fma_f32 v16, -v28, v40, v16
	v_fma_f32 v16, -v29, v41, v16
	;; [unrolled: 1-line block ×4, first 2 shown]
	s_waitcnt lgkmcnt(1)
	v_fma_f32 v16, -v24, v44, v16
	v_fma_f32 v16, -v25, v45, v16
	s_mulk_i32 s14, 0x104
	v_fma_f32 v16, -v22, v46, v16
	v_mov_b32_e32 v35, s14
	s_or_b32 s14, s9, 0x440
	v_fma_f32 v16, -v23, v47, v16
	ds_read_b32 v35, v35
	s_add_i32 s18, s14, s8
	s_waitcnt lgkmcnt(1)
	v_fma_f32 v16, -v20, v48, v16
	s_lshl_b32 s18, s18, 2
	v_fma_f32 v16, -v21, v49, v16
	v_mov_b32_e32 v48, s18
	ds_read_b128 v[36:39], v48
	v_fma_f32 v16, -v18, v50, v16
	v_fma_f32 v16, -v19, v51, v16
	s_waitcnt lgkmcnt(1)
	v_mul_f32_e32 v16, v35, v16
	v_or_b32_e32 v35, s15, v0
	v_lshlrev_b32_e32 v35, 2, v35
	ds_write_b32 v35, v16 offset:16384
	ds_read_b128 v[40:43], v48 offset:16
	ds_read_b128 v[44:47], v48 offset:32
	s_waitcnt lgkmcnt(3)
	v_fma_f32 v17, -v32, v36, v17
	v_fma_f32 v17, -v33, v37, v17
	;; [unrolled: 1-line block ×4, first 2 shown]
	s_waitcnt lgkmcnt(1)
	v_fma_f32 v17, -v28, v40, v17
	v_fma_f32 v17, -v29, v41, v17
	;; [unrolled: 1-line block ×4, first 2 shown]
	ds_read_b128 v[36:39], v48 offset:48
	ds_read_b64 v[40:41], v48 offset:64
	s_waitcnt lgkmcnt(2)
	v_fma_f32 v17, -v24, v44, v17
	v_fma_f32 v17, -v25, v45, v17
	;; [unrolled: 1-line block ×4, first 2 shown]
	v_or_b32_e32 v35, s14, v0
	s_or_b32 s14, s9, 0x480
	s_waitcnt lgkmcnt(1)
	v_fma_f32 v17, -v20, v36, v17
	s_add_i32 s15, s14, s8
	v_fma_f32 v17, -v21, v37, v17
	s_lshl_b32 s15, s15, 2
	v_fma_f32 v17, -v18, v38, v17
	v_mov_b32_e32 v52, s15
	v_fma_f32 v17, -v19, v39, v17
	ds_read_b128 v[36:39], v52
	s_waitcnt lgkmcnt(1)
	v_fma_f32 v17, -v16, v40, v17
	v_mul_f32_e32 v17, v41, v17
	v_lshlrev_b32_e32 v35, 2, v35
	ds_write_b32 v35, v17 offset:16384
	s_waitcnt lgkmcnt(1)
	v_fma_f32 v14, -v32, v36, v14
	ds_read_b128 v[40:43], v52 offset:16
	ds_read_b128 v[44:47], v52 offset:32
	;; [unrolled: 1-line block ×3, first 2 shown]
	v_fma_f32 v14, -v33, v37, v14
	v_fma_f32 v14, -v30, v38, v14
	;; [unrolled: 1-line block ×3, first 2 shown]
	s_waitcnt lgkmcnt(2)
	v_fma_f32 v14, -v28, v40, v14
	v_fma_f32 v14, -v29, v41, v14
	;; [unrolled: 1-line block ×4, first 2 shown]
	s_waitcnt lgkmcnt(1)
	v_fma_f32 v14, -v24, v44, v14
	v_fma_f32 v14, -v25, v45, v14
	;; [unrolled: 1-line block ×4, first 2 shown]
	s_or_b32 s15, s9, 0x4c0
	ds_read_b96 v[40:42], v52 offset:64
	s_waitcnt lgkmcnt(1)
	v_fma_f32 v14, -v20, v48, v14
	s_add_i32 s18, s15, s8
	v_fma_f32 v14, -v21, v49, v14
	s_lshl_b32 s18, s18, 2
	v_fma_f32 v14, -v18, v50, v14
	v_mov_b32_e32 v35, s18
	ds_read_b128 v[36:39], v35
	v_fma_f32 v14, -v19, v51, v14
	s_waitcnt lgkmcnt(1)
	v_fma_f32 v14, -v16, v40, v14
	v_fma_f32 v14, -v17, v41, v14
	v_or_b32_e32 v40, s14, v0
	v_mul_f32_e32 v14, v42, v14
	v_lshlrev_b32_e32 v40, 2, v40
	ds_write_b32 v40, v14 offset:16384
	ds_read_b128 v[40:43], v35 offset:16
	ds_read_b128 v[44:47], v35 offset:32
	s_waitcnt lgkmcnt(3)
	v_fma_f32 v15, -v32, v36, v15
	v_fma_f32 v15, -v33, v37, v15
	;; [unrolled: 1-line block ×4, first 2 shown]
	s_waitcnt lgkmcnt(1)
	v_fma_f32 v15, -v28, v40, v15
	v_fma_f32 v15, -v29, v41, v15
	;; [unrolled: 1-line block ×4, first 2 shown]
	ds_read_b128 v[36:39], v35 offset:48
	ds_read_b128 v[40:43], v35 offset:64
	s_waitcnt lgkmcnt(2)
	v_fma_f32 v15, -v24, v44, v15
	v_fma_f32 v15, -v25, v45, v15
	;; [unrolled: 1-line block ×3, first 2 shown]
	s_or_b32 s14, s8, 20
	v_fma_f32 v15, -v23, v47, v15
	v_or_b32_e32 v35, s15, v0
	s_lshl_b32 s15, s14, 6
	s_waitcnt lgkmcnt(1)
	v_fma_f32 v15, -v20, v36, v15
	s_add_i32 s18, s15, s8
	v_fma_f32 v15, -v21, v37, v15
	s_lshl_b32 s18, s18, 2
	v_fma_f32 v15, -v18, v38, v15
	v_mov_b32_e32 v52, s18
	v_fma_f32 v15, -v19, v39, v15
	ds_read_b128 v[36:39], v52
	s_waitcnt lgkmcnt(1)
	v_fma_f32 v15, -v16, v40, v15
	v_fma_f32 v15, -v17, v41, v15
	;; [unrolled: 1-line block ×3, first 2 shown]
	v_mul_f32_e32 v15, v43, v15
	v_lshlrev_b32_e32 v35, 2, v35
	ds_write_b32 v35, v15 offset:16384
	s_waitcnt lgkmcnt(1)
	v_fma_f32 v12, -v32, v36, v12
	ds_read_b128 v[40:43], v52 offset:16
	ds_read_b128 v[44:47], v52 offset:32
	;; [unrolled: 1-line block ×3, first 2 shown]
	v_fma_f32 v12, -v33, v37, v12
	v_fma_f32 v12, -v30, v38, v12
	;; [unrolled: 1-line block ×3, first 2 shown]
	s_waitcnt lgkmcnt(2)
	v_fma_f32 v12, -v28, v40, v12
	v_fma_f32 v12, -v29, v41, v12
	;; [unrolled: 1-line block ×4, first 2 shown]
	s_waitcnt lgkmcnt(1)
	v_fma_f32 v12, -v24, v44, v12
	v_fma_f32 v12, -v25, v45, v12
	;; [unrolled: 1-line block ×4, first 2 shown]
	ds_read_b128 v[36:39], v52 offset:64
	s_waitcnt lgkmcnt(1)
	v_fma_f32 v12, -v20, v48, v12
	v_fma_f32 v12, -v21, v49, v12
	s_mulk_i32 s14, 0x104
	v_fma_f32 v12, -v18, v50, v12
	v_mov_b32_e32 v35, s14
	ds_read_b32 v35, v35
	v_fma_f32 v12, -v19, v51, v12
	s_waitcnt lgkmcnt(1)
	v_fma_f32 v12, -v16, v36, v12
	v_fma_f32 v12, -v17, v37, v12
	;; [unrolled: 1-line block ×4, first 2 shown]
	s_or_b32 s14, s9, 0x540
	s_waitcnt lgkmcnt(0)
	v_mul_f32_e32 v12, v35, v12
	v_or_b32_e32 v35, s15, v0
	s_add_i32 s15, s14, s8
	s_lshl_b32 s15, s15, 2
	v_mov_b32_e32 v52, s15
	ds_read_b128 v[36:39], v52
	v_lshlrev_b32_e32 v35, 2, v35
	ds_write_b32 v35, v12 offset:16384
	ds_read_b128 v[40:43], v52 offset:16
	ds_read_b128 v[44:47], v52 offset:32
	;; [unrolled: 1-line block ×3, first 2 shown]
	v_or_b32_e32 v35, s14, v0
	s_waitcnt lgkmcnt(4)
	v_fma_f32 v13, -v32, v36, v13
	v_fma_f32 v13, -v33, v37, v13
	v_fma_f32 v13, -v30, v38, v13
	v_fma_f32 v13, -v31, v39, v13
	s_waitcnt lgkmcnt(2)
	v_fma_f32 v13, -v28, v40, v13
	v_fma_f32 v13, -v29, v41, v13
	v_fma_f32 v13, -v26, v42, v13
	v_fma_f32 v13, -v27, v43, v13
	;; [unrolled: 5-line block ×3, first 2 shown]
	ds_read_b128 v[36:39], v52 offset:64
	ds_read_b64 v[40:41], v52 offset:80
	s_waitcnt lgkmcnt(2)
	v_fma_f32 v13, -v20, v48, v13
	v_fma_f32 v13, -v21, v49, v13
	;; [unrolled: 1-line block ×4, first 2 shown]
	s_or_b32 s14, s9, 0x580
	s_waitcnt lgkmcnt(1)
	v_fma_f32 v13, -v16, v36, v13
	s_add_i32 s15, s14, s8
	v_fma_f32 v13, -v17, v37, v13
	s_lshl_b32 s15, s15, 2
	v_fma_f32 v13, -v14, v38, v13
	v_mov_b32_e32 v52, s15
	v_fma_f32 v13, -v15, v39, v13
	ds_read_b128 v[36:39], v52
	s_waitcnt lgkmcnt(1)
	v_fma_f32 v13, -v12, v40, v13
	v_mul_f32_e32 v13, v41, v13
	v_lshlrev_b32_e32 v35, 2, v35
	ds_write_b32 v35, v13 offset:16384
	s_waitcnt lgkmcnt(1)
	v_fma_f32 v10, -v32, v36, v10
	ds_read_b128 v[40:43], v52 offset:16
	ds_read_b128 v[44:47], v52 offset:32
	;; [unrolled: 1-line block ×3, first 2 shown]
	v_fma_f32 v10, -v33, v37, v10
	v_fma_f32 v10, -v30, v38, v10
	;; [unrolled: 1-line block ×3, first 2 shown]
	s_waitcnt lgkmcnt(2)
	v_fma_f32 v10, -v28, v40, v10
	v_fma_f32 v10, -v29, v41, v10
	;; [unrolled: 1-line block ×4, first 2 shown]
	s_waitcnt lgkmcnt(1)
	v_fma_f32 v10, -v24, v44, v10
	v_fma_f32 v10, -v25, v45, v10
	;; [unrolled: 1-line block ×4, first 2 shown]
	ds_read_b128 v[36:39], v52 offset:64
	ds_read_b96 v[40:42], v52 offset:80
	s_waitcnt lgkmcnt(2)
	v_fma_f32 v10, -v20, v48, v10
	v_fma_f32 v10, -v21, v49, v10
	;; [unrolled: 1-line block ×4, first 2 shown]
	s_waitcnt lgkmcnt(1)
	v_fma_f32 v10, -v16, v36, v10
	v_fma_f32 v10, -v17, v37, v10
	;; [unrolled: 1-line block ×4, first 2 shown]
	s_waitcnt lgkmcnt(0)
	v_fma_f32 v10, -v12, v40, v10
	v_fma_f32 v10, -v13, v41, v10
	v_mul_f32_e32 v35, v42, v10
	v_or_b32_e32 v10, s14, v0
	s_or_b32 s14, s9, 0x5c0
	s_add_i32 s15, s14, s8
	s_lshl_b32 s15, s15, 2
	v_mov_b32_e32 v52, s15
	ds_read_b128 v[36:39], v52
	v_lshlrev_b32_e32 v10, 2, v10
	ds_write_b32 v10, v35 offset:16384
	ds_read_b128 v[40:43], v52 offset:16
	ds_read_b128 v[44:47], v52 offset:32
	ds_read_b128 v[48:51], v52 offset:48
	s_addk_i32 s6, 0x2000
	s_waitcnt lgkmcnt(4)
	v_fma_f32 v10, -v32, v36, v11
	v_fma_f32 v10, -v33, v37, v10
	v_fma_f32 v10, -v30, v38, v10
	v_fma_f32 v10, -v31, v39, v10
	s_waitcnt lgkmcnt(2)
	v_fma_f32 v10, -v28, v40, v10
	v_fma_f32 v10, -v29, v41, v10
	v_fma_f32 v10, -v26, v42, v10
	v_fma_f32 v10, -v27, v43, v10
	;; [unrolled: 5-line block ×3, first 2 shown]
	ds_read_b128 v[36:39], v52 offset:64
	ds_read_b128 v[40:43], v52 offset:80
	s_waitcnt lgkmcnt(2)
	v_fma_f32 v10, -v20, v48, v10
	v_fma_f32 v10, -v21, v49, v10
	;; [unrolled: 1-line block ×4, first 2 shown]
	s_waitcnt lgkmcnt(1)
	v_fma_f32 v10, -v16, v36, v10
	v_fma_f32 v10, -v17, v37, v10
	;; [unrolled: 1-line block ×4, first 2 shown]
	s_waitcnt lgkmcnt(0)
	v_fma_f32 v10, -v12, v40, v10
	v_fma_f32 v10, -v13, v41, v10
	;; [unrolled: 1-line block ×3, first 2 shown]
	v_mul_f32_e32 v52, v43, v10
	v_or_b32_e32 v10, s14, v0
	s_or_b32 s14, s8, 24
	s_lshl_b32 s15, s14, 6
	s_add_i32 s18, s15, s8
	s_lshl_b32 s18, s18, 2
	v_mov_b32_e32 v11, s18
	ds_read_b128 v[36:39], v11
	v_lshlrev_b32_e32 v10, 2, v10
	ds_write_b32 v10, v52 offset:16384
	ds_read_b128 v[40:43], v11 offset:16
	ds_read_b128 v[44:47], v11 offset:32
	;; [unrolled: 1-line block ×3, first 2 shown]
	s_mulk_i32 s14, 0x104
	s_waitcnt lgkmcnt(4)
	v_fma_f32 v8, -v32, v36, v8
	v_fma_f32 v8, -v33, v37, v8
	v_fma_f32 v8, -v30, v38, v8
	v_fma_f32 v8, -v31, v39, v8
	s_waitcnt lgkmcnt(2)
	v_fma_f32 v8, -v28, v40, v8
	v_fma_f32 v8, -v29, v41, v8
	v_fma_f32 v8, -v26, v42, v8
	v_fma_f32 v8, -v27, v43, v8
	s_waitcnt lgkmcnt(1)
	v_fma_f32 v8, -v24, v44, v8
	v_fma_f32 v8, -v25, v45, v8
	v_fma_f32 v8, -v22, v46, v8
	v_fma_f32 v8, -v23, v47, v8
	ds_read_b128 v[36:39], v11 offset:64
	s_waitcnt lgkmcnt(1)
	v_fma_f32 v8, -v20, v48, v8
	v_fma_f32 v8, -v21, v49, v8
	;; [unrolled: 1-line block ×4, first 2 shown]
	ds_read_b128 v[40:43], v11 offset:80
	v_mov_b32_e32 v10, s14
	s_or_b32 s14, s9, 0x640
	ds_read_b32 v10, v10
	s_waitcnt lgkmcnt(2)
	v_fma_f32 v8, -v16, v36, v8
	v_fma_f32 v8, -v17, v37, v8
	s_add_i32 s18, s14, s8
	v_fma_f32 v8, -v14, v38, v8
	s_lshl_b32 s18, s18, 2
	v_fma_f32 v8, -v15, v39, v8
	v_mov_b32_e32 v48, s18
	ds_read_b128 v[36:39], v48
	s_waitcnt lgkmcnt(2)
	v_fma_f32 v8, -v12, v40, v8
	v_fma_f32 v8, -v13, v41, v8
	;; [unrolled: 1-line block ×4, first 2 shown]
	s_waitcnt lgkmcnt(1)
	v_mul_f32_e32 v49, v10, v8
	v_or_b32_e32 v8, s15, v0
	v_lshlrev_b32_e32 v8, 2, v8
	ds_write_b32 v8, v49 offset:16384
	ds_read_b128 v[40:43], v48 offset:16
	ds_read_b128 v[44:47], v48 offset:32
	s_waitcnt lgkmcnt(3)
	v_fma_f32 v8, -v32, v36, v9
	v_fma_f32 v8, -v33, v37, v8
	;; [unrolled: 1-line block ×4, first 2 shown]
	s_waitcnt lgkmcnt(1)
	v_fma_f32 v8, -v28, v40, v8
	v_fma_f32 v8, -v29, v41, v8
	;; [unrolled: 1-line block ×4, first 2 shown]
	s_waitcnt lgkmcnt(0)
	v_fma_f32 v36, -v24, v44, v8
	ds_read_b128 v[8:11], v48 offset:48
	v_fma_f32 v36, -v25, v45, v36
	v_fma_f32 v36, -v22, v46, v36
	v_fma_f32 v40, -v23, v47, v36
	ds_read_b128 v[36:39], v48 offset:64
	s_waitcnt lgkmcnt(1)
	v_fma_f32 v8, -v20, v8, v40
	v_fma_f32 v8, -v21, v9, v8
	;; [unrolled: 1-line block ×4, first 2 shown]
	s_waitcnt lgkmcnt(0)
	v_fma_f32 v36, -v16, v36, v8
	ds_read_b128 v[8:11], v48 offset:80
	v_fma_f32 v36, -v17, v37, v36
	v_fma_f32 v36, -v14, v38, v36
	;; [unrolled: 1-line block ×3, first 2 shown]
	ds_read_b64 v[36:37], v48 offset:96
	s_waitcnt lgkmcnt(1)
	v_fma_f32 v8, -v12, v8, v38
	v_fma_f32 v8, -v13, v9, v8
	;; [unrolled: 1-line block ×4, first 2 shown]
	s_waitcnt lgkmcnt(0)
	v_fma_f32 v8, -v49, v36, v8
	v_mul_f32_e32 v48, v37, v8
	v_or_b32_e32 v8, s14, v0
	s_or_b32 s14, s9, 0x680
	s_add_i32 s15, s14, s8
	s_lshl_b32 s15, s15, 2
	v_mov_b32_e32 v50, s15
	v_lshlrev_b32_e32 v36, 2, v8
	ds_read_b128 v[8:11], v50
	ds_write_b32 v36, v48 offset:16384
	ds_read_b128 v[36:39], v50 offset:16
	ds_read_b128 v[40:43], v50 offset:32
	;; [unrolled: 1-line block ×3, first 2 shown]
	s_or_b32 s15, s9, 0x6c0
	s_add_i32 s18, s15, s8
	s_waitcnt lgkmcnt(4)
	v_fma_f32 v6, -v32, v8, v6
	v_fma_f32 v6, -v33, v9, v6
	v_fma_f32 v6, -v30, v10, v6
	v_fma_f32 v6, -v31, v11, v6
	s_waitcnt lgkmcnt(2)
	v_fma_f32 v6, -v28, v36, v6
	v_fma_f32 v6, -v29, v37, v6
	v_fma_f32 v6, -v26, v38, v6
	v_fma_f32 v6, -v27, v39, v6
	s_waitcnt lgkmcnt(1)
	v_fma_f32 v6, -v24, v40, v6
	v_fma_f32 v6, -v25, v41, v6
	v_fma_f32 v6, -v22, v42, v6
	v_fma_f32 v6, -v23, v43, v6
	ds_read_b128 v[8:11], v50 offset:64
	s_waitcnt lgkmcnt(1)
	v_fma_f32 v6, -v20, v44, v6
	v_fma_f32 v6, -v21, v45, v6
	;; [unrolled: 1-line block ×4, first 2 shown]
	ds_read_b128 v[36:39], v50 offset:80
	s_waitcnt lgkmcnt(1)
	v_fma_f32 v6, -v16, v8, v6
	v_fma_f32 v6, -v17, v9, v6
	;; [unrolled: 1-line block ×3, first 2 shown]
	s_lshl_b32 s18, s18, 2
	v_fma_f32 v6, -v15, v11, v6
	v_mov_b32_e32 v44, s18
	ds_read_b128 v[8:11], v44
	s_waitcnt lgkmcnt(1)
	v_fma_f32 v6, -v12, v36, v6
	v_fma_f32 v6, -v13, v37, v6
	;; [unrolled: 1-line block ×3, first 2 shown]
	ds_read_b96 v[36:38], v50 offset:96
	v_fma_f32 v6, -v52, v39, v6
	s_waitcnt lgkmcnt(0)
	v_fma_f32 v6, -v49, v36, v6
	v_fma_f32 v6, -v48, v37, v6
	v_mul_f32_e32 v50, v38, v6
	v_or_b32_e32 v6, s14, v0
	v_lshlrev_b32_e32 v6, 2, v6
	ds_write_b32 v6, v50 offset:16384
	ds_read_b128 v[36:39], v44 offset:16
	ds_read_b128 v[40:43], v44 offset:32
	v_fma_f32 v6, -v32, v8, v7
	v_fma_f32 v6, -v33, v9, v6
	;; [unrolled: 1-line block ×4, first 2 shown]
	s_waitcnt lgkmcnt(1)
	v_fma_f32 v6, -v28, v36, v6
	v_fma_f32 v6, -v29, v37, v6
	;; [unrolled: 1-line block ×4, first 2 shown]
	s_waitcnt lgkmcnt(0)
	v_fma_f32 v10, -v24, v40, v6
	ds_read_b128 v[6:9], v44 offset:48
	ds_read_b128 v[36:39], v44 offset:64
	v_fma_f32 v10, -v25, v41, v10
	v_fma_f32 v10, -v22, v42, v10
	;; [unrolled: 1-line block ×3, first 2 shown]
	s_waitcnt lgkmcnt(1)
	v_fma_f32 v6, -v20, v6, v10
	v_fma_f32 v6, -v21, v7, v6
	;; [unrolled: 1-line block ×4, first 2 shown]
	s_waitcnt lgkmcnt(0)
	v_fma_f32 v10, -v16, v36, v6
	ds_read_b128 v[6:9], v44 offset:80
	v_fma_f32 v10, -v17, v37, v10
	v_fma_f32 v10, -v14, v38, v10
	;; [unrolled: 1-line block ×3, first 2 shown]
	ds_read_b128 v[36:39], v44 offset:96
	s_waitcnt lgkmcnt(1)
	v_fma_f32 v6, -v12, v6, v10
	v_fma_f32 v6, -v13, v7, v6
	;; [unrolled: 1-line block ×4, first 2 shown]
	s_waitcnt lgkmcnt(0)
	v_fma_f32 v6, -v49, v36, v6
	v_fma_f32 v6, -v48, v37, v6
	;; [unrolled: 1-line block ×3, first 2 shown]
	s_or_b32 s14, s8, 28
	v_mul_f32_e32 v51, v39, v6
	v_or_b32_e32 v6, s15, v0
	s_lshl_b32 s15, s14, 6
	s_add_i32 s18, s15, s8
	s_lshl_b32 s18, s18, 2
	v_mov_b32_e32 v11, s18
	v_lshlrev_b32_e32 v10, 2, v6
	ds_read_b128 v[6:9], v11
	ds_write_b32 v10, v51 offset:16384
	ds_read_b128 v[36:39], v11 offset:16
	ds_read_b128 v[40:43], v11 offset:32
	;; [unrolled: 1-line block ×3, first 2 shown]
	s_mulk_i32 s14, 0x104
	v_mov_b32_e32 v10, s14
	s_waitcnt lgkmcnt(4)
	v_fma_f32 v4, -v32, v6, v4
	v_fma_f32 v4, -v33, v7, v4
	v_fma_f32 v4, -v30, v8, v4
	v_fma_f32 v4, -v31, v9, v4
	s_waitcnt lgkmcnt(2)
	v_fma_f32 v4, -v28, v36, v4
	v_fma_f32 v4, -v29, v37, v4
	v_fma_f32 v4, -v26, v38, v4
	v_fma_f32 v4, -v27, v39, v4
	;; [unrolled: 5-line block ×3, first 2 shown]
	ds_read_b128 v[6:9], v11 offset:64
	ds_read_b32 v10, v10
	s_waitcnt lgkmcnt(2)
	v_fma_f32 v4, -v20, v44, v4
	v_fma_f32 v4, -v21, v45, v4
	;; [unrolled: 1-line block ×4, first 2 shown]
	ds_read_b128 v[36:39], v11 offset:80
	s_waitcnt lgkmcnt(2)
	v_fma_f32 v4, -v16, v6, v4
	v_fma_f32 v4, -v17, v7, v4
	;; [unrolled: 1-line block ×4, first 2 shown]
	ds_read_b128 v[6:9], v11 offset:96
	s_waitcnt lgkmcnt(1)
	v_fma_f32 v4, -v12, v36, v4
	v_fma_f32 v4, -v13, v37, v4
	;; [unrolled: 1-line block ×4, first 2 shown]
	s_waitcnt lgkmcnt(0)
	v_fma_f32 v4, -v49, v6, v4
	v_fma_f32 v4, -v48, v7, v4
	;; [unrolled: 1-line block ×4, first 2 shown]
	s_or_b32 s14, s9, 0x740
	v_mul_f32_e32 v53, v10, v4
	v_or_b32_e32 v4, s15, v0
	s_add_i32 s15, s14, s8
	s_lshl_b32 s15, s15, 2
	v_mov_b32_e32 v54, s15
	ds_read_b128 v[6:9], v54
	v_lshlrev_b32_e32 v4, 2, v4
	ds_write_b32 v4, v53 offset:16384
	ds_read_b128 v[36:39], v54 offset:16
	ds_read_b128 v[40:43], v54 offset:32
	;; [unrolled: 1-line block ×3, first 2 shown]
	s_waitcnt lgkmcnt(4)
	v_fma_f32 v4, -v32, v6, v5
	v_fma_f32 v4, -v33, v7, v4
	v_fma_f32 v4, -v30, v8, v4
	v_fma_f32 v4, -v31, v9, v4
	s_waitcnt lgkmcnt(2)
	v_fma_f32 v4, -v28, v36, v4
	v_fma_f32 v4, -v29, v37, v4
	v_fma_f32 v4, -v26, v38, v4
	v_fma_f32 v4, -v27, v39, v4
	;; [unrolled: 5-line block ×3, first 2 shown]
	s_waitcnt lgkmcnt(0)
	v_fma_f32 v8, -v20, v44, v4
	ds_read_b128 v[4:7], v54 offset:64
	v_fma_f32 v8, -v21, v45, v8
	v_fma_f32 v8, -v18, v46, v8
	;; [unrolled: 1-line block ×3, first 2 shown]
	ds_read_b128 v[8:11], v54 offset:80
	s_waitcnt lgkmcnt(1)
	v_fma_f32 v4, -v16, v4, v36
	v_fma_f32 v4, -v17, v5, v4
	;; [unrolled: 1-line block ×4, first 2 shown]
	s_waitcnt lgkmcnt(0)
	v_fma_f32 v8, -v12, v8, v4
	ds_read_b128 v[4:7], v54 offset:96
	v_fma_f32 v8, -v13, v9, v8
	v_fma_f32 v8, -v35, v10, v8
	v_fma_f32 v10, -v52, v11, v8
	ds_read_b64 v[8:9], v54 offset:112
	s_waitcnt lgkmcnt(1)
	v_fma_f32 v4, -v49, v4, v10
	v_fma_f32 v4, -v48, v5, v4
	;; [unrolled: 1-line block ×4, first 2 shown]
	s_waitcnt lgkmcnt(0)
	v_fma_f32 v4, -v53, v8, v4
	v_mul_f32_e32 v44, v9, v4
	v_or_b32_e32 v4, s14, v0
	s_or_b32 s14, s9, 0x780
	s_add_i32 s15, s14, s8
	s_lshl_b32 s15, s15, 2
	v_mov_b32_e32 v45, s15
	v_lshlrev_b32_e32 v8, 2, v4
	ds_read_b128 v[4:7], v45
	ds_write_b32 v8, v44 offset:16384
	ds_read_b128 v[8:11], v45 offset:16
	ds_read_b128 v[36:39], v45 offset:32
	;; [unrolled: 1-line block ×3, first 2 shown]
	s_or_b32 s9, s9, 0x7c0
	s_waitcnt lgkmcnt(4)
	v_fma_f32 v2, -v32, v4, v2
	v_fma_f32 v2, -v33, v5, v2
	v_fma_f32 v2, -v30, v6, v2
	v_fma_f32 v2, -v31, v7, v2
	s_waitcnt lgkmcnt(2)
	v_fma_f32 v2, -v28, v8, v2
	v_fma_f32 v2, -v29, v9, v2
	v_fma_f32 v2, -v26, v10, v2
	v_fma_f32 v2, -v27, v11, v2
	;; [unrolled: 5-line block ×3, first 2 shown]
	ds_read_b128 v[4:7], v45 offset:64
	ds_read_b128 v[8:11], v45 offset:80
	s_waitcnt lgkmcnt(2)
	v_fma_f32 v2, -v20, v40, v2
	v_fma_f32 v2, -v21, v41, v2
	v_fma_f32 v2, -v18, v42, v2
	v_fma_f32 v2, -v19, v43, v2
	s_waitcnt lgkmcnt(1)
	v_fma_f32 v2, -v16, v4, v2
	v_fma_f32 v2, -v17, v5, v2
	;; [unrolled: 1-line block ×4, first 2 shown]
	ds_read_b128 v[4:7], v45 offset:96
	s_waitcnt lgkmcnt(1)
	v_fma_f32 v2, -v12, v8, v2
	v_fma_f32 v2, -v13, v9, v2
	;; [unrolled: 1-line block ×3, first 2 shown]
	ds_read_b96 v[8:10], v45 offset:112
	v_fma_f32 v2, -v52, v11, v2
	s_waitcnt lgkmcnt(1)
	v_fma_f32 v2, -v49, v4, v2
	v_fma_f32 v2, -v48, v5, v2
	;; [unrolled: 1-line block ×4, first 2 shown]
	s_waitcnt lgkmcnt(0)
	v_fma_f32 v2, -v53, v8, v2
	v_fma_f32 v2, -v44, v9, v2
	v_mul_f32_e32 v45, v10, v2
	v_or_b32_e32 v2, s14, v0
	s_add_i32 s14, s9, s8
	s_lshl_b32 s14, s14, 2
	v_mov_b32_e32 v46, s14
	ds_read_b128 v[4:7], v46
	v_lshlrev_b32_e32 v2, 2, v2
	ds_write_b32 v2, v45 offset:16384
	ds_read_b128 v[8:11], v46 offset:16
	ds_read_b128 v[36:39], v46 offset:32
	;; [unrolled: 1-line block ×3, first 2 shown]
	s_waitcnt lgkmcnt(4)
	v_fma_f32 v2, -v32, v4, v3
	v_fma_f32 v2, -v33, v5, v2
	v_fma_f32 v2, -v30, v6, v2
	v_fma_f32 v2, -v31, v7, v2
	s_waitcnt lgkmcnt(2)
	v_fma_f32 v2, -v28, v8, v2
	v_fma_f32 v2, -v29, v9, v2
	v_fma_f32 v2, -v26, v10, v2
	v_fma_f32 v2, -v27, v11, v2
	;; [unrolled: 5-line block ×3, first 2 shown]
	s_waitcnt lgkmcnt(0)
	v_fma_f32 v6, -v20, v40, v2
	ds_read_b128 v[2:5], v46 offset:64
	v_fma_f32 v6, -v21, v41, v6
	v_fma_f32 v6, -v18, v42, v6
	v_fma_f32 v10, -v19, v43, v6
	ds_read_b128 v[6:9], v46 offset:80
	s_waitcnt lgkmcnt(1)
	v_fma_f32 v2, -v16, v2, v10
	v_fma_f32 v2, -v17, v3, v2
	v_fma_f32 v2, -v14, v4, v2
	v_fma_f32 v2, -v15, v5, v2
	s_waitcnt lgkmcnt(0)
	v_fma_f32 v6, -v12, v6, v2
	ds_read_b128 v[2:5], v46 offset:96
	v_fma_f32 v6, -v13, v7, v6
	v_fma_f32 v6, -v35, v8, v6
	;; [unrolled: 1-line block ×3, first 2 shown]
	ds_read_b128 v[6:9], v46 offset:112
	s_waitcnt lgkmcnt(1)
	v_fma_f32 v2, -v49, v2, v10
	v_fma_f32 v2, -v48, v3, v2
	;; [unrolled: 1-line block ×4, first 2 shown]
	s_waitcnt lgkmcnt(0)
	v_fma_f32 v2, -v53, v6, v2
	v_fma_f32 v2, -v44, v7, v2
	;; [unrolled: 1-line block ×3, first 2 shown]
	v_or_b32_e32 v3, s9, v0
	s_add_i32 s9, s8, 32
	s_add_i32 s8, s8, 63
	v_mul_f32_e32 v2, v9, v2
	v_lshlrev_b32_e32 v3, 2, v3
	s_cmp_lt_i32 s8, s26
	ds_write_b32 v3, v2 offset:16384
	s_cbranch_scc0 .LBB41_35
; %bb.34:                               ;   in Loop: Header=BB41_30 Depth=1
	s_mov_b32 s8, s9
	s_branch .LBB41_30
.LBB41_35:
	s_cmp_lt_i32 s9, s26
	s_cbranch_scc0 .LBB41_60
; %bb.36:
	s_add_i32 s6, s9, 3
	s_cmp_ge_i32 s6, s26
	s_cbranch_scc1 .LBB41_48
; %bb.37:
	v_mov_b32_e32 v1, 0x4000
	s_add_i32 s6, s9, -1
	s_lshl_b32 s8, s9, 8
	v_lshl_or_b32 v1, v0, 2, v1
	s_and_b32 s14, s9, -4
	s_and_b32 s15, s9, 3
	s_mov_b32 s18, 0
	v_lshlrev_b32_e32 v6, 2, v0
.LBB41_38:                              ; =>This Loop Header: Depth=1
                                        ;     Child Loop BB41_41 Depth 2
                                        ;     Child Loop BB41_45 Depth 2
	v_lshl_or_b32 v7, s9, 8, v6
	ds_read2st64_b32 v[4:5], v7 offset0:64 offset1:65
	ds_read2st64_b32 v[2:3], v7 offset0:66 offset1:67
	s_cmp_eq_u32 s9, 0
	s_cbranch_scc1 .LBB41_46
; %bb.39:                               ;   in Loop: Header=BB41_38 Depth=1
	s_lshl_b32 s19, s18, 2
	s_add_i32 s19, s6, s19
	s_cmp_lt_u32 s19, 3
	s_cbranch_scc1 .LBB41_43
; %bb.40:                               ;   in Loop: Header=BB41_38 Depth=1
	s_mov_b32 s19, 0
	v_mov_b32_e32 v8, v1
	s_mov_b32 s20, s8
.LBB41_41:                              ;   Parent Loop BB41_38 Depth=1
                                        ; =>  This Inner Loop Header: Depth=2
	v_mov_b32_e32 v9, s20
	ds_read2st64_b32 v[26:27], v8 offset1:1
	ds_read2st64_b32 v[28:29], v8 offset0:2 offset1:3
	ds_read_b128 v[10:13], v9
	ds_read_b128 v[14:17], v9 offset:256
	ds_read_b128 v[18:21], v9 offset:512
	;; [unrolled: 1-line block ×3, first 2 shown]
	s_add_i32 s19, s19, 4
	s_add_i32 s20, s20, 16
	s_waitcnt lgkmcnt(3)
	v_fma_f32 v4, -v26, v10, v4
	s_waitcnt lgkmcnt(2)
	v_fma_f32 v5, -v26, v14, v5
	;; [unrolled: 2-line block ×4, first 2 shown]
	v_fma_f32 v4, -v27, v11, v4
	v_fma_f32 v5, -v27, v15, v5
	;; [unrolled: 1-line block ×8, first 2 shown]
	v_add_u32_e32 v8, 0x400, v8
	s_cmp_lg_u32 s14, s19
	v_fma_f32 v4, -v29, v13, v4
	v_fma_f32 v5, -v29, v17, v5
	;; [unrolled: 1-line block ×4, first 2 shown]
	s_cbranch_scc1 .LBB41_41
; %bb.42:                               ;   in Loop: Header=BB41_38 Depth=1
	s_mov_b32 s20, s14
	s_and_b32 s19, s9, 3
	s_cmp_eq_u32 s19, 0
	s_cbranch_scc0 .LBB41_44
	s_branch .LBB41_46
.LBB41_43:                              ;   in Loop: Header=BB41_38 Depth=1
	s_mov_b32 s20, 0
	s_and_b32 s19, s9, 3
	s_cmp_eq_u32 s19, 0
	s_cbranch_scc1 .LBB41_46
.LBB41_44:                              ;   in Loop: Header=BB41_38 Depth=1
	s_lshl_b32 s19, s20, 2
	v_lshl_add_u32 v8, s20, 8, v1
	s_mov_b32 s20, s15
.LBB41_45:                              ;   Parent Loop BB41_38 Depth=1
                                        ; =>  This Inner Loop Header: Depth=2
	s_add_i32 s21, s8, s19
	v_mov_b32_e32 v12, s21
	ds_read_b32 v9, v8
	ds_read2st64_b32 v[10:11], v12 offset1:1
	ds_read2st64_b32 v[12:13], v12 offset0:2 offset1:3
	s_add_i32 s19, s19, 4
	s_add_i32 s20, s20, -1
	v_add_u32_e32 v8, 0x100, v8
	s_cmp_lg_u32 s20, 0
	s_waitcnt lgkmcnt(1)
	v_fma_f32 v4, -v9, v10, v4
	v_fma_f32 v5, -v9, v11, v5
	s_waitcnt lgkmcnt(0)
	v_fma_f32 v2, -v9, v12, v2
	v_fma_f32 v3, -v9, v13, v3
	s_cbranch_scc1 .LBB41_45
.LBB41_46:                              ;   in Loop: Header=BB41_38 Depth=1
	s_mul_i32 s19, s9, 0x104
	v_mov_b32_e32 v8, s19
	ds_read2_b32 v[8:9], v8 offset1:130
	s_lshl_b32 s19, s9, 6
	s_add_i32 s20, s19, 64
	s_add_i32 s21, s20, s9
	v_add_u32_e32 v7, 0x4000, v7
	s_lshl_b32 s21, s21, 2
	s_waitcnt lgkmcnt(0)
	v_mul_f32_e32 v4, v8, v4
	ds_write_b32 v7, v4
	v_mov_b32_e32 v7, s21
	s_add_i32 s21, s19, 0x80
	s_add_i32 s23, s21, s9
	s_lshl_b32 s23, s23, 2
	s_addk_i32 s19, 0xc0
	ds_read2_b32 v[10:11], v7 offset1:1
	v_mov_b32_e32 v8, s23
	s_add_i32 s23, s19, s9
	s_lshl_b32 s23, s23, 2
	v_mov_b32_e32 v7, s23
	ds_read2_b32 v[12:13], v8 offset1:1
	ds_read2_b32 v[14:15], v7 offset1:1
	ds_read2_b32 v[16:17], v7 offset0:2 offset1:3
	s_waitcnt lgkmcnt(3)
	v_fma_f32 v5, -v4, v10, v5
	v_or_b32_e32 v7, s20, v0
	v_mul_f32_e32 v5, v11, v5
	v_lshlrev_b32_e32 v7, 2, v7
	s_waitcnt lgkmcnt(2)
	v_fma_f32 v2, -v4, v12, v2
	ds_write_b32 v7, v5 offset:16384
	v_fma_f32 v2, -v5, v13, v2
	v_or_b32_e32 v7, s21, v0
	s_waitcnt lgkmcnt(2)
	v_fma_f32 v3, -v4, v14, v3
	v_mul_f32_e32 v2, v9, v2
	v_lshlrev_b32_e32 v7, 2, v7
	v_fma_f32 v3, -v5, v15, v3
	ds_write_b32 v7, v2 offset:16384
	s_waitcnt lgkmcnt(2)
	v_fma_f32 v2, -v2, v16, v3
	v_or_b32_e32 v3, s19, v0
	s_add_i32 s19, s9, 4
	s_add_i32 s9, s9, 7
	;; [unrolled: 1-line block ×3, first 2 shown]
	s_addk_i32 s8, 0x400
	s_add_i32 s14, s14, 4
	v_mul_f32_e32 v2, v17, v2
	v_lshlrev_b32_e32 v3, 2, v3
	s_cmp_lt_i32 s9, s26
	ds_write_b32 v3, v2 offset:16384
	s_cbranch_scc0 .LBB41_49
; %bb.47:                               ;   in Loop: Header=BB41_38 Depth=1
	s_mov_b32 s9, s19
	s_branch .LBB41_38
.LBB41_48:
	s_mov_b32 s19, s9
.LBB41_49:
	s_cmp_ge_i32 s19, s26
	s_cbranch_scc1 .LBB41_60
; %bb.50:
	v_mov_b32_e32 v1, 0x4000
	s_add_i32 s6, s19, -1
	v_lshl_or_b32 v1, v0, 2, v1
	s_lshl_b32 s8, s19, 8
	s_mov_b32 s9, 0
	v_lshlrev_b32_e32 v2, 2, v0
	s_mov_b32 s14, s19
	s_branch .LBB41_52
.LBB41_51:                              ;   in Loop: Header=BB41_52 Depth=1
	s_mul_i32 s15, s19, 0x104
	v_mov_b32_e32 v5, s15
	ds_read_b32 v5, v5
	s_add_i32 s19, s19, 1
	s_add_i32 s9, s9, 1
	s_addk_i32 s8, 0x100
	v_add_u16_e64 v6, s14, 1
	v_add_u32_e32 v4, 0x4000, v4
	s_waitcnt lgkmcnt(0)
	v_mul_f32_e32 v3, v5, v3
	s_cmp_ge_i32 s19, s26
	v_readfirstlane_b32 s14, v6
	ds_write_b32 v4, v3
	s_cbranch_scc1 .LBB41_60
.LBB41_52:                              ; =>This Loop Header: Depth=1
                                        ;     Child Loop BB41_55 Depth 2
                                        ;     Child Loop BB41_59 Depth 2
	v_lshl_or_b32 v4, s19, 8, v2
	ds_read_b32 v3, v4 offset:16384
	s_cmp_eq_u32 s19, 0
	s_cbranch_scc1 .LBB41_51
; %bb.53:                               ;   in Loop: Header=BB41_52 Depth=1
	s_add_i32 s15, s6, s9
	s_cmp_lt_u32 s15, 7
	s_cbranch_scc1 .LBB41_57
; %bb.54:                               ;   in Loop: Header=BB41_52 Depth=1
	s_and_b32 s15, s19, -8
	s_mov_b32 s18, 0
	s_mov_b32 s20, s8
	v_mov_b32_e32 v5, v1
.LBB41_55:                              ;   Parent Loop BB41_52 Depth=1
                                        ; =>  This Inner Loop Header: Depth=2
	v_mov_b32_e32 v10, s20
	ds_read2st64_b32 v[14:15], v5 offset1:1
	ds_read2st64_b32 v[16:17], v5 offset0:2 offset1:3
	ds_read2st64_b32 v[18:19], v5 offset0:4 offset1:5
	;; [unrolled: 1-line block ×3, first 2 shown]
	ds_read_b128 v[6:9], v10
	ds_read_b128 v[10:13], v10 offset:16
	s_add_i32 s18, s18, 8
	s_add_i32 s20, s20, 32
	v_add_u32_e32 v5, 0x800, v5
	s_waitcnt lgkmcnt(1)
	v_fma_f32 v3, -v14, v6, v3
	v_fma_f32 v3, -v15, v7, v3
	;; [unrolled: 1-line block ×4, first 2 shown]
	s_waitcnt lgkmcnt(0)
	v_fma_f32 v3, -v18, v10, v3
	v_fma_f32 v3, -v19, v11, v3
	;; [unrolled: 1-line block ×3, first 2 shown]
	s_cmp_lg_u32 s15, s18
	v_fma_f32 v3, -v21, v13, v3
	s_cbranch_scc1 .LBB41_55
; %bb.56:                               ;   in Loop: Header=BB41_52 Depth=1
	s_and_b32 s18, s19, 7
	s_cmp_eq_u32 s18, 0
	s_cbranch_scc0 .LBB41_58
	s_branch .LBB41_51
.LBB41_57:                              ;   in Loop: Header=BB41_52 Depth=1
	s_mov_b32 s15, 0
	s_and_b32 s18, s19, 7
	s_cmp_eq_u32 s18, 0
	s_cbranch_scc1 .LBB41_51
.LBB41_58:                              ;   in Loop: Header=BB41_52 Depth=1
	s_and_b32 s18, s14, 7
	s_lshl_b32 s20, s15, 2
	v_lshl_add_u32 v5, s15, 8, v1
.LBB41_59:                              ;   Parent Loop BB41_52 Depth=1
                                        ; =>  This Inner Loop Header: Depth=2
	s_add_i32 s15, s8, s20
	v_mov_b32_e32 v7, s15
	ds_read_b32 v6, v5
	ds_read_b32 v7, v7
	s_add_i32 s20, s20, 4
	s_add_i32 s18, s18, -1
	v_add_u32_e32 v5, 0x100, v5
	s_cmp_lg_u32 s18, 0
	s_waitcnt lgkmcnt(0)
	v_fma_f32 v3, -v6, v7, v3
	s_cbranch_scc1 .LBB41_59
	s_branch .LBB41_51
.LBB41_60:
	s_mov_b64 s[8:9], 0
.LBB41_61:
	s_and_b64 vcc, exec, s[8:9]
	s_cbranch_vccz .LBB41_89
; %bb.62:
	s_add_i32 s6, s26, -1
	s_cmp_lt_i32 s10, 32
	s_mov_b32 s14, s6
	s_cbranch_scc1 .LBB41_68
; %bb.63:
	v_lshlrev_b32_e32 v1, 2, v0
	v_lshl_or_b32 v2, s26, 8, v1
	s_mul_i32 s8, s26, 0x104
	v_add_u32_e32 v34, 0x3e00, v2
	s_addk_i32 s8, 0xfd80
	s_mov_b32 s9, s6
.LBB41_64:                              ; =>This Loop Header: Depth=1
                                        ;     Child Loop BB41_65 Depth 2
	s_lshl_b32 s14, s9, 6
	v_or_b32_e32 v2, s14, v0
	v_lshlrev_b32_e32 v35, 2, v2
	ds_read2st64_b32 v[32:33], v35 offset0:63 offset1:64
	ds_read2st64_b32 v[30:31], v35 offset0:61 offset1:62
	;; [unrolled: 1-line block ×16, first 2 shown]
	s_cmp_le_i32 s6, s9
	s_mov_b32 s15, s8
	v_mov_b32_e32 v36, v34
	s_mov_b32 s18, s6
	s_cbranch_scc1 .LBB41_66
.LBB41_65:                              ;   Parent Loop BB41_64 Depth=1
                                        ; =>  This Inner Loop Header: Depth=2
	ds_read2st64_b32 v[38:39], v36 offset1:1
	v_mov_b32_e32 v37, s15
	ds_read2_b32 v[40:41], v37 offset0:94 offset1:95
	ds_read2_b32 v[42:43], v37 offset0:92 offset1:93
	;; [unrolled: 1-line block ×31, first 2 shown]
	ds_read2_b32 v[102:103], v37 offset1:1
	s_add_i32 s18, s18, -2
	s_addk_i32 s15, 0xfe00
	s_waitcnt lgkmcnt(14)
	v_mov_b32_e32 v104, v39
	v_pk_fma_f32 v[32:33], v[104:105], v[40:41], v[32:33] op_sel_hi:[0,1,1] neg_lo:[1,0,0] neg_hi:[1,0,0]
	v_pk_fma_f32 v[30:31], v[104:105], v[42:43], v[30:31] op_sel_hi:[0,1,1] neg_lo:[1,0,0] neg_hi:[1,0,0]
	;; [unrolled: 1-line block ×16, first 2 shown]
	v_add_u32_e32 v36, 0xfffffe00, v36
	s_cmp_gt_i32 s18, s9
	v_pk_fma_f32 v[32:33], v[38:39], v[72:73], v[32:33] op_sel_hi:[0,1,1] neg_lo:[1,0,0] neg_hi:[1,0,0]
	v_pk_fma_f32 v[30:31], v[38:39], v[74:75], v[30:31] op_sel_hi:[0,1,1] neg_lo:[1,0,0] neg_hi:[1,0,0]
	s_waitcnt lgkmcnt(13)
	v_pk_fma_f32 v[28:29], v[38:39], v[76:77], v[28:29] op_sel_hi:[0,1,1] neg_lo:[1,0,0] neg_hi:[1,0,0]
	s_waitcnt lgkmcnt(12)
	;; [unrolled: 2-line block ×14, first 2 shown]
	v_pk_fma_f32 v[2:3], v[38:39], v[102:103], v[2:3] op_sel_hi:[0,1,1] neg_lo:[1,0,0] neg_hi:[1,0,0]
	s_cbranch_scc1 .LBB41_65
.LBB41_66:                              ;   in Loop: Header=BB41_64 Depth=1
	s_add_i32 s15, s9, -1
	s_add_i32 s18, s15, s14
	s_lshl_b32 s18, s18, 2
	s_lshl_b32 s19, s15, 6
	s_mul_i32 s15, s9, 0x104
	v_mov_b32_e32 v36, s18
	s_add_i32 s18, s15, 0xfffffefc
	s_add_i32 s20, s9, -3
	v_mov_b32_e32 v38, s18
	s_add_i32 s18, s20, s14
	s_lshl_b32 s18, s18, 2
	ds_read2_b32 v[36:37], v36 offset1:1
	v_mov_b32_e32 v39, s18
	s_add_i32 s18, s20, s19
	s_lshl_b32 s18, s18, 2
	v_mov_b32_e32 v40, s18
	ds_read_b32 v42, v38
	ds_read2_b32 v[38:39], v39 offset1:1
	ds_read2_b32 v[40:41], v40 offset1:1
	v_add_u32_e32 v35, 0x4000, v35
	s_waitcnt lgkmcnt(3)
	v_mul_f32_e32 v33, v37, v33
	s_add_i32 s18, s14, 0xffffff80
	ds_write_b32 v35, v33
	v_fma_f32 v32, -v33, v36, v32
	v_or_b32_e32 v35, s19, v0
	s_add_i32 s21, s20, s18
	s_waitcnt lgkmcnt(3)
	v_mul_f32_e32 v32, v42, v32
	v_lshlrev_b32_e32 v35, 2, v35
	s_lshl_b32 s21, s21, 2
	ds_write_b32 v35, v32 offset:16384
	v_mov_b32_e32 v35, s21
	s_add_i32 s21, s15, 0xfffffcf4
	s_add_i32 s23, s9, -5
	s_waitcnt lgkmcnt(3)
	v_fma_f32 v31, -v33, v39, v31
	v_mov_b32_e32 v39, s21
	s_add_i32 s21, s23, s14
	s_lshl_b32 s21, s21, 2
	ds_read2_b32 v[36:37], v35 offset1:1
	s_waitcnt lgkmcnt(3)
	v_fma_f32 v31, -v32, v41, v31
	v_mov_b32_e32 v41, s21
	s_add_i32 s21, s23, s19
	s_lshl_b32 s21, s21, 2
	v_mov_b32_e32 v35, s21
	ds_read_b32 v39, v39
	ds_read2_b32 v[42:43], v41 offset1:1
	ds_read2_b32 v[44:45], v35 offset1:1
	v_or_b32_e32 v35, s18, v0
	v_fma_f32 v30, -v33, v38, v30
	s_waitcnt lgkmcnt(3)
	v_mul_f32_e32 v31, v37, v31
	v_lshlrev_b32_e32 v35, 2, v35
	v_fma_f32 v30, -v32, v40, v30
	s_lshl_b32 s20, s20, 6
	ds_write_b32 v35, v31 offset:16384
	v_fma_f32 v30, -v31, v36, v30
	v_or_b32_e32 v35, s20, v0
	s_add_i32 s21, s23, s18
	s_waitcnt lgkmcnt(3)
	v_mul_f32_e32 v30, v39, v30
	v_lshlrev_b32_e32 v35, 2, v35
	s_lshl_b32 s21, s21, 2
	ds_write_b32 v35, v30 offset:16384
	v_mov_b32_e32 v35, s21
	s_add_i32 s21, s23, s20
	s_lshl_b32 s21, s21, 2
	v_mov_b32_e32 v38, s21
	s_add_i32 s21, s14, 0xffffff00
	s_add_i32 s24, s23, s21
	s_lshl_b32 s24, s24, 2
	v_mov_b32_e32 v40, s24
	s_add_i32 s24, s15, 0xfffffaec
	ds_read2_b32 v[36:37], v35 offset1:1
	ds_read2_b32 v[38:39], v38 offset1:1
	;; [unrolled: 1-line block ×3, first 2 shown]
	s_waitcnt lgkmcnt(6)
	v_fma_f32 v29, -v33, v43, v29
	v_mov_b32_e32 v35, s24
	s_waitcnt lgkmcnt(5)
	v_fma_f32 v29, -v32, v45, v29
	ds_read_b32 v35, v35
	v_fma_f32 v28, -v33, v42, v28
	s_waitcnt lgkmcnt(3)
	v_fma_f32 v29, -v31, v37, v29
	v_fma_f32 v28, -v32, v44, v28
	s_waitcnt lgkmcnt(2)
	v_fma_f32 v29, -v30, v39, v29
	v_fma_f32 v28, -v31, v36, v28
	s_waitcnt lgkmcnt(1)
	v_mul_f32_e32 v29, v41, v29
	v_fma_f32 v28, -v30, v38, v28
	v_fma_f32 v28, -v29, v40, v28
	s_lshl_b32 s23, s23, 6
	s_add_i32 s25, s9, -7
	s_waitcnt lgkmcnt(0)
	v_mul_f32_e32 v28, v35, v28
	v_or_b32_e32 v35, s23, v0
	s_add_i32 s24, s25, s14
	v_lshlrev_b32_e32 v35, 2, v35
	s_lshl_b32 s24, s24, 2
	ds_write_b32 v35, v28 offset:16384
	v_mov_b32_e32 v35, s24
	s_add_i32 s24, s25, s19
	s_lshl_b32 s24, s24, 2
	v_mov_b32_e32 v38, s24
	s_add_i32 s24, s25, s18
	v_or_b32_e32 v37, s21, v0
	s_lshl_b32 s24, s24, 2
	v_lshlrev_b32_e32 v37, 2, v37
	v_mov_b32_e32 v40, s24
	s_add_i32 s24, s25, s20
	ds_write_b32 v37, v29 offset:16384
	s_lshl_b32 s24, s24, 2
	ds_read2_b32 v[36:37], v35 offset1:1
	ds_read2_b32 v[38:39], v38 offset1:1
	ds_read2_b32 v[40:41], v40 offset1:1
	v_mov_b32_e32 v35, s24
	s_add_i32 s24, s25, s21
	s_lshl_b32 s24, s24, 2
	ds_read2_b32 v[42:43], v35 offset1:1
	v_mov_b32_e32 v35, s24
	s_add_i32 s24, s25, s23
	s_lshl_b32 s24, s24, 2
	s_waitcnt lgkmcnt(3)
	v_fma_f32 v27, -v33, v37, v27
	v_mov_b32_e32 v37, s24
	s_add_i32 s24, s15, 0xfffff9e8
	ds_read2_b32 v[44:45], v35 offset1:1
	ds_read2_b32 v[46:47], v37 offset1:1
	v_mov_b32_e32 v35, s24
	s_waitcnt lgkmcnt(4)
	v_fma_f32 v27, -v32, v39, v27
	ds_read_b32 v35, v35
	s_waitcnt lgkmcnt(4)
	v_fma_f32 v27, -v31, v41, v27
	s_waitcnt lgkmcnt(3)
	v_fma_f32 v27, -v30, v43, v27
	;; [unrolled: 2-line block ×4, first 2 shown]
	s_add_i32 s24, s14, 0xfffffe80
	s_waitcnt lgkmcnt(0)
	v_mul_f32_e32 v27, v35, v27
	v_or_b32_e32 v35, s24, v0
	s_add_i32 s27, s25, s24
	v_lshlrev_b32_e32 v35, 2, v35
	s_lshl_b32 s27, s27, 2
	ds_write_b32 v35, v27 offset:16384
	v_fma_f32 v26, -v33, v36, v26
	v_mov_b32_e32 v35, s27
	s_add_i32 s27, s15, 0xfffff8e4
	v_fma_f32 v26, -v32, v38, v26
	ds_read_b32 v35, v35
	v_mov_b32_e32 v36, s27
	v_fma_f32 v26, -v31, v40, v26
	ds_read_b32 v36, v36
	v_fma_f32 v26, -v30, v42, v26
	v_fma_f32 v26, -v29, v44, v26
	s_add_i32 s28, s9, -9
	v_fma_f32 v26, -v28, v46, v26
	s_add_i32 s27, s28, s14
	s_waitcnt lgkmcnt(1)
	v_fma_f32 v26, -v27, v35, v26
	s_lshl_b32 s27, s27, 2
	s_waitcnt lgkmcnt(0)
	v_mul_f32_e32 v26, v36, v26
	v_mov_b32_e32 v36, s27
	s_add_i32 s27, s28, s19
	s_lshl_b32 s27, s27, 2
	v_mov_b32_e32 v38, s27
	s_add_i32 s27, s28, s18
	s_lshl_b32 s27, s27, 2
	;; [unrolled: 3-line block ×3, first 2 shown]
	s_lshl_b32 s27, s27, 2
	v_or_b32_e32 v35, s25, v0
	v_mov_b32_e32 v42, s27
	s_add_i32 s27, s28, s21
	v_lshlrev_b32_e32 v35, 2, v35
	s_lshl_b32 s27, s27, 2
	ds_read2_b32 v[36:37], v36 offset1:1
	ds_read2_b32 v[38:39], v38 offset1:1
	;; [unrolled: 1-line block ×4, first 2 shown]
	ds_write_b32 v35, v26 offset:16384
	v_mov_b32_e32 v35, s27
	s_add_i32 s27, s28, s23
	s_lshl_b32 s27, s27, 2
	s_waitcnt lgkmcnt(4)
	v_fma_f32 v25, -v33, v37, v25
	v_mov_b32_e32 v37, s27
	s_add_i32 s27, s28, s24
	s_lshl_b32 s27, s27, 2
	s_waitcnt lgkmcnt(3)
	v_fma_f32 v25, -v32, v39, v25
	v_mov_b32_e32 v39, s27
	s_add_i32 s27, s28, s25
	ds_read2_b32 v[44:45], v35 offset1:1
	s_lshl_b32 s27, s27, 2
	v_mov_b32_e32 v35, s27
	s_add_i32 s27, s15, 0xfffff7e0
	s_waitcnt lgkmcnt(3)
	v_fma_f32 v25, -v31, v41, v25
	ds_read2_b32 v[46:47], v37 offset1:1
	ds_read2_b32 v[48:49], v39 offset1:1
	;; [unrolled: 1-line block ×3, first 2 shown]
	v_mov_b32_e32 v35, s27
	s_waitcnt lgkmcnt(5)
	v_fma_f32 v25, -v30, v43, v25
	ds_read_b32 v35, v35
	s_waitcnt lgkmcnt(4)
	v_fma_f32 v25, -v29, v45, v25
	s_waitcnt lgkmcnt(3)
	v_fma_f32 v25, -v28, v47, v25
	;; [unrolled: 2-line block ×4, first 2 shown]
	s_add_i32 s27, s14, 0xfffffe00
	s_waitcnt lgkmcnt(0)
	v_mul_f32_e32 v25, v35, v25
	v_or_b32_e32 v35, s27, v0
	v_fma_f32 v24, -v33, v36, v24
	s_add_i32 s29, s28, s27
	v_lshlrev_b32_e32 v35, 2, v35
	v_fma_f32 v24, -v32, v38, v24
	s_lshl_b32 s29, s29, 2
	ds_write_b32 v35, v25 offset:16384
	v_fma_f32 v24, -v31, v40, v24
	v_mov_b32_e32 v35, s29
	s_add_i32 s29, s15, 0xfffff6dc
	v_fma_f32 v24, -v30, v42, v24
	ds_read_b32 v35, v35
	v_mov_b32_e32 v36, s29
	v_fma_f32 v24, -v29, v44, v24
	ds_read_b32 v36, v36
	v_fma_f32 v24, -v28, v46, v24
	v_fma_f32 v24, -v27, v48, v24
	;; [unrolled: 1-line block ×3, first 2 shown]
	s_lshl_b32 s28, s28, 6
	s_add_i32 s30, s9, -11
	s_waitcnt lgkmcnt(1)
	v_fma_f32 v24, -v25, v35, v24
	v_or_b32_e32 v35, s28, v0
	s_add_i32 s29, s30, s14
	s_waitcnt lgkmcnt(0)
	v_mul_f32_e32 v24, v36, v24
	v_lshlrev_b32_e32 v35, 2, v35
	s_lshl_b32 s29, s29, 2
	ds_write_b32 v35, v24 offset:16384
	v_mov_b32_e32 v35, s29
	s_add_i32 s29, s30, s19
	s_lshl_b32 s29, s29, 2
	v_mov_b32_e32 v38, s29
	s_add_i32 s29, s30, s18
	s_lshl_b32 s29, s29, 2
	;; [unrolled: 3-line block ×3, first 2 shown]
	ds_read2_b32 v[36:37], v35 offset1:1
	ds_read2_b32 v[38:39], v38 offset1:1
	;; [unrolled: 1-line block ×3, first 2 shown]
	v_mov_b32_e32 v35, s29
	s_add_i32 s29, s30, s21
	s_lshl_b32 s29, s29, 2
	ds_read2_b32 v[42:43], v35 offset1:1
	v_mov_b32_e32 v35, s29
	s_add_i32 s29, s30, s23
	s_lshl_b32 s29, s29, 2
	s_waitcnt lgkmcnt(3)
	v_fma_f32 v23, -v33, v37, v23
	v_mov_b32_e32 v37, s29
	s_add_i32 s29, s30, s24
	s_lshl_b32 s29, s29, 2
	s_waitcnt lgkmcnt(2)
	v_fma_f32 v23, -v32, v39, v23
	v_mov_b32_e32 v39, s29
	s_add_i32 s29, s30, s25
	s_lshl_b32 s29, s29, 2
	s_waitcnt lgkmcnt(1)
	v_fma_f32 v23, -v31, v41, v23
	v_mov_b32_e32 v41, s29
	s_add_i32 s29, s30, s27
	s_lshl_b32 s29, s29, 2
	ds_read2_b32 v[44:45], v35 offset1:1
	ds_read2_b32 v[46:47], v37 offset1:1
	;; [unrolled: 1-line block ×4, first 2 shown]
	v_mov_b32_e32 v35, s29
	s_add_i32 s29, s30, s28
	s_lshl_b32 s29, s29, 2
	v_mov_b32_e32 v37, s29
	s_add_i32 s29, s14, 0xfffffd80
	s_add_i32 s31, s30, s29
	v_fma_f32 v22, -v33, v36, v22
	s_lshl_b32 s31, s31, 2
	v_fma_f32 v22, -v32, v38, v22
	s_waitcnt lgkmcnt(4)
	v_fma_f32 v23, -v30, v43, v23
	v_mov_b32_e32 v39, s31
	s_add_i32 s31, s15, 0xfffff4d4
	v_fma_f32 v22, -v31, v40, v22
	s_add_i32 s33, s9, -13
	s_waitcnt lgkmcnt(3)
	v_fma_f32 v23, -v29, v45, v23
	ds_read2_b32 v[52:53], v35 offset1:1
	ds_read2_b32 v[54:55], v37 offset1:1
	;; [unrolled: 1-line block ×3, first 2 shown]
	v_mov_b32_e32 v35, s31
	v_fma_f32 v22, -v30, v42, v22
	s_add_i32 s31, s33, s14
	s_waitcnt lgkmcnt(5)
	v_fma_f32 v23, -v28, v47, v23
	v_fma_f32 v22, -v29, v44, v22
	s_lshl_b32 s31, s31, 2
	s_waitcnt lgkmcnt(4)
	v_fma_f32 v23, -v27, v49, v23
	v_fma_f32 v22, -v28, v46, v22
	v_mov_b32_e32 v36, s31
	s_add_i32 s31, s33, s19
	s_waitcnt lgkmcnt(3)
	v_fma_f32 v23, -v26, v51, v23
	ds_read_b32 v35, v35
	v_fma_f32 v22, -v27, v48, v22
	s_lshl_b32 s31, s31, 2
	s_waitcnt lgkmcnt(3)
	v_fma_f32 v23, -v25, v53, v23
	v_fma_f32 v22, -v26, v50, v22
	v_mov_b32_e32 v38, s31
	s_add_i32 s31, s33, s18
	s_waitcnt lgkmcnt(2)
	v_fma_f32 v23, -v24, v55, v23
	v_fma_f32 v22, -v25, v52, v22
	s_lshl_b32 s31, s31, 2
	s_waitcnt lgkmcnt(1)
	v_mul_f32_e32 v23, v57, v23
	v_fma_f32 v22, -v24, v54, v22
	v_mov_b32_e32 v40, s31
	s_add_i32 s31, s33, s20
	v_or_b32_e32 v37, s29, v0
	v_fma_f32 v22, -v23, v56, v22
	s_lshl_b32 s30, s30, 6
	s_lshl_b32 s31, s31, 2
	v_lshlrev_b32_e32 v37, 2, v37
	s_waitcnt lgkmcnt(0)
	v_mul_f32_e32 v22, v35, v22
	v_or_b32_e32 v35, s30, v0
	v_mov_b32_e32 v42, s31
	s_add_i32 s31, s33, s21
	ds_write_b32 v37, v23 offset:16384
	v_lshlrev_b32_e32 v35, 2, v35
	s_lshl_b32 s31, s31, 2
	ds_read2_b32 v[36:37], v36 offset1:1
	ds_read2_b32 v[38:39], v38 offset1:1
	;; [unrolled: 1-line block ×4, first 2 shown]
	ds_write_b32 v35, v22 offset:16384
	v_mov_b32_e32 v35, s31
	s_add_i32 s31, s33, s23
	s_lshl_b32 s31, s31, 2
	s_waitcnt lgkmcnt(4)
	v_fma_f32 v21, -v33, v37, v21
	v_mov_b32_e32 v37, s31
	s_add_i32 s31, s33, s24
	s_lshl_b32 s31, s31, 2
	s_waitcnt lgkmcnt(3)
	v_fma_f32 v21, -v32, v39, v21
	v_mov_b32_e32 v39, s31
	s_add_i32 s31, s33, s25
	s_lshl_b32 s31, s31, 2
	ds_read2_b32 v[44:45], v35 offset1:1
	ds_read2_b32 v[46:47], v37 offset1:1
	;; [unrolled: 1-line block ×3, first 2 shown]
	v_mov_b32_e32 v35, s31
	s_add_i32 s31, s33, s27
	s_lshl_b32 s31, s31, 2
	ds_read2_b32 v[50:51], v35 offset1:1
	v_mov_b32_e32 v35, s31
	s_add_i32 s31, s33, s28
	s_lshl_b32 s31, s31, 2
	v_mov_b32_e32 v37, s31
	s_add_i32 s31, s33, s29
	s_lshl_b32 s31, s31, 2
	;; [unrolled: 3-line block ×3, first 2 shown]
	v_fma_f32 v20, -v33, v36, v20
	s_waitcnt lgkmcnt(6)
	v_fma_f32 v21, -v31, v41, v21
	v_mov_b32_e32 v41, s31
	s_add_i32 s31, s14, 0xfffffd00
	v_fma_f32 v20, -v32, v38, v20
	s_waitcnt lgkmcnt(5)
	v_fma_f32 v21, -v30, v43, v21
	s_add_i32 s34, s33, s31
	v_fma_f32 v20, -v31, v40, v20
	s_waitcnt lgkmcnt(3)
	v_fma_f32 v21, -v29, v45, v21
	s_lshl_b32 s34, s34, 2
	v_fma_f32 v20, -v30, v42, v20
	s_waitcnt lgkmcnt(2)
	v_fma_f32 v21, -v28, v47, v21
	ds_read2_b32 v[52:53], v35 offset1:1
	ds_read2_b32 v[54:55], v37 offset1:1
	ds_read2_b32 v[56:57], v39 offset1:1
	ds_read2_b32 v[58:59], v41 offset1:1
	v_mov_b32_e32 v35, s34
	s_add_i32 s34, s15, 0xfffff2cc
	s_add_i32 s35, s9, -15
	v_fma_f32 v20, -v29, v44, v20
	s_waitcnt lgkmcnt(5)
	v_fma_f32 v21, -v27, v49, v21
	v_mov_b32_e32 v37, s34
	s_add_i32 s34, s35, s14
	v_fma_f32 v20, -v28, v46, v20
	s_waitcnt lgkmcnt(4)
	v_fma_f32 v21, -v26, v51, v21
	s_lshl_b32 s34, s34, 2
	ds_read2_b32 v[60:61], v35 offset1:1
	v_fma_f32 v20, -v27, v48, v20
	s_waitcnt lgkmcnt(4)
	v_fma_f32 v21, -v25, v53, v21
	v_mov_b32_e32 v39, s34
	s_add_i32 s34, s35, s19
	v_fma_f32 v20, -v26, v50, v20
	s_waitcnt lgkmcnt(3)
	v_fma_f32 v21, -v24, v55, v21
	s_lshl_b32 s34, s34, 2
	v_fma_f32 v20, -v25, v52, v20
	s_waitcnt lgkmcnt(2)
	v_fma_f32 v21, -v23, v57, v21
	v_mov_b32_e32 v35, s34
	v_fma_f32 v20, -v24, v54, v20
	s_waitcnt lgkmcnt(1)
	v_fma_f32 v21, -v22, v59, v21
	ds_read_b32 v37, v37
	ds_read2_b32 v[62:63], v39 offset1:1
	ds_read2_b32 v[64:65], v35 offset1:1
	v_or_b32_e32 v35, s31, v0
	v_fma_f32 v20, -v23, v56, v20
	s_waitcnt lgkmcnt(3)
	v_mul_f32_e32 v21, v61, v21
	v_lshlrev_b32_e32 v35, 2, v35
	v_fma_f32 v20, -v22, v58, v20
	s_lshl_b32 s33, s33, 6
	ds_write_b32 v35, v21 offset:16384
	v_fma_f32 v20, -v21, v60, v20
	v_or_b32_e32 v35, s33, v0
	s_add_i32 s34, s35, s18
	s_waitcnt lgkmcnt(3)
	v_mul_f32_e32 v20, v37, v20
	v_lshlrev_b32_e32 v35, 2, v35
	s_lshl_b32 s34, s34, 2
	ds_write_b32 v35, v20 offset:16384
	v_mov_b32_e32 v35, s34
	s_add_i32 s34, s35, s20
	s_lshl_b32 s34, s34, 2
	v_mov_b32_e32 v38, s34
	s_add_i32 s34, s35, s21
	s_lshl_b32 s34, s34, 2
	;; [unrolled: 3-line block ×4, first 2 shown]
	s_waitcnt lgkmcnt(3)
	v_fma_f32 v19, -v33, v63, v19
	ds_read2_b32 v[36:37], v35 offset1:1
	ds_read2_b32 v[38:39], v38 offset1:1
	;; [unrolled: 1-line block ×4, first 2 shown]
	v_mov_b32_e32 v35, s34
	s_add_i32 s34, s35, s25
	s_waitcnt lgkmcnt(6)
	v_fma_f32 v19, -v32, v65, v19
	s_lshl_b32 s34, s34, 2
	s_waitcnt lgkmcnt(3)
	v_fma_f32 v19, -v31, v37, v19
	v_mov_b32_e32 v37, s34
	s_add_i32 s34, s35, s27
	s_lshl_b32 s34, s34, 2
	s_waitcnt lgkmcnt(2)
	v_fma_f32 v19, -v30, v39, v19
	v_mov_b32_e32 v39, s34
	s_add_i32 s34, s35, s28
	s_lshl_b32 s34, s34, 2
	ds_read2_b32 v[44:45], v35 offset1:1
	ds_read2_b32 v[46:47], v37 offset1:1
	ds_read2_b32 v[48:49], v39 offset1:1
	v_mov_b32_e32 v35, s34
	s_add_i32 s34, s35, s29
	s_lshl_b32 s34, s34, 2
	ds_read2_b32 v[50:51], v35 offset1:1
	v_mov_b32_e32 v35, s34
	s_add_i32 s34, s35, s30
	s_lshl_b32 s34, s34, 2
	v_mov_b32_e32 v37, s34
	s_add_i32 s34, s35, s31
	s_lshl_b32 s34, s34, 2
	v_fma_f32 v18, -v33, v62, v18
	v_mov_b32_e32 v39, s34
	s_add_i32 s34, s35, s33
	v_fma_f32 v18, -v32, v64, v18
	s_lshl_b32 s34, s34, 2
	v_fma_f32 v18, -v31, v36, v18
	s_waitcnt lgkmcnt(5)
	v_fma_f32 v19, -v29, v41, v19
	v_mov_b32_e32 v41, s34
	s_add_i32 s34, s14, 0xfffffc80
	v_fma_f32 v18, -v30, v38, v18
	s_waitcnt lgkmcnt(4)
	v_fma_f32 v19, -v28, v43, v19
	s_add_i32 s36, s35, s34
	v_fma_f32 v18, -v29, v40, v18
	s_waitcnt lgkmcnt(3)
	v_fma_f32 v19, -v27, v45, v19
	s_lshl_b32 s36, s36, 2
	v_fma_f32 v18, -v28, v42, v18
	s_waitcnt lgkmcnt(2)
	v_fma_f32 v19, -v26, v47, v19
	ds_read2_b32 v[52:53], v35 offset1:1
	ds_read2_b32 v[54:55], v37 offset1:1
	;; [unrolled: 1-line block ×4, first 2 shown]
	v_mov_b32_e32 v35, s36
	s_add_i32 s36, s15, 0xfffff0c4
	s_sub_i32 s37, s9, 17
	v_fma_f32 v18, -v27, v44, v18
	s_waitcnt lgkmcnt(5)
	v_fma_f32 v19, -v25, v49, v19
	v_mov_b32_e32 v37, s36
	s_add_i32 s36, s37, s14
	v_fma_f32 v18, -v26, v46, v18
	s_waitcnt lgkmcnt(4)
	v_fma_f32 v19, -v24, v51, v19
	s_lshl_b32 s36, s36, 2
	ds_read2_b32 v[60:61], v35 offset1:1
	v_fma_f32 v18, -v25, v48, v18
	s_waitcnt lgkmcnt(4)
	v_fma_f32 v19, -v23, v53, v19
	v_mov_b32_e32 v39, s36
	s_add_i32 s36, s37, s19
	v_fma_f32 v18, -v24, v50, v18
	s_waitcnt lgkmcnt(3)
	v_fma_f32 v19, -v22, v55, v19
	s_lshl_b32 s36, s36, 2
	v_fma_f32 v18, -v23, v52, v18
	s_waitcnt lgkmcnt(2)
	v_fma_f32 v19, -v21, v57, v19
	v_mov_b32_e32 v35, s36
	v_fma_f32 v18, -v22, v54, v18
	s_waitcnt lgkmcnt(1)
	v_fma_f32 v19, -v20, v59, v19
	ds_read_b32 v37, v37
	ds_read2_b32 v[66:67], v39 offset1:1
	ds_read2_b32 v[68:69], v35 offset1:1
	v_or_b32_e32 v35, s34, v0
	v_fma_f32 v18, -v21, v56, v18
	s_waitcnt lgkmcnt(3)
	v_mul_f32_e32 v19, v61, v19
	v_lshlrev_b32_e32 v35, 2, v35
	v_fma_f32 v18, -v20, v58, v18
	s_lshl_b32 s35, s35, 6
	ds_write_b32 v35, v19 offset:16384
	v_fma_f32 v18, -v19, v60, v18
	v_or_b32_e32 v35, s35, v0
	s_add_i32 s36, s37, s18
	s_waitcnt lgkmcnt(3)
	v_mul_f32_e32 v18, v37, v18
	v_lshlrev_b32_e32 v35, 2, v35
	s_lshl_b32 s36, s36, 2
	ds_write_b32 v35, v18 offset:16384
	v_mov_b32_e32 v35, s36
	s_add_i32 s36, s37, s20
	s_lshl_b32 s36, s36, 2
	v_mov_b32_e32 v38, s36
	s_add_i32 s36, s37, s21
	s_lshl_b32 s36, s36, 2
	;; [unrolled: 3-line block ×4, first 2 shown]
	s_waitcnt lgkmcnt(3)
	v_fma_f32 v17, -v33, v67, v17
	ds_read2_b32 v[36:37], v35 offset1:1
	ds_read2_b32 v[38:39], v38 offset1:1
	;; [unrolled: 1-line block ×4, first 2 shown]
	v_mov_b32_e32 v35, s36
	s_add_i32 s36, s37, s25
	s_waitcnt lgkmcnt(6)
	v_fma_f32 v17, -v32, v69, v17
	s_lshl_b32 s36, s36, 2
	s_waitcnt lgkmcnt(3)
	v_fma_f32 v17, -v31, v37, v17
	v_mov_b32_e32 v37, s36
	s_add_i32 s36, s37, s27
	s_lshl_b32 s36, s36, 2
	s_waitcnt lgkmcnt(2)
	v_fma_f32 v17, -v30, v39, v17
	v_mov_b32_e32 v39, s36
	s_add_i32 s36, s37, s28
	s_lshl_b32 s36, s36, 2
	ds_read2_b32 v[44:45], v35 offset1:1
	ds_read2_b32 v[46:47], v37 offset1:1
	;; [unrolled: 1-line block ×3, first 2 shown]
	v_mov_b32_e32 v35, s36
	s_add_i32 s36, s37, s29
	s_lshl_b32 s36, s36, 2
	ds_read2_b32 v[50:51], v35 offset1:1
	v_mov_b32_e32 v35, s36
	s_add_i32 s36, s37, s30
	s_lshl_b32 s36, s36, 2
	v_mov_b32_e32 v37, s36
	s_add_i32 s36, s37, s31
	s_lshl_b32 s36, s36, 2
	v_fma_f32 v16, -v33, v66, v16
	v_mov_b32_e32 v39, s36
	s_add_i32 s36, s37, s33
	v_fma_f32 v16, -v32, v68, v16
	s_lshl_b32 s36, s36, 2
	v_fma_f32 v16, -v31, v36, v16
	s_waitcnt lgkmcnt(5)
	v_fma_f32 v17, -v29, v41, v17
	v_mov_b32_e32 v41, s36
	s_add_i32 s36, s37, s34
	v_fma_f32 v16, -v30, v38, v16
	s_waitcnt lgkmcnt(4)
	v_fma_f32 v17, -v28, v43, v17
	s_lshl_b32 s36, s36, 2
	v_fma_f32 v16, -v29, v40, v16
	s_waitcnt lgkmcnt(3)
	v_fma_f32 v17, -v27, v45, v17
	ds_read2_b32 v[52:53], v35 offset1:1
	ds_read2_b32 v[54:55], v37 offset1:1
	;; [unrolled: 1-line block ×4, first 2 shown]
	v_mov_b32_e32 v35, s36
	s_add_i32 s36, s37, s35
	v_fma_f32 v16, -v28, v42, v16
	s_waitcnt lgkmcnt(6)
	v_fma_f32 v17, -v26, v47, v17
	s_lshl_b32 s36, s36, 2
	v_fma_f32 v16, -v27, v44, v16
	s_waitcnt lgkmcnt(5)
	v_fma_f32 v17, -v25, v49, v17
	v_mov_b32_e32 v37, s36
	s_add_i32 s36, s14, 0xfffffc00
	v_fma_f32 v16, -v26, v46, v16
	s_waitcnt lgkmcnt(4)
	v_fma_f32 v17, -v24, v51, v17
	s_add_i32 s38, s37, s36
	v_fma_f32 v16, -v25, v48, v16
	s_waitcnt lgkmcnt(3)
	v_fma_f32 v17, -v23, v53, v17
	s_lshl_b32 s38, s38, 2
	v_fma_f32 v16, -v24, v50, v16
	s_waitcnt lgkmcnt(2)
	v_fma_f32 v17, -v22, v55, v17
	v_mov_b32_e32 v39, s38
	s_add_i32 s38, s15, 0xffffeebc
	ds_read2_b32 v[60:61], v35 offset1:1
	ds_read2_b32 v[62:63], v37 offset1:1
	;; [unrolled: 1-line block ×3, first 2 shown]
	v_fma_f32 v16, -v23, v52, v16
	s_waitcnt lgkmcnt(4)
	v_fma_f32 v17, -v21, v57, v17
	v_mov_b32_e32 v35, s38
	v_fma_f32 v16, -v22, v54, v16
	s_waitcnt lgkmcnt(3)
	v_fma_f32 v17, -v20, v59, v17
	ds_read_b32 v35, v35
	v_fma_f32 v16, -v21, v56, v16
	s_waitcnt lgkmcnt(3)
	v_fma_f32 v17, -v19, v61, v17
	v_fma_f32 v16, -v20, v58, v16
	s_waitcnt lgkmcnt(2)
	v_fma_f32 v17, -v18, v63, v17
	v_fma_f32 v16, -v19, v60, v16
	s_waitcnt lgkmcnt(1)
	v_mul_f32_e32 v17, v65, v17
	v_fma_f32 v16, -v18, v62, v16
	v_fma_f32 v16, -v17, v64, v16
	s_lshl_b32 s37, s37, 6
	s_sub_i32 s39, s9, 19
	s_waitcnt lgkmcnt(0)
	v_mul_f32_e32 v16, v35, v16
	v_or_b32_e32 v35, s37, v0
	s_add_i32 s38, s39, s14
	v_lshlrev_b32_e32 v35, 2, v35
	s_lshl_b32 s38, s38, 2
	ds_write_b32 v35, v16 offset:16384
	v_mov_b32_e32 v35, s38
	s_add_i32 s38, s39, s19
	s_lshl_b32 s38, s38, 2
	v_mov_b32_e32 v38, s38
	s_add_i32 s38, s39, s18
	v_or_b32_e32 v37, s36, v0
	s_lshl_b32 s38, s38, 2
	v_lshlrev_b32_e32 v37, 2, v37
	v_mov_b32_e32 v40, s38
	s_add_i32 s38, s39, s20
	ds_write_b32 v37, v17 offset:16384
	s_lshl_b32 s38, s38, 2
	ds_read2_b32 v[36:37], v35 offset1:1
	ds_read2_b32 v[38:39], v38 offset1:1
	ds_read2_b32 v[40:41], v40 offset1:1
	v_mov_b32_e32 v35, s38
	s_add_i32 s38, s39, s21
	s_lshl_b32 s38, s38, 2
	ds_read2_b32 v[42:43], v35 offset1:1
	v_mov_b32_e32 v35, s38
	s_add_i32 s38, s39, s23
	s_lshl_b32 s38, s38, 2
	s_waitcnt lgkmcnt(3)
	v_fma_f32 v15, -v33, v37, v15
	v_mov_b32_e32 v37, s38
	s_add_i32 s38, s39, s24
	s_lshl_b32 s38, s38, 2
	s_waitcnt lgkmcnt(2)
	v_fma_f32 v15, -v32, v39, v15
	;; [unrolled: 5-line block ×3, first 2 shown]
	v_mov_b32_e32 v41, s38
	s_add_i32 s38, s39, s27
	s_lshl_b32 s38, s38, 2
	ds_read2_b32 v[44:45], v35 offset1:1
	ds_read2_b32 v[46:47], v37 offset1:1
	;; [unrolled: 1-line block ×4, first 2 shown]
	v_mov_b32_e32 v35, s38
	s_add_i32 s38, s39, s28
	s_lshl_b32 s38, s38, 2
	v_mov_b32_e32 v37, s38
	s_add_i32 s38, s39, s29
	s_lshl_b32 s38, s38, 2
	;; [unrolled: 3-line block ×3, first 2 shown]
	ds_read2_b32 v[52:53], v35 offset1:1
	ds_read2_b32 v[54:55], v37 offset1:1
	;; [unrolled: 1-line block ×3, first 2 shown]
	v_mov_b32_e32 v35, s38
	s_add_i32 s38, s39, s31
	s_lshl_b32 s38, s38, 2
	ds_read2_b32 v[58:59], v35 offset1:1
	v_mov_b32_e32 v35, s38
	s_add_i32 s38, s39, s33
	s_lshl_b32 s38, s38, 2
	v_mov_b32_e32 v37, s38
	s_add_i32 s38, s39, s34
	s_lshl_b32 s38, s38, 2
	v_fma_f32 v14, -v33, v36, v14
	v_mov_b32_e32 v39, s38
	s_add_i32 s38, s39, s35
	v_fma_f32 v14, -v32, v38, v14
	s_waitcnt lgkmcnt(8)
	v_fma_f32 v15, -v30, v43, v15
	s_lshl_b32 s38, s38, 2
	v_fma_f32 v14, -v31, v40, v14
	s_waitcnt lgkmcnt(7)
	v_fma_f32 v15, -v29, v45, v15
	v_mov_b32_e32 v41, s38
	s_add_i32 s38, s39, s36
	v_fma_f32 v14, -v30, v42, v14
	s_waitcnt lgkmcnt(6)
	v_fma_f32 v15, -v28, v47, v15
	s_lshl_b32 s38, s38, 2
	v_fma_f32 v14, -v29, v44, v14
	s_waitcnt lgkmcnt(5)
	v_fma_f32 v15, -v27, v49, v15
	ds_read2_b32 v[60:61], v35 offset1:1
	ds_read2_b32 v[62:63], v37 offset1:1
	ds_read2_b32 v[64:65], v39 offset1:1
	ds_read2_b32 v[66:67], v41 offset1:1
	v_mov_b32_e32 v35, s38
	s_add_i32 s38, s39, s37
	v_fma_f32 v14, -v28, v46, v14
	s_waitcnt lgkmcnt(8)
	v_fma_f32 v15, -v26, v51, v15
	s_lshl_b32 s38, s38, 2
	v_fma_f32 v14, -v27, v48, v14
	s_waitcnt lgkmcnt(7)
	v_fma_f32 v15, -v25, v53, v15
	v_mov_b32_e32 v37, s38
	s_add_i32 s38, s14, 0xfffffb80
	v_fma_f32 v14, -v26, v50, v14
	s_waitcnt lgkmcnt(6)
	v_fma_f32 v15, -v24, v55, v15
	s_add_i32 s40, s39, s38
	v_fma_f32 v14, -v25, v52, v14
	s_waitcnt lgkmcnt(5)
	v_fma_f32 v15, -v23, v57, v15
	s_lshl_b32 s40, s40, 2
	v_fma_f32 v14, -v24, v54, v14
	s_waitcnt lgkmcnt(4)
	v_fma_f32 v15, -v22, v59, v15
	v_mov_b32_e32 v39, s40
	s_add_i32 s40, s15, 0xffffecb4
	v_fma_f32 v14, -v23, v56, v14
	s_sub_i32 s41, s9, 21
	s_waitcnt lgkmcnt(3)
	v_fma_f32 v15, -v21, v61, v15
	ds_read2_b32 v[68:69], v35 offset1:1
	ds_read2_b32 v[70:71], v37 offset1:1
	;; [unrolled: 1-line block ×3, first 2 shown]
	v_mov_b32_e32 v35, s40
	v_fma_f32 v14, -v22, v58, v14
	s_add_i32 s40, s41, s14
	s_waitcnt lgkmcnt(5)
	v_fma_f32 v15, -v20, v63, v15
	v_fma_f32 v14, -v21, v60, v14
	s_lshl_b32 s40, s40, 2
	s_waitcnt lgkmcnt(4)
	v_fma_f32 v15, -v19, v65, v15
	v_fma_f32 v14, -v20, v62, v14
	v_mov_b32_e32 v36, s40
	s_add_i32 s40, s41, s19
	s_waitcnt lgkmcnt(3)
	v_fma_f32 v15, -v18, v67, v15
	ds_read_b32 v35, v35
	v_fma_f32 v14, -v19, v64, v14
	s_lshl_b32 s40, s40, 2
	s_waitcnt lgkmcnt(3)
	v_fma_f32 v15, -v17, v69, v15
	v_fma_f32 v14, -v18, v66, v14
	v_mov_b32_e32 v38, s40
	s_add_i32 s40, s41, s18
	s_waitcnt lgkmcnt(2)
	v_fma_f32 v15, -v16, v71, v15
	v_fma_f32 v14, -v17, v68, v14
	s_lshl_b32 s40, s40, 2
	s_waitcnt lgkmcnt(1)
	v_mul_f32_e32 v15, v73, v15
	v_fma_f32 v14, -v16, v70, v14
	v_mov_b32_e32 v40, s40
	s_add_i32 s40, s41, s20
	v_or_b32_e32 v37, s38, v0
	v_fma_f32 v14, -v15, v72, v14
	s_lshl_b32 s39, s39, 6
	s_lshl_b32 s40, s40, 2
	v_lshlrev_b32_e32 v37, 2, v37
	s_waitcnt lgkmcnt(0)
	v_mul_f32_e32 v14, v35, v14
	v_or_b32_e32 v35, s39, v0
	v_mov_b32_e32 v42, s40
	s_add_i32 s40, s41, s21
	ds_write_b32 v37, v15 offset:16384
	v_lshlrev_b32_e32 v35, 2, v35
	s_lshl_b32 s40, s40, 2
	ds_read2_b32 v[36:37], v36 offset1:1
	ds_read2_b32 v[38:39], v38 offset1:1
	;; [unrolled: 1-line block ×4, first 2 shown]
	ds_write_b32 v35, v14 offset:16384
	v_mov_b32_e32 v35, s40
	s_add_i32 s40, s41, s23
	s_lshl_b32 s40, s40, 2
	s_waitcnt lgkmcnt(4)
	v_fma_f32 v13, -v33, v37, v13
	v_mov_b32_e32 v37, s40
	s_add_i32 s40, s41, s24
	s_lshl_b32 s40, s40, 2
	s_waitcnt lgkmcnt(3)
	v_fma_f32 v13, -v32, v39, v13
	v_mov_b32_e32 v39, s40
	s_add_i32 s40, s41, s25
	s_lshl_b32 s40, s40, 2
	ds_read2_b32 v[44:45], v35 offset1:1
	ds_read2_b32 v[46:47], v37 offset1:1
	ds_read2_b32 v[48:49], v39 offset1:1
	v_mov_b32_e32 v35, s40
	s_add_i32 s40, s41, s27
	s_lshl_b32 s40, s40, 2
	ds_read2_b32 v[50:51], v35 offset1:1
	v_mov_b32_e32 v35, s40
	s_add_i32 s40, s41, s28
	s_lshl_b32 s40, s40, 2
	v_mov_b32_e32 v37, s40
	s_add_i32 s40, s41, s29
	s_lshl_b32 s40, s40, 2
	;; [unrolled: 3-line block ×3, first 2 shown]
	s_waitcnt lgkmcnt(6)
	v_fma_f32 v13, -v31, v41, v13
	v_mov_b32_e32 v41, s40
	s_add_i32 s40, s41, s31
	s_lshl_b32 s40, s40, 2
	ds_read2_b32 v[52:53], v35 offset1:1
	ds_read2_b32 v[54:55], v37 offset1:1
	;; [unrolled: 1-line block ×4, first 2 shown]
	v_mov_b32_e32 v35, s40
	s_add_i32 s40, s41, s33
	s_lshl_b32 s40, s40, 2
	v_mov_b32_e32 v37, s40
	s_add_i32 s40, s41, s34
	s_lshl_b32 s40, s40, 2
	;; [unrolled: 3-line block ×3, first 2 shown]
	v_fma_f32 v12, -v33, v36, v12
	ds_read2_b32 v[60:61], v35 offset1:1
	ds_read2_b32 v[62:63], v37 offset1:1
	;; [unrolled: 1-line block ×3, first 2 shown]
	v_mov_b32_e32 v35, s40
	s_add_i32 s40, s41, s36
	v_fma_f32 v12, -v32, v38, v12
	s_waitcnt lgkmcnt(12)
	v_fma_f32 v13, -v30, v43, v13
	s_lshl_b32 s40, s40, 2
	v_fma_f32 v12, -v31, v40, v12
	s_waitcnt lgkmcnt(10)
	v_fma_f32 v13, -v29, v45, v13
	ds_read2_b32 v[66:67], v35 offset1:1
	v_mov_b32_e32 v35, s40
	s_add_i32 s40, s41, s37
	v_fma_f32 v12, -v30, v42, v12
	s_waitcnt lgkmcnt(10)
	v_fma_f32 v13, -v28, v47, v13
	s_lshl_b32 s40, s40, 2
	v_fma_f32 v12, -v29, v44, v12
	s_waitcnt lgkmcnt(9)
	v_fma_f32 v13, -v27, v49, v13
	v_mov_b32_e32 v37, s40
	s_add_i32 s40, s41, s38
	v_fma_f32 v12, -v28, v46, v12
	s_waitcnt lgkmcnt(8)
	v_fma_f32 v13, -v26, v51, v13
	s_lshl_b32 s40, s40, 2
	v_fma_f32 v12, -v27, v48, v12
	s_waitcnt lgkmcnt(7)
	v_fma_f32 v13, -v25, v53, v13
	;; [unrolled: 9-line block ×3, first 2 shown]
	v_mov_b32_e32 v41, s40
	s_add_i32 s40, s14, 0xfffffb00
	v_fma_f32 v12, -v24, v54, v12
	s_waitcnt lgkmcnt(4)
	v_fma_f32 v13, -v22, v59, v13
	s_add_i32 s42, s41, s40
	v_fma_f32 v12, -v23, v56, v12
	s_waitcnt lgkmcnt(3)
	v_fma_f32 v13, -v21, v61, v13
	s_lshl_b32 s42, s42, 2
	v_fma_f32 v12, -v22, v58, v12
	s_waitcnt lgkmcnt(2)
	v_fma_f32 v13, -v20, v63, v13
	ds_read2_b32 v[68:69], v35 offset1:1
	ds_read2_b32 v[70:71], v37 offset1:1
	;; [unrolled: 1-line block ×4, first 2 shown]
	v_mov_b32_e32 v35, s42
	s_add_i32 s42, s15, 0xffffeaac
	s_sub_i32 s43, s9, 23
	v_fma_f32 v12, -v21, v60, v12
	s_waitcnt lgkmcnt(5)
	v_fma_f32 v13, -v19, v65, v13
	v_mov_b32_e32 v37, s42
	s_add_i32 s42, s43, s14
	v_fma_f32 v12, -v20, v62, v12
	s_waitcnt lgkmcnt(4)
	v_fma_f32 v13, -v18, v67, v13
	s_lshl_b32 s42, s42, 2
	ds_read2_b32 v[76:77], v35 offset1:1
	v_fma_f32 v12, -v19, v64, v12
	s_waitcnt lgkmcnt(4)
	v_fma_f32 v13, -v17, v69, v13
	v_mov_b32_e32 v39, s42
	s_add_i32 s42, s43, s19
	v_fma_f32 v12, -v18, v66, v12
	s_waitcnt lgkmcnt(3)
	v_fma_f32 v13, -v16, v71, v13
	s_lshl_b32 s42, s42, 2
	v_fma_f32 v12, -v17, v68, v12
	s_waitcnt lgkmcnt(2)
	v_fma_f32 v13, -v15, v73, v13
	v_mov_b32_e32 v35, s42
	v_fma_f32 v12, -v16, v70, v12
	s_waitcnt lgkmcnt(1)
	v_fma_f32 v13, -v14, v75, v13
	ds_read_b32 v37, v37
	ds_read2_b32 v[78:79], v39 offset1:1
	ds_read2_b32 v[80:81], v35 offset1:1
	v_or_b32_e32 v35, s40, v0
	v_fma_f32 v12, -v15, v72, v12
	s_waitcnt lgkmcnt(3)
	v_mul_f32_e32 v13, v77, v13
	v_lshlrev_b32_e32 v35, 2, v35
	v_fma_f32 v12, -v14, v74, v12
	s_lshl_b32 s41, s41, 6
	ds_write_b32 v35, v13 offset:16384
	v_fma_f32 v12, -v13, v76, v12
	v_or_b32_e32 v35, s41, v0
	s_add_i32 s42, s43, s18
	s_waitcnt lgkmcnt(3)
	v_mul_f32_e32 v12, v37, v12
	v_lshlrev_b32_e32 v35, 2, v35
	s_lshl_b32 s42, s42, 2
	ds_write_b32 v35, v12 offset:16384
	v_mov_b32_e32 v35, s42
	s_add_i32 s42, s43, s20
	s_lshl_b32 s42, s42, 2
	v_mov_b32_e32 v38, s42
	s_add_i32 s42, s43, s21
	s_lshl_b32 s42, s42, 2
	;; [unrolled: 3-line block ×4, first 2 shown]
	s_waitcnt lgkmcnt(3)
	v_fma_f32 v11, -v33, v79, v11
	ds_read2_b32 v[36:37], v35 offset1:1
	ds_read2_b32 v[38:39], v38 offset1:1
	;; [unrolled: 1-line block ×4, first 2 shown]
	v_mov_b32_e32 v35, s42
	s_add_i32 s42, s43, s25
	s_waitcnt lgkmcnt(6)
	v_fma_f32 v11, -v32, v81, v11
	s_lshl_b32 s42, s42, 2
	s_waitcnt lgkmcnt(3)
	v_fma_f32 v11, -v31, v37, v11
	v_mov_b32_e32 v37, s42
	s_add_i32 s42, s43, s27
	s_lshl_b32 s42, s42, 2
	s_waitcnt lgkmcnt(2)
	v_fma_f32 v11, -v30, v39, v11
	v_mov_b32_e32 v39, s42
	s_add_i32 s42, s43, s28
	s_lshl_b32 s42, s42, 2
	ds_read2_b32 v[44:45], v35 offset1:1
	ds_read2_b32 v[46:47], v37 offset1:1
	;; [unrolled: 1-line block ×3, first 2 shown]
	v_mov_b32_e32 v35, s42
	s_add_i32 s42, s43, s29
	s_lshl_b32 s42, s42, 2
	ds_read2_b32 v[50:51], v35 offset1:1
	v_mov_b32_e32 v35, s42
	s_add_i32 s42, s43, s30
	s_lshl_b32 s42, s42, 2
	v_mov_b32_e32 v37, s42
	s_add_i32 s42, s43, s31
	s_lshl_b32 s42, s42, 2
	;; [unrolled: 3-line block ×3, first 2 shown]
	s_waitcnt lgkmcnt(5)
	v_fma_f32 v11, -v29, v41, v11
	v_mov_b32_e32 v41, s42
	s_add_i32 s42, s43, s34
	s_lshl_b32 s42, s42, 2
	ds_read2_b32 v[52:53], v35 offset1:1
	ds_read2_b32 v[54:55], v37 offset1:1
	;; [unrolled: 1-line block ×4, first 2 shown]
	v_mov_b32_e32 v35, s42
	s_add_i32 s42, s43, s35
	s_lshl_b32 s42, s42, 2
	v_mov_b32_e32 v37, s42
	s_add_i32 s42, s43, s36
	s_lshl_b32 s42, s42, 2
	v_fma_f32 v10, -v33, v78, v10
	v_mov_b32_e32 v39, s42
	s_add_i32 s42, s43, s37
	v_fma_f32 v10, -v32, v80, v10
	s_lshl_b32 s42, s42, 2
	v_fma_f32 v10, -v31, v36, v10
	ds_read2_b32 v[60:61], v35 offset1:1
	ds_read2_b32 v[62:63], v37 offset1:1
	;; [unrolled: 1-line block ×3, first 2 shown]
	v_mov_b32_e32 v35, s42
	s_add_i32 s42, s43, s38
	v_fma_f32 v10, -v30, v38, v10
	s_waitcnt lgkmcnt(11)
	v_fma_f32 v11, -v28, v43, v11
	s_lshl_b32 s42, s42, 2
	v_fma_f32 v10, -v29, v40, v10
	s_waitcnt lgkmcnt(10)
	v_fma_f32 v11, -v27, v45, v11
	ds_read2_b32 v[66:67], v35 offset1:1
	v_mov_b32_e32 v35, s42
	s_add_i32 s42, s43, s39
	v_fma_f32 v10, -v28, v42, v10
	s_waitcnt lgkmcnt(10)
	v_fma_f32 v11, -v26, v47, v11
	s_lshl_b32 s42, s42, 2
	v_fma_f32 v10, -v27, v44, v10
	s_waitcnt lgkmcnt(9)
	v_fma_f32 v11, -v25, v49, v11
	v_mov_b32_e32 v37, s42
	s_add_i32 s42, s43, s40
	v_fma_f32 v10, -v26, v46, v10
	s_waitcnt lgkmcnt(8)
	v_fma_f32 v11, -v24, v51, v11
	s_lshl_b32 s42, s42, 2
	v_fma_f32 v10, -v25, v48, v10
	s_waitcnt lgkmcnt(7)
	v_fma_f32 v11, -v23, v53, v11
	;; [unrolled: 9-line block ×3, first 2 shown]
	v_mov_b32_e32 v41, s42
	s_add_i32 s42, s14, 0xfffffa80
	v_fma_f32 v10, -v22, v54, v10
	s_waitcnt lgkmcnt(4)
	v_fma_f32 v11, -v20, v59, v11
	s_add_i32 s44, s43, s42
	v_fma_f32 v10, -v21, v56, v10
	s_waitcnt lgkmcnt(3)
	v_fma_f32 v11, -v19, v61, v11
	s_lshl_b32 s44, s44, 2
	v_fma_f32 v10, -v20, v58, v10
	s_waitcnt lgkmcnt(2)
	v_fma_f32 v11, -v18, v63, v11
	ds_read2_b32 v[68:69], v35 offset1:1
	ds_read2_b32 v[70:71], v37 offset1:1
	;; [unrolled: 1-line block ×4, first 2 shown]
	v_mov_b32_e32 v35, s44
	s_add_i32 s44, s15, 0xffffe8a4
	s_sub_i32 s45, s9, 25
	v_fma_f32 v10, -v19, v60, v10
	s_waitcnt lgkmcnt(5)
	v_fma_f32 v11, -v17, v65, v11
	v_mov_b32_e32 v37, s44
	s_add_i32 s44, s45, s14
	v_fma_f32 v10, -v18, v62, v10
	s_waitcnt lgkmcnt(4)
	v_fma_f32 v11, -v16, v67, v11
	s_lshl_b32 s44, s44, 2
	ds_read2_b32 v[76:77], v35 offset1:1
	v_fma_f32 v10, -v17, v64, v10
	s_waitcnt lgkmcnt(4)
	v_fma_f32 v11, -v15, v69, v11
	v_mov_b32_e32 v39, s44
	s_add_i32 s44, s45, s19
	v_fma_f32 v10, -v16, v66, v10
	s_waitcnt lgkmcnt(3)
	v_fma_f32 v11, -v14, v71, v11
	s_lshl_b32 s44, s44, 2
	v_fma_f32 v10, -v15, v68, v10
	s_waitcnt lgkmcnt(2)
	v_fma_f32 v11, -v13, v73, v11
	v_mov_b32_e32 v35, s44
	v_fma_f32 v10, -v14, v70, v10
	s_waitcnt lgkmcnt(1)
	v_fma_f32 v11, -v12, v75, v11
	ds_read_b32 v37, v37
	ds_read2_b32 v[82:83], v39 offset1:1
	ds_read2_b32 v[84:85], v35 offset1:1
	v_or_b32_e32 v35, s42, v0
	v_fma_f32 v10, -v13, v72, v10
	s_waitcnt lgkmcnt(3)
	v_mul_f32_e32 v11, v77, v11
	v_lshlrev_b32_e32 v35, 2, v35
	v_fma_f32 v10, -v12, v74, v10
	s_lshl_b32 s43, s43, 6
	ds_write_b32 v35, v11 offset:16384
	v_fma_f32 v10, -v11, v76, v10
	v_or_b32_e32 v35, s43, v0
	s_add_i32 s44, s45, s18
	s_waitcnt lgkmcnt(3)
	v_mul_f32_e32 v10, v37, v10
	v_lshlrev_b32_e32 v35, 2, v35
	s_lshl_b32 s44, s44, 2
	ds_write_b32 v35, v10 offset:16384
	v_mov_b32_e32 v35, s44
	s_add_i32 s44, s45, s20
	s_lshl_b32 s44, s44, 2
	v_mov_b32_e32 v38, s44
	s_add_i32 s44, s45, s21
	s_lshl_b32 s44, s44, 2
	;; [unrolled: 3-line block ×4, first 2 shown]
	s_waitcnt lgkmcnt(3)
	v_fma_f32 v9, -v33, v83, v9
	ds_read2_b32 v[36:37], v35 offset1:1
	ds_read2_b32 v[38:39], v38 offset1:1
	;; [unrolled: 1-line block ×4, first 2 shown]
	v_mov_b32_e32 v35, s44
	s_add_i32 s44, s45, s25
	s_waitcnt lgkmcnt(6)
	v_fma_f32 v9, -v32, v85, v9
	s_lshl_b32 s44, s44, 2
	s_waitcnt lgkmcnt(3)
	v_fma_f32 v9, -v31, v37, v9
	v_mov_b32_e32 v37, s44
	s_add_i32 s44, s45, s27
	s_lshl_b32 s44, s44, 2
	s_waitcnt lgkmcnt(2)
	v_fma_f32 v9, -v30, v39, v9
	v_mov_b32_e32 v39, s44
	s_add_i32 s44, s45, s28
	s_lshl_b32 s44, s44, 2
	ds_read2_b32 v[44:45], v35 offset1:1
	ds_read2_b32 v[46:47], v37 offset1:1
	;; [unrolled: 1-line block ×3, first 2 shown]
	v_mov_b32_e32 v35, s44
	s_add_i32 s44, s45, s29
	s_lshl_b32 s44, s44, 2
	ds_read2_b32 v[50:51], v35 offset1:1
	v_mov_b32_e32 v35, s44
	s_add_i32 s44, s45, s30
	s_lshl_b32 s44, s44, 2
	v_mov_b32_e32 v37, s44
	s_add_i32 s44, s45, s31
	s_lshl_b32 s44, s44, 2
	;; [unrolled: 3-line block ×3, first 2 shown]
	s_waitcnt lgkmcnt(5)
	v_fma_f32 v9, -v29, v41, v9
	v_mov_b32_e32 v41, s44
	s_add_i32 s44, s45, s34
	s_lshl_b32 s44, s44, 2
	ds_read2_b32 v[52:53], v35 offset1:1
	ds_read2_b32 v[54:55], v37 offset1:1
	;; [unrolled: 1-line block ×4, first 2 shown]
	v_mov_b32_e32 v35, s44
	s_add_i32 s44, s45, s35
	s_lshl_b32 s44, s44, 2
	v_mov_b32_e32 v37, s44
	s_add_i32 s44, s45, s36
	s_lshl_b32 s44, s44, 2
	v_fma_f32 v8, -v33, v82, v8
	v_mov_b32_e32 v39, s44
	s_add_i32 s44, s45, s37
	v_fma_f32 v8, -v32, v84, v8
	s_lshl_b32 s44, s44, 2
	v_fma_f32 v8, -v31, v36, v8
	ds_read2_b32 v[60:61], v35 offset1:1
	ds_read2_b32 v[62:63], v37 offset1:1
	;; [unrolled: 1-line block ×3, first 2 shown]
	v_mov_b32_e32 v35, s44
	s_add_i32 s44, s45, s38
	v_fma_f32 v8, -v30, v38, v8
	s_waitcnt lgkmcnt(11)
	v_fma_f32 v9, -v28, v43, v9
	s_lshl_b32 s44, s44, 2
	v_fma_f32 v8, -v29, v40, v8
	s_waitcnt lgkmcnt(10)
	v_fma_f32 v9, -v27, v45, v9
	ds_read2_b32 v[66:67], v35 offset1:1
	v_mov_b32_e32 v35, s44
	s_add_i32 s44, s45, s39
	v_fma_f32 v8, -v28, v42, v8
	s_waitcnt lgkmcnt(10)
	v_fma_f32 v9, -v26, v47, v9
	s_lshl_b32 s44, s44, 2
	v_fma_f32 v8, -v27, v44, v8
	s_waitcnt lgkmcnt(9)
	v_fma_f32 v9, -v25, v49, v9
	v_mov_b32_e32 v37, s44
	s_add_i32 s44, s45, s40
	v_fma_f32 v8, -v26, v46, v8
	s_waitcnt lgkmcnt(8)
	v_fma_f32 v9, -v24, v51, v9
	s_lshl_b32 s44, s44, 2
	v_fma_f32 v8, -v25, v48, v8
	s_waitcnt lgkmcnt(7)
	v_fma_f32 v9, -v23, v53, v9
	;; [unrolled: 9-line block ×4, first 2 shown]
	ds_read2_b32 v[68:69], v35 offset1:1
	ds_read2_b32 v[70:71], v37 offset1:1
	;; [unrolled: 1-line block ×4, first 2 shown]
	v_mov_b32_e32 v35, s44
	s_add_i32 s44, s45, s43
	v_fma_f32 v8, -v20, v58, v8
	s_waitcnt lgkmcnt(6)
	v_fma_f32 v9, -v18, v63, v9
	s_lshl_b32 s44, s44, 2
	v_fma_f32 v8, -v19, v60, v8
	s_waitcnt lgkmcnt(5)
	v_fma_f32 v9, -v17, v65, v9
	v_mov_b32_e32 v37, s44
	s_add_i32 s44, s14, 0xfffffa00
	v_fma_f32 v8, -v18, v62, v8
	s_waitcnt lgkmcnt(4)
	v_fma_f32 v9, -v16, v67, v9
	s_add_i32 s46, s45, s44
	v_fma_f32 v8, -v17, v64, v8
	s_waitcnt lgkmcnt(3)
	v_fma_f32 v9, -v15, v69, v9
	s_lshl_b32 s46, s46, 2
	v_fma_f32 v8, -v16, v66, v8
	s_waitcnt lgkmcnt(2)
	v_fma_f32 v9, -v14, v71, v9
	v_mov_b32_e32 v39, s46
	s_add_i32 s46, s15, 0xffffe69c
	ds_read2_b32 v[76:77], v35 offset1:1
	ds_read2_b32 v[78:79], v37 offset1:1
	ds_read2_b32 v[80:81], v39 offset1:1
	v_fma_f32 v8, -v15, v68, v8
	s_waitcnt lgkmcnt(4)
	v_fma_f32 v9, -v13, v73, v9
	v_mov_b32_e32 v35, s46
	v_fma_f32 v8, -v14, v70, v8
	s_waitcnt lgkmcnt(3)
	v_fma_f32 v9, -v12, v75, v9
	ds_read_b32 v37, v35
	v_fma_f32 v8, -v13, v72, v8
	s_waitcnt lgkmcnt(3)
	v_fma_f32 v9, -v11, v77, v9
	v_fma_f32 v8, -v12, v74, v8
	s_waitcnt lgkmcnt(2)
	v_fma_f32 v9, -v10, v79, v9
	v_fma_f32 v8, -v11, v76, v8
	s_waitcnt lgkmcnt(1)
	v_mul_f32_e32 v35, v81, v9
	v_fma_f32 v8, -v10, v78, v8
	v_fma_f32 v8, -v35, v80, v8
	s_lshl_b32 s45, s45, 6
	s_sub_i32 s47, s9, 27
	s_waitcnt lgkmcnt(0)
	v_mul_f32_e32 v36, v37, v8
	v_or_b32_e32 v8, s45, v0
	s_add_i32 s46, s47, s14
	v_lshlrev_b32_e32 v8, 2, v8
	s_lshl_b32 s46, s46, 2
	ds_write_b32 v8, v36 offset:16384
	v_mov_b32_e32 v8, s46
	s_add_i32 s46, s47, s19
	s_lshl_b32 s46, s46, 2
	v_or_b32_e32 v9, s44, v0
	v_mov_b32_e32 v37, s46
	s_add_i32 s46, s47, s18
	v_lshlrev_b32_e32 v9, 2, v9
	s_lshl_b32 s46, s46, 2
	ds_write_b32 v9, v35 offset:16384
	v_mov_b32_e32 v40, s46
	s_add_i32 s46, s47, s20
	s_lshl_b32 s46, s46, 2
	ds_read2_b32 v[8:9], v8 offset1:1
	ds_read2_b32 v[38:39], v37 offset1:1
	;; [unrolled: 1-line block ×3, first 2 shown]
	v_mov_b32_e32 v37, s46
	s_add_i32 s46, s47, s21
	s_lshl_b32 s46, s46, 2
	s_waitcnt lgkmcnt(2)
	v_fma_f32 v7, -v33, v9, v7
	v_mov_b32_e32 v9, s46
	s_add_i32 s46, s47, s23
	s_lshl_b32 s46, s46, 2
	ds_read2_b32 v[42:43], v37 offset1:1
	v_mov_b32_e32 v37, s46
	s_add_i32 s46, s47, s24
	s_lshl_b32 s46, s46, 2
	s_waitcnt lgkmcnt(2)
	v_fma_f32 v7, -v32, v39, v7
	v_mov_b32_e32 v39, s46
	s_add_i32 s46, s47, s25
	s_lshl_b32 s46, s46, 2
	s_waitcnt lgkmcnt(1)
	v_fma_f32 v7, -v31, v41, v7
	v_mov_b32_e32 v41, s46
	s_add_i32 s46, s47, s27
	s_lshl_b32 s46, s46, 2
	ds_read2_b32 v[44:45], v9 offset1:1
	ds_read2_b32 v[46:47], v37 offset1:1
	;; [unrolled: 1-line block ×4, first 2 shown]
	v_mov_b32_e32 v9, s46
	s_add_i32 s46, s47, s28
	s_lshl_b32 s46, s46, 2
	v_mov_b32_e32 v37, s46
	s_add_i32 s46, s47, s29
	s_lshl_b32 s46, s46, 2
	;; [unrolled: 3-line block ×3, first 2 shown]
	ds_read2_b32 v[52:53], v9 offset1:1
	ds_read2_b32 v[54:55], v37 offset1:1
	;; [unrolled: 1-line block ×3, first 2 shown]
	v_mov_b32_e32 v9, s46
	s_add_i32 s46, s47, s31
	s_lshl_b32 s46, s46, 2
	ds_read2_b32 v[58:59], v9 offset1:1
	v_mov_b32_e32 v9, s46
	s_add_i32 s46, s47, s33
	s_lshl_b32 s46, s46, 2
	v_mov_b32_e32 v37, s46
	s_add_i32 s46, s47, s34
	s_lshl_b32 s46, s46, 2
	;; [unrolled: 3-line block ×4, first 2 shown]
	ds_read2_b32 v[60:61], v9 offset1:1
	ds_read2_b32 v[62:63], v37 offset1:1
	;; [unrolled: 1-line block ×4, first 2 shown]
	v_mov_b32_e32 v9, s46
	s_add_i32 s46, s47, s37
	s_lshl_b32 s46, s46, 2
	v_mov_b32_e32 v37, s46
	s_add_i32 s46, s47, s38
	s_waitcnt lgkmcnt(12)
	v_fma_f32 v7, -v30, v43, v7
	s_lshl_b32 s46, s46, 2
	s_waitcnt lgkmcnt(11)
	v_fma_f32 v7, -v29, v45, v7
	v_mov_b32_e32 v39, s46
	s_add_i32 s46, s47, s39
	s_waitcnt lgkmcnt(10)
	v_fma_f32 v7, -v28, v47, v7
	s_lshl_b32 s46, s46, 2
	v_fma_f32 v6, -v33, v8, v6
	s_waitcnt lgkmcnt(9)
	v_fma_f32 v7, -v27, v49, v7
	ds_read2_b32 v[68:69], v9 offset1:1
	ds_read2_b32 v[70:71], v37 offset1:1
	;; [unrolled: 1-line block ×3, first 2 shown]
	v_mov_b32_e32 v9, s46
	s_add_i32 s46, s47, s40
	v_fma_f32 v6, -v32, v38, v6
	s_waitcnt lgkmcnt(11)
	v_fma_f32 v7, -v26, v51, v7
	s_lshl_b32 s46, s46, 2
	v_fma_f32 v6, -v31, v40, v6
	s_waitcnt lgkmcnt(10)
	v_fma_f32 v7, -v25, v53, v7
	ds_read2_b32 v[74:75], v9 offset1:1
	v_mov_b32_e32 v9, s46
	s_add_i32 s46, s47, s41
	v_fma_f32 v6, -v30, v42, v6
	s_waitcnt lgkmcnt(10)
	v_fma_f32 v7, -v24, v55, v7
	s_lshl_b32 s46, s46, 2
	v_fma_f32 v6, -v29, v44, v6
	s_waitcnt lgkmcnt(9)
	v_fma_f32 v7, -v23, v57, v7
	v_mov_b32_e32 v37, s46
	s_add_i32 s46, s47, s42
	v_fma_f32 v6, -v28, v46, v6
	s_waitcnt lgkmcnt(8)
	v_fma_f32 v7, -v22, v59, v7
	s_lshl_b32 s46, s46, 2
	v_fma_f32 v6, -v27, v48, v6
	s_waitcnt lgkmcnt(7)
	v_fma_f32 v7, -v21, v61, v7
	;; [unrolled: 9-line block ×4, first 2 shown]
	ds_read2_b32 v[76:77], v9 offset1:1
	ds_read2_b32 v[78:79], v37 offset1:1
	;; [unrolled: 1-line block ×4, first 2 shown]
	v_mov_b32_e32 v9, s46
	s_add_i32 s46, s47, s45
	v_fma_f32 v6, -v22, v58, v6
	s_waitcnt lgkmcnt(6)
	v_fma_f32 v7, -v16, v71, v7
	s_lshl_b32 s46, s46, 2
	v_fma_f32 v6, -v21, v60, v6
	s_waitcnt lgkmcnt(5)
	v_fma_f32 v7, -v15, v73, v7
	v_mov_b32_e32 v37, s46
	s_add_i32 s46, s14, 0xfffff980
	v_fma_f32 v6, -v20, v62, v6
	s_waitcnt lgkmcnt(4)
	v_fma_f32 v7, -v14, v75, v7
	s_add_i32 s48, s47, s46
	v_fma_f32 v6, -v19, v64, v6
	s_waitcnt lgkmcnt(3)
	v_fma_f32 v7, -v13, v77, v7
	s_lshl_b32 s48, s48, 2
	v_fma_f32 v6, -v18, v66, v6
	s_waitcnt lgkmcnt(2)
	v_fma_f32 v7, -v12, v79, v7
	v_mov_b32_e32 v39, s48
	ds_read2_b32 v[84:85], v9 offset1:1
	ds_read2_b32 v[86:87], v37 offset1:1
	;; [unrolled: 1-line block ×3, first 2 shown]
	v_fma_f32 v6, -v17, v68, v6
	s_waitcnt lgkmcnt(4)
	v_fma_f32 v7, -v11, v81, v7
	v_fma_f32 v6, -v16, v70, v6
	s_waitcnt lgkmcnt(3)
	v_fma_f32 v7, -v10, v83, v7
	;; [unrolled: 3-line block ×3, first 2 shown]
	v_fma_f32 v6, -v14, v74, v6
	s_add_i32 s48, s15, 0xffffe494
	s_waitcnt lgkmcnt(1)
	v_fma_f32 v7, -v36, v87, v7
	v_fma_f32 v6, -v13, v76, v6
	s_sub_i32 s49, s9, 29
	v_mov_b32_e32 v9, s48
	s_waitcnt lgkmcnt(0)
	v_mul_f32_e32 v37, v89, v7
	v_or_b32_e32 v7, s46, v0
	v_fma_f32 v6, -v12, v78, v6
	s_add_i32 s48, s49, s14
	ds_read_b32 v9, v9
	v_lshlrev_b32_e32 v7, 2, v7
	v_fma_f32 v6, -v11, v80, v6
	s_lshl_b32 s48, s48, 2
	ds_write_b32 v7, v37 offset:16384
	v_fma_f32 v6, -v10, v82, v6
	v_mov_b32_e32 v7, s48
	s_add_i32 s48, s49, s19
	v_fma_f32 v6, -v35, v84, v6
	s_lshl_b32 s48, s48, 2
	v_fma_f32 v6, -v36, v86, v6
	v_mov_b32_e32 v8, s48
	s_add_i32 s48, s49, s18
	v_fma_f32 v6, -v37, v88, v6
	s_lshl_b32 s48, s48, 2
	s_waitcnt lgkmcnt(1)
	v_mul_f32_e32 v38, v9, v6
	v_mov_b32_e32 v9, s48
	s_add_i32 s48, s49, s20
	s_lshl_b32 s47, s47, 6
	s_lshl_b32 s48, s48, 2
	v_or_b32_e32 v6, s47, v0
	v_mov_b32_e32 v39, s48
	s_add_i32 s48, s49, s21
	v_lshlrev_b32_e32 v6, 2, v6
	s_lshl_b32 s48, s48, 2
	ds_read2_b32 v[40:41], v7 offset1:1
	ds_read2_b32 v[42:43], v8 offset1:1
	;; [unrolled: 1-line block ×4, first 2 shown]
	ds_write_b32 v6, v38 offset:16384
	v_mov_b32_e32 v6, s48
	s_add_i32 s48, s49, s23
	s_lshl_b32 s48, s48, 2
	v_mov_b32_e32 v7, s48
	s_add_i32 s48, s49, s24
	s_lshl_b32 s48, s48, 2
	;; [unrolled: 3-line block ×3, first 2 shown]
	ds_read2_b32 v[48:49], v6 offset1:1
	ds_read2_b32 v[50:51], v7 offset1:1
	ds_read2_b32 v[52:53], v8 offset1:1
	v_mov_b32_e32 v6, s48
	s_add_i32 s48, s49, s27
	s_lshl_b32 s48, s48, 2
	ds_read2_b32 v[54:55], v6 offset1:1
	v_mov_b32_e32 v6, s48
	s_add_i32 s48, s49, s28
	s_lshl_b32 s48, s48, 2
	v_mov_b32_e32 v7, s48
	s_add_i32 s48, s49, s29
	s_lshl_b32 s48, s48, 2
	;; [unrolled: 3-line block ×4, first 2 shown]
	ds_read2_b32 v[56:57], v6 offset1:1
	ds_read2_b32 v[58:59], v7 offset1:1
	;; [unrolled: 1-line block ×4, first 2 shown]
	v_mov_b32_e32 v6, s48
	s_add_i32 s48, s49, s33
	s_lshl_b32 s48, s48, 2
	v_mov_b32_e32 v7, s48
	s_add_i32 s48, s49, s34
	s_lshl_b32 s48, s48, 2
	;; [unrolled: 3-line block ×3, first 2 shown]
	ds_read2_b32 v[64:65], v6 offset1:1
	ds_read2_b32 v[66:67], v7 offset1:1
	;; [unrolled: 1-line block ×3, first 2 shown]
	v_mov_b32_e32 v6, s48
	s_add_i32 s48, s49, s36
	s_lshl_b32 s48, s48, 2
	ds_read2_b32 v[70:71], v6 offset1:1
	v_mov_b32_e32 v6, s48
	s_add_i32 s48, s49, s37
	s_lshl_b32 s48, s48, 2
	s_waitcnt lgkmcnt(14)
	v_fma_f32 v5, -v33, v41, v5
	v_mov_b32_e32 v7, s48
	s_add_i32 s48, s49, s38
	v_fma_f32 v5, -v32, v43, v5
	s_lshl_b32 s48, s48, 2
	v_fma_f32 v4, -v33, v40, v4
	v_fma_f32 v5, -v31, v45, v5
	v_mov_b32_e32 v8, s48
	s_add_i32 s48, s49, s39
	v_fma_f32 v4, -v32, v42, v4
	s_waitcnt lgkmcnt(13)
	v_fma_f32 v5, -v30, v47, v5
	s_lshl_b32 s48, s48, 2
	v_fma_f32 v4, -v31, v44, v4
	s_waitcnt lgkmcnt(11)
	v_fma_f32 v5, -v29, v49, v5
	v_mov_b32_e32 v9, s48
	s_add_i32 s48, s49, s40
	v_fma_f32 v4, -v30, v46, v4
	s_waitcnt lgkmcnt(10)
	v_fma_f32 v5, -v28, v51, v5
	s_lshl_b32 s48, s48, 2
	v_fma_f32 v4, -v29, v48, v4
	s_waitcnt lgkmcnt(9)
	v_fma_f32 v5, -v27, v53, v5
	ds_read2_b32 v[72:73], v6 offset1:1
	ds_read2_b32 v[74:75], v7 offset1:1
	;; [unrolled: 1-line block ×4, first 2 shown]
	v_mov_b32_e32 v6, s48
	s_add_i32 s48, s49, s41
	v_fma_f32 v4, -v28, v50, v4
	s_waitcnt lgkmcnt(12)
	v_fma_f32 v5, -v26, v55, v5
	s_lshl_b32 s48, s48, 2
	v_fma_f32 v4, -v27, v52, v4
	s_waitcnt lgkmcnt(11)
	v_fma_f32 v5, -v25, v57, v5
	v_mov_b32_e32 v7, s48
	s_add_i32 s48, s49, s42
	v_fma_f32 v4, -v26, v54, v4
	s_waitcnt lgkmcnt(10)
	v_fma_f32 v5, -v24, v59, v5
	s_lshl_b32 s48, s48, 2
	v_fma_f32 v4, -v25, v56, v4
	s_waitcnt lgkmcnt(9)
	v_fma_f32 v5, -v23, v61, v5
	v_mov_b32_e32 v8, s48
	s_add_i32 s48, s49, s43
	v_fma_f32 v4, -v24, v58, v4
	s_waitcnt lgkmcnt(8)
	v_fma_f32 v5, -v22, v63, v5
	s_lshl_b32 s48, s48, 2
	v_fma_f32 v4, -v23, v60, v4
	s_waitcnt lgkmcnt(7)
	v_fma_f32 v5, -v21, v65, v5
	ds_read2_b32 v[80:81], v6 offset1:1
	ds_read2_b32 v[82:83], v7 offset1:1
	;; [unrolled: 1-line block ×3, first 2 shown]
	v_mov_b32_e32 v6, s48
	s_add_i32 s48, s49, s44
	v_fma_f32 v4, -v22, v62, v4
	s_waitcnt lgkmcnt(9)
	v_fma_f32 v5, -v20, v67, v5
	s_lshl_b32 s48, s48, 2
	v_fma_f32 v4, -v21, v64, v4
	s_waitcnt lgkmcnt(8)
	v_fma_f32 v5, -v19, v69, v5
	ds_read2_b32 v[86:87], v6 offset1:1
	v_mov_b32_e32 v6, s48
	s_add_i32 s48, s49, s45
	v_fma_f32 v4, -v20, v66, v4
	s_waitcnt lgkmcnt(8)
	v_fma_f32 v5, -v18, v71, v5
	s_lshl_b32 s48, s48, 2
	v_fma_f32 v4, -v19, v68, v4
	s_waitcnt lgkmcnt(7)
	v_fma_f32 v5, -v17, v73, v5
	v_mov_b32_e32 v7, s48
	s_add_i32 s48, s49, s46
	v_fma_f32 v4, -v18, v70, v4
	s_waitcnt lgkmcnt(6)
	v_fma_f32 v5, -v16, v75, v5
	s_lshl_b32 s48, s48, 2
	v_fma_f32 v4, -v17, v72, v4
	s_waitcnt lgkmcnt(5)
	v_fma_f32 v5, -v15, v77, v5
	v_mov_b32_e32 v8, s48
	s_add_i32 s48, s49, s47
	v_fma_f32 v4, -v16, v74, v4
	s_waitcnt lgkmcnt(4)
	v_fma_f32 v5, -v14, v79, v5
	s_lshl_b32 s48, s48, 2
	s_add_i32 s50, s14, 0xfffff900
	v_fma_f32 v4, -v15, v76, v4
	s_waitcnt lgkmcnt(3)
	v_fma_f32 v5, -v13, v81, v5
	v_mov_b32_e32 v9, s48
	s_add_i32 s48, s49, s50
	v_fma_f32 v4, -v14, v78, v4
	s_waitcnt lgkmcnt(2)
	v_fma_f32 v5, -v12, v83, v5
	s_lshl_b32 s48, s48, 2
	v_fma_f32 v4, -v13, v80, v4
	s_waitcnt lgkmcnt(1)
	v_fma_f32 v5, -v11, v85, v5
	ds_read2_b32 v[88:89], v6 offset1:1
	ds_read2_b32 v[90:91], v7 offset1:1
	;; [unrolled: 1-line block ×4, first 2 shown]
	v_mov_b32_e32 v6, s48
	s_add_i32 s48, s15, 0xffffe28c
	v_fma_f32 v4, -v12, v82, v4
	s_waitcnt lgkmcnt(4)
	v_fma_f32 v5, -v10, v87, v5
	v_mov_b32_e32 v7, s48
	s_sub_i32 s48, s9, 31
	ds_read2_b32 v[96:97], v6 offset1:1
	v_fma_f32 v4, -v11, v84, v4
	s_waitcnt lgkmcnt(4)
	v_fma_f32 v5, -v35, v89, v5
	s_add_i32 s51, s48, s14
	s_add_i32 s19, s48, s19
	v_fma_f32 v4, -v10, v86, v4
	s_waitcnt lgkmcnt(3)
	v_fma_f32 v5, -v36, v91, v5
	s_lshl_b32 s51, s51, 2
	s_lshl_b32 s19, s19, 2
	v_fma_f32 v4, -v35, v88, v4
	s_waitcnt lgkmcnt(2)
	v_fma_f32 v5, -v37, v93, v5
	v_mov_b32_e32 v8, s51
	v_mov_b32_e32 v9, s19
	v_fma_f32 v4, -v36, v90, v4
	s_waitcnt lgkmcnt(1)
	v_fma_f32 v5, -v38, v95, v5
	ds_read_b32 v39, v7
	ds_read2_b32 v[6:7], v8 offset1:1
	ds_read2_b32 v[8:9], v9 offset1:1
	v_fma_f32 v4, -v37, v92, v4
	s_waitcnt lgkmcnt(3)
	v_mul_f32_e32 v97, v97, v5
	v_fma_f32 v4, -v38, v94, v4
	v_fma_f32 v4, -v97, v96, v4
	s_lshl_b32 s19, s49, 6
	s_waitcnt lgkmcnt(2)
	v_mul_f32_e32 v39, v39, v4
	v_or_b32_e32 v4, s19, v0
	s_add_i32 s18, s48, s18
	v_lshlrev_b32_e32 v4, 2, v4
	s_lshl_b32 s18, s18, 2
	ds_write_b32 v4, v39 offset:16384
	v_mov_b32_e32 v4, s18
	s_add_i32 s18, s48, s20
	s_lshl_b32 s18, s18, 2
	v_or_b32_e32 v5, s50, v0
	s_waitcnt lgkmcnt(2)
	v_fma_f32 v3, -v33, v7, v3
	v_mov_b32_e32 v7, s18
	s_add_i32 s18, s48, s21
	v_lshlrev_b32_e32 v5, 2, v5
	s_lshl_b32 s18, s18, 2
	ds_write_b32 v5, v97 offset:16384
	s_waitcnt lgkmcnt(2)
	v_fma_f32 v3, -v32, v9, v3
	v_mov_b32_e32 v9, s18
	s_add_i32 s18, s48, s23
	s_lshl_b32 s18, s18, 2
	ds_read2_b32 v[4:5], v4 offset1:1
	ds_read2_b32 v[40:41], v7 offset1:1
	ds_read2_b32 v[42:43], v9 offset1:1
	v_mov_b32_e32 v7, s18
	s_add_i32 s18, s48, s24
	s_lshl_b32 s18, s18, 2
	s_waitcnt lgkmcnt(2)
	v_fma_f32 v3, -v31, v5, v3
	v_mov_b32_e32 v5, s18
	s_add_i32 s18, s48, s25
	s_lshl_b32 s18, s18, 2
	ds_read2_b32 v[44:45], v7 offset1:1
	v_mov_b32_e32 v7, s18
	s_add_i32 s18, s48, s27
	s_lshl_b32 s18, s18, 2
	v_mov_b32_e32 v9, s18
	s_add_i32 s18, s48, s28
	s_lshl_b32 s18, s18, 2
	s_waitcnt lgkmcnt(2)
	v_fma_f32 v3, -v30, v41, v3
	v_mov_b32_e32 v41, s18
	s_add_i32 s18, s48, s29
	s_lshl_b32 s18, s18, 2
	ds_read2_b32 v[46:47], v5 offset1:1
	ds_read2_b32 v[48:49], v7 offset1:1
	;; [unrolled: 1-line block ×4, first 2 shown]
	v_mov_b32_e32 v5, s18
	s_add_i32 s18, s48, s30
	s_lshl_b32 s18, s18, 2
	v_mov_b32_e32 v7, s18
	s_add_i32 s18, s48, s31
	s_lshl_b32 s18, s18, 2
	;; [unrolled: 3-line block ×3, first 2 shown]
	ds_read2_b32 v[54:55], v5 offset1:1
	ds_read2_b32 v[56:57], v7 offset1:1
	;; [unrolled: 1-line block ×3, first 2 shown]
	v_mov_b32_e32 v5, s18
	s_add_i32 s18, s48, s34
	s_lshl_b32 s18, s18, 2
	ds_read2_b32 v[60:61], v5 offset1:1
	v_mov_b32_e32 v5, s18
	s_add_i32 s18, s48, s35
	s_lshl_b32 s18, s18, 2
	v_mov_b32_e32 v7, s18
	s_add_i32 s18, s48, s36
	s_lshl_b32 s18, s18, 2
	v_mov_b32_e32 v9, s18
	s_add_i32 s18, s48, s37
	s_lshl_b32 s18, s18, 2
	v_mov_b32_e32 v41, s18
	s_add_i32 s18, s48, s38
	s_lshl_b32 s18, s18, 2
	ds_read2_b32 v[62:63], v5 offset1:1
	ds_read2_b32 v[64:65], v7 offset1:1
	;; [unrolled: 1-line block ×4, first 2 shown]
	v_mov_b32_e32 v5, s18
	s_add_i32 s18, s48, s39
	s_lshl_b32 s18, s18, 2
	v_fma_f32 v2, -v33, v6, v2
	v_mov_b32_e32 v7, s18
	s_add_i32 s18, s48, s40
	v_fma_f32 v2, -v32, v8, v2
	s_lshl_b32 s18, s18, 2
	v_fma_f32 v2, -v31, v4, v2
	s_waitcnt lgkmcnt(13)
	v_fma_f32 v3, -v29, v43, v3
	v_mov_b32_e32 v9, s18
	s_add_i32 s18, s48, s41
	v_fma_f32 v2, -v30, v40, v2
	s_waitcnt lgkmcnt(12)
	v_fma_f32 v3, -v28, v45, v3
	s_lshl_b32 s18, s18, 2
	v_fma_f32 v2, -v29, v42, v2
	s_waitcnt lgkmcnt(11)
	v_fma_f32 v3, -v27, v47, v3
	ds_read2_b32 v[70:71], v5 offset1:1
	ds_read2_b32 v[72:73], v7 offset1:1
	;; [unrolled: 1-line block ×3, first 2 shown]
	v_mov_b32_e32 v5, s18
	s_add_i32 s18, s48, s42
	v_fma_f32 v2, -v28, v44, v2
	s_waitcnt lgkmcnt(13)
	v_fma_f32 v3, -v26, v49, v3
	s_lshl_b32 s18, s18, 2
	v_fma_f32 v2, -v27, v46, v2
	s_waitcnt lgkmcnt(12)
	v_fma_f32 v3, -v25, v51, v3
	ds_read2_b32 v[76:77], v5 offset1:1
	v_mov_b32_e32 v5, s18
	s_add_i32 s18, s48, s43
	v_fma_f32 v2, -v26, v48, v2
	s_waitcnt lgkmcnt(12)
	v_fma_f32 v3, -v24, v53, v3
	s_lshl_b32 s18, s18, 2
	v_fma_f32 v2, -v25, v50, v2
	s_waitcnt lgkmcnt(11)
	v_fma_f32 v3, -v23, v55, v3
	v_mov_b32_e32 v7, s18
	s_add_i32 s18, s48, s44
	v_fma_f32 v2, -v24, v52, v2
	s_waitcnt lgkmcnt(10)
	v_fma_f32 v3, -v22, v57, v3
	s_lshl_b32 s18, s18, 2
	v_fma_f32 v2, -v23, v54, v2
	s_waitcnt lgkmcnt(9)
	v_fma_f32 v3, -v21, v59, v3
	;; [unrolled: 9-line block ×4, first 2 shown]
	ds_read2_b32 v[78:79], v5 offset1:1
	ds_read2_b32 v[80:81], v7 offset1:1
	ds_read2_b32 v[82:83], v9 offset1:1
	ds_read2_b32 v[84:85], v41 offset1:1
	v_mov_b32_e32 v5, s18
	s_add_i32 s18, s48, s47
	v_fma_f32 v2, -v18, v64, v2
	s_waitcnt lgkmcnt(8)
	v_fma_f32 v3, -v16, v69, v3
	s_lshl_b32 s18, s18, 2
	v_fma_f32 v2, -v17, v66, v2
	s_waitcnt lgkmcnt(7)
	v_fma_f32 v3, -v15, v71, v3
	v_mov_b32_e32 v7, s18
	s_add_i32 s18, s48, s50
	v_fma_f32 v2, -v16, v68, v2
	s_waitcnt lgkmcnt(6)
	v_fma_f32 v3, -v14, v73, v3
	s_lshl_b32 s18, s18, 2
	v_fma_f32 v2, -v15, v70, v2
	s_waitcnt lgkmcnt(5)
	v_fma_f32 v3, -v13, v75, v3
	v_mov_b32_e32 v9, s18
	s_add_i32 s18, s48, s19
	v_fma_f32 v2, -v14, v72, v2
	s_waitcnt lgkmcnt(4)
	v_fma_f32 v3, -v12, v77, v3
	s_lshl_b32 s18, s18, 2
	s_addk_i32 s14, 0xf880
	v_fma_f32 v2, -v13, v74, v2
	s_waitcnt lgkmcnt(3)
	v_fma_f32 v3, -v11, v79, v3
	ds_read2_b32 v[86:87], v5 offset1:1
	ds_read2_b32 v[88:89], v7 offset1:1
	;; [unrolled: 1-line block ×3, first 2 shown]
	v_mov_b32_e32 v5, s18
	s_add_i32 s18, s48, s14
	v_fma_f32 v2, -v12, v76, v2
	s_waitcnt lgkmcnt(5)
	v_fma_f32 v3, -v10, v81, v3
	s_lshl_b32 s18, s18, 2
	v_fma_f32 v2, -v11, v78, v2
	s_waitcnt lgkmcnt(4)
	v_fma_f32 v3, -v35, v83, v3
	ds_read2_b32 v[92:93], v5 offset1:1
	v_mov_b32_e32 v5, s18
	v_fma_f32 v2, -v10, v80, v2
	s_waitcnt lgkmcnt(4)
	v_fma_f32 v3, -v36, v85, v3
	ds_read2_b32 v[94:95], v5 offset1:1
	s_addk_i32 s15, 0xe084
	v_fma_f32 v2, -v35, v82, v2
	s_waitcnt lgkmcnt(4)
	v_fma_f32 v3, -v37, v87, v3
	v_mov_b32_e32 v5, s15
	v_fma_f32 v2, -v36, v84, v2
	s_waitcnt lgkmcnt(3)
	v_fma_f32 v3, -v38, v89, v3
	ds_read_b32 v5, v5
	v_fma_f32 v2, -v37, v86, v2
	s_waitcnt lgkmcnt(3)
	v_fma_f32 v3, -v97, v91, v3
	v_fma_f32 v2, -v38, v88, v2
	s_waitcnt lgkmcnt(2)
	v_fma_f32 v3, -v39, v93, v3
	v_fma_f32 v2, -v97, v90, v2
	s_waitcnt lgkmcnt(1)
	v_mul_f32_e32 v3, v95, v3
	v_or_b32_e32 v7, s14, v0
	v_fma_f32 v2, -v39, v92, v2
	v_lshlrev_b32_e32 v7, 2, v7
	v_fma_f32 v2, -v3, v94, v2
	s_sub_i32 s14, s9, 32
	s_addk_i32 s8, 0xff80
	ds_write_b32 v7, v3 offset:16384
	s_waitcnt lgkmcnt(1)
	v_mul_f32_e32 v2, v5, v2
	v_lshl_or_b32 v3, s48, 8, v1
	s_cmp_gt_i32 s9, 62
	ds_write_b32 v3, v2 offset:16384
	s_cbranch_scc0 .LBB41_68
; %bb.67:                               ;   in Loop: Header=BB41_64 Depth=1
	s_mov_b32 s9, s14
	s_branch .LBB41_64
.LBB41_68:
	s_cmp_gt_i32 s14, -1
	s_cbranch_scc0 .LBB41_89
; %bb.69:
	s_cmp_lt_u32 s14, 3
	s_cbranch_scc1 .LBB41_75
; %bb.70:
	s_lshl_b32 s9, s26, 8
	s_lshl_b32 s8, s14, 2
	s_add_i32 s8, s9, s8
	v_lshl_or_b32 v1, v0, 2, s9
	s_addk_i32 s8, 0xfef4
	v_add_u32_e32 v1, 0x3f00, v1
	v_lshlrev_b32_e32 v6, 2, v0
.LBB41_71:                              ; =>This Loop Header: Depth=1
                                        ;     Child Loop BB41_72 Depth 2
	s_lshl_b32 s9, s14, 6
	v_or_b32_e32 v2, s9, v0
	v_lshlrev_b32_e32 v7, 2, v2
	ds_read2st64_b32 v[4:5], v7 offset0:63 offset1:64
	ds_read2st64_b32 v[2:3], v7 offset0:61 offset1:62
	s_cmp_le_i32 s6, s14
	v_mov_b32_e32 v8, v1
	s_mov_b32 s15, s8
	s_mov_b32 s18, s6
	s_cbranch_scc1 .LBB41_73
.LBB41_72:                              ;   Parent Loop BB41_71 Depth=1
                                        ; =>  This Inner Loop Header: Depth=2
	v_mov_b32_e32 v9, s15
	ds_read_b32 v10, v8
	ds_read2_b32 v[12:13], v9 offset0:2 offset1:3
	ds_read2_b32 v[14:15], v9 offset1:1
	s_add_i32 s18, s18, -1
	s_addk_i32 s15, 0xff00
	v_add_u32_e32 v8, 0xffffff00, v8
	s_cmp_gt_i32 s18, s14
	s_waitcnt lgkmcnt(1)
	v_pk_fma_f32 v[4:5], v[10:11], v[12:13], v[4:5] op_sel_hi:[0,1,1] neg_lo:[1,0,0] neg_hi:[1,0,0]
	s_waitcnt lgkmcnt(0)
	v_pk_fma_f32 v[2:3], v[10:11], v[14:15], v[2:3] op_sel_hi:[0,1,1] neg_lo:[1,0,0] neg_hi:[1,0,0]
	s_cbranch_scc1 .LBB41_72
.LBB41_73:                              ;   in Loop: Header=BB41_71 Depth=1
	s_add_i32 s18, s14, -1
	s_add_i32 s19, s18, s9
	s_mul_i32 s15, s14, 0x104
	s_lshl_b32 s19, s19, 2
	v_mov_b32_e32 v8, s19
	s_add_i32 s19, s15, 0xfffffefc
	v_mov_b32_e32 v10, s19
	s_add_i32 s19, s14, -3
	s_add_i32 s20, s19, s9
	s_lshl_b32 s18, s18, 6
	s_lshl_b32 s20, s20, 2
	ds_read2_b32 v[8:9], v8 offset1:1
	v_mov_b32_e32 v11, s20
	s_add_i32 s20, s19, s18
	s_lshl_b32 s20, s20, 2
	v_mov_b32_e32 v12, s20
	ds_read_b32 v14, v10
	ds_read2_b32 v[10:11], v11 offset1:1
	ds_read2_b32 v[12:13], v12 offset1:1
	s_waitcnt lgkmcnt(3)
	v_mul_f32_e32 v9, v9, v5
	v_add_u32_e32 v7, 0x4000, v7
	v_fma_f32 v4, -v9, v8, v4
	s_addk_i32 s9, 0xff80
	ds_write_b32 v7, v9
	s_waitcnt lgkmcnt(3)
	v_mul_f32_e32 v7, v14, v4
	v_or_b32_e32 v4, s18, v0
	s_add_i32 s18, s19, s9
	v_lshlrev_b32_e32 v4, 2, v4
	s_lshl_b32 s18, s18, 2
	ds_write_b32 v4, v7 offset:16384
	v_mov_b32_e32 v4, s18
	ds_read2_b32 v[4:5], v4 offset1:1
	s_addk_i32 s15, 0xfcf4
	v_mov_b32_e32 v8, s15
	ds_read_b32 v8, v8
	s_waitcnt lgkmcnt(5)
	v_fma_f32 v3, -v9, v11, v3
	s_waitcnt lgkmcnt(4)
	v_fma_f32 v3, -v7, v13, v3
	v_fma_f32 v2, -v9, v10, v2
	s_waitcnt lgkmcnt(1)
	v_mul_f32_e32 v3, v5, v3
	v_or_b32_e32 v5, s9, v0
	v_fma_f32 v2, -v7, v12, v2
	v_lshlrev_b32_e32 v5, 2, v5
	v_fma_f32 v2, -v3, v4, v2
	s_add_i32 s9, s14, -4
	s_add_i32 s8, s8, -16
	ds_write_b32 v5, v3 offset:16384
	s_waitcnt lgkmcnt(1)
	v_mul_f32_e32 v2, v8, v2
	v_lshl_or_b32 v3, s19, 8, v6
	s_cmp_gt_i32 s14, 6
	ds_write_b32 v3, v2 offset:16384
	s_cbranch_scc0 .LBB41_76
; %bb.74:                               ;   in Loop: Header=BB41_71 Depth=1
	s_mov_b32 s14, s9
	s_branch .LBB41_71
.LBB41_75:
	s_mov_b32 s9, s14
.LBB41_76:
	s_cmp_lt_i32 s9, 0
	s_cbranch_scc1 .LBB41_89
; %bb.77:
	s_bitcmp1_b32 s9, 0
	s_cselect_b64 s[14:15], -1, 0
	s_and_b64 vcc, exec, s[14:15]
	s_mov_b32 s8, s9
	s_cbranch_vccnz .LBB41_82
; %bb.78:
	v_lshlrev_b32_e32 v1, 2, v0
	v_lshl_or_b32 v2, s9, 8, v1
	ds_read_b32 v1, v2 offset:16384
	s_cmp_le_i32 s6, s9
	s_cbranch_scc1 .LBB41_81
; %bb.79:
	s_lshl_b32 s14, s26, 8
	s_lshl_b32 s8, s9, 2
	s_add_i32 s8, s14, s8
	v_lshl_or_b32 v3, v0, 2, s14
	s_addk_i32 s8, 0xff00
	v_add_u32_e32 v3, 0x3f00, v3
	s_mov_b32 s14, s6
.LBB41_80:                              ; =>This Inner Loop Header: Depth=1
	v_mov_b32_e32 v5, s8
	ds_read_b32 v4, v3
	ds_read_b32 v5, v5
	s_add_i32 s14, s14, -1
	s_addk_i32 s8, 0xff00
	v_add_u32_e32 v3, 0xffffff00, v3
	s_cmp_gt_i32 s14, s9
	s_waitcnt lgkmcnt(0)
	v_fma_f32 v1, -v4, v5, v1
	s_cbranch_scc1 .LBB41_80
.LBB41_81:
	s_mul_i32 s8, s9, 0x104
	v_mov_b32_e32 v3, s8
	ds_read_b32 v3, v3
	v_add_u32_e32 v2, 0x4000, v2
	s_add_i32 s8, s9, -1
	s_waitcnt lgkmcnt(0)
	v_mul_f32_e32 v1, v3, v1
	ds_write_b32 v2, v1
.LBB41_82:
	s_cmp_eq_u32 s9, 0
	s_cbranch_scc1 .LBB41_89
; %bb.83:
	s_lshl_b32 s14, s26, 8
	s_lshl_b32 s9, s8, 2
	s_add_i32 s15, s14, s9
	v_lshl_or_b32 v1, v0, 2, s14
	s_add_i32 s9, s15, 0xffffff00
	v_add_u32_e32 v1, 0x3f00, v1
	s_add_i32 s14, s15, 0xfffffefc
	v_lshlrev_b32_e32 v2, 2, v0
	s_branch .LBB41_85
.LBB41_84:                              ;   in Loop: Header=BB41_85 Depth=1
	s_addk_i32 s15, 0xfefc
	v_add_u32_e32 v4, 0x4000, v5
	v_mov_b32_e32 v5, s15
	ds_read_b32 v5, v5
	s_add_i32 s15, s8, -2
	s_add_i32 s9, s9, -8
	;; [unrolled: 1-line block ×3, first 2 shown]
	s_cmp_lt_i32 s8, 2
	s_waitcnt lgkmcnt(0)
	v_mul_f32_e32 v3, v5, v3
	s_mov_b32 s8, s15
	ds_write_b32 v4, v3
	s_cbranch_scc1 .LBB41_89
.LBB41_85:                              ; =>This Loop Header: Depth=1
                                        ;     Child Loop BB41_86 Depth 2
                                        ;     Child Loop BB41_88 Depth 2
	v_lshl_or_b32 v3, s8, 8, v2
	ds_read_b32 v4, v3 offset:16384
	s_cmp_le_i32 s6, s8
	v_mov_b32_e32 v5, v1
	s_mov_b32 s15, s9
	s_mov_b32 s18, s6
	s_cbranch_scc1 .LBB41_87
.LBB41_86:                              ;   Parent Loop BB41_85 Depth=1
                                        ; =>  This Inner Loop Header: Depth=2
	v_mov_b32_e32 v7, s15
	ds_read_b32 v6, v5
	ds_read_b32 v7, v7
	s_add_i32 s18, s18, -1
	s_addk_i32 s15, 0xff00
	v_add_u32_e32 v5, 0xffffff00, v5
	s_cmp_gt_i32 s18, s8
	s_waitcnt lgkmcnt(0)
	v_fma_f32 v4, -v6, v7, v4
	s_cbranch_scc1 .LBB41_86
.LBB41_87:                              ;   in Loop: Header=BB41_85 Depth=1
	s_mul_i32 s15, s8, 0x104
	v_add_u32_e32 v6, 0x4000, v3
	v_mov_b32_e32 v3, s15
	s_lshl_b32 s18, s8, 8
	ds_read_b32 v7, v3
	s_addk_i32 s18, 0xff00
	v_lshl_or_b32 v5, v0, 2, s18
	ds_read_b32 v3, v5 offset:16384
	s_cmp_le_i32 s26, s8
	s_waitcnt lgkmcnt(1)
	v_mul_f32_e32 v4, v7, v4
	ds_write_b32 v6, v4
	v_mov_b32_e32 v4, v1
	s_mov_b32 s18, s14
	s_mov_b32 s19, s26
	s_cbranch_scc1 .LBB41_84
.LBB41_88:                              ;   Parent Loop BB41_85 Depth=1
                                        ; =>  This Inner Loop Header: Depth=2
	v_mov_b32_e32 v7, s18
	ds_read_b32 v6, v4
	ds_read_b32 v7, v7
	s_add_i32 s19, s19, -1
	s_addk_i32 s18, 0xff00
	v_add_u32_e32 v4, 0xffffff00, v4
	s_cmp_gt_i32 s19, s8
	s_waitcnt lgkmcnt(0)
	v_fma_f32 v3, -v6, v7, v3
	s_cbranch_scc1 .LBB41_88
	s_branch .LBB41_84
.LBB41_89:
	s_waitcnt lgkmcnt(0)
	; wave barrier
	s_waitcnt lgkmcnt(0)
	s_and_saveexec_b64 s[8:9], s[12:13]
	s_cbranch_execz .LBB41_101
; %bb.90:
	s_cmp_lt_i32 s10, 2
	s_cbranch_scc1 .LBB41_98
; %bb.91:
	s_add_i32 s8, s26, -2
	s_lshr_b32 s9, s8, 1
	s_add_i32 s9, s9, 1
	s_mov_b32 s10, 0
	s_mov_b32 s6, 1
	s_cmp_lt_u32 s8, 14
	s_mov_b32 s8, s10
	s_cbranch_scc1 .LBB41_94
; %bb.92:
	s_mul_i32 s8, s1, s7
	s_mul_hi_u32 s10, s0, s7
	s_add_i32 s15, s10, s8
	s_mul_i32 s14, s0, s7
	s_lshl_b64 s[18:19], s[4:5], 2
	v_lshlrev_b32_e32 v1, 2, v0
	s_and_b32 s12, s9, -8
	s_lshl_b64 s[14:15], s[14:15], 2
	v_mov_b32_e32 v2, s19
	v_add_co_u32_e32 v1, vcc, s18, v1
	s_lshl_b64 s[18:19], s[16:17], 2
	s_add_u32 s8, s2, s18
	s_addc_u32 s10, s3, s19
	s_add_u32 s14, s8, s14
	s_addc_u32 s15, s10, s15
	v_addc_co_u32_e32 v4, vcc, 0, v2, vcc
	v_pk_mov_b32 v[2:3], s[14:15], s[14:15] op_sel:[0,1]
	v_mad_u64_u32 v[2:3], s[14:15], v1, s22, v[2:3]
	v_mul_lo_u32 v1, v1, s11
	v_mul_lo_u32 v4, v4, s22
	v_add3_u32 v1, v4, v3, v1
	v_add_co_u32_e32 v2, vcc, 56, v2
	v_addc_co_u32_e32 v3, vcc, 0, v1, vcc
	s_mov_b32 s8, 0
	s_mov_b32 s10, 0
.LBB41_93:                              ; =>This Inner Loop Header: Depth=1
	s_lshl_b32 s13, s10, 6
	s_lshl_b32 s14, s6, 6
	v_or_b32_e32 v4, s13, v0
	s_add_i32 s15, s13, 0x80
	s_add_i32 s18, s14, 0x80
	;; [unrolled: 1-line block ×7, first 2 shown]
	s_addk_i32 s13, 0x380
	v_or_b32_e32 v1, s14, v0
	s_add_i32 s20, s14, 0x100
	s_add_i32 s23, s14, 0x180
	;; [unrolled: 1-line block ×5, first 2 shown]
	s_addk_i32 s14, 0x380
	v_or_b32_e32 v5, s18, v0
	v_or_b32_e32 v6, s15, v0
	;; [unrolled: 1-line block ×8, first 2 shown]
	v_lshlrev_b32_e32 v4, 2, v4
	v_or_b32_e32 v7, s20, v0
	v_or_b32_e32 v9, s23, v0
	;; [unrolled: 1-line block ×6, first 2 shown]
	v_lshlrev_b32_e32 v6, 2, v6
	v_lshlrev_b32_e32 v19, 2, v5
	;; [unrolled: 1-line block ×15, first 2 shown]
	ds_read_b32 v4, v4 offset:16384
	ds_read_b32 v5, v1 offset:16384
	;; [unrolled: 1-line block ×16, first 2 shown]
	s_add_i32 s8, s8, 16
	s_add_i32 s6, s6, 16
	s_add_i32 s10, s10, 16
	s_add_i32 s12, s12, -8
	s_waitcnt lgkmcnt(12)
	global_store_dwordx4 v[2:3], v[4:7], off offset:-56
	s_waitcnt lgkmcnt(8)
	global_store_dwordx4 v[2:3], v[8:11], off offset:-40
	s_waitcnt lgkmcnt(4)
	global_store_dwordx4 v[2:3], v[12:15], off offset:-24
	s_waitcnt lgkmcnt(0)
	global_store_dwordx4 v[2:3], v[16:19], off offset:-8
	v_add_co_u32_e32 v2, vcc, 64, v2
	s_cmp_lg_u32 s12, 0
	v_addc_co_u32_e32 v3, vcc, 0, v3, vcc
	s_cbranch_scc1 .LBB41_93
.LBB41_94:
	s_and_b32 s12, s9, 7
	s_cmp_eq_u32 s12, 0
	s_mov_b32 s9, 0
	s_cbranch_scc1 .LBB41_97
; %bb.95:
	s_mul_i32 s13, s1, s7
	s_mul_hi_u32 s14, s0, s7
	s_add_i32 s15, s14, s13
	s_mul_i32 s14, s0, s7
	s_lshl_b64 s[18:19], s[4:5], 2
	v_lshlrev_b32_e32 v1, 2, v0
	s_lshl_b64 s[14:15], s[14:15], 2
	v_mov_b32_e32 v2, s19
	v_add_co_u32_e32 v4, vcc, s18, v1
	s_lshl_b64 s[18:19], s[16:17], 2
	s_lshl_b64 s[8:9], s[8:9], 2
	s_add_u32 s8, s2, s8
	s_addc_u32 s9, s3, s9
	s_add_u32 s8, s8, s18
	s_addc_u32 s9, s9, s19
	;; [unrolled: 2-line block ×3, first 2 shown]
	v_addc_co_u32_e32 v5, vcc, 0, v2, vcc
	v_pk_mov_b32 v[2:3], s[8:9], s[8:9] op_sel:[0,1]
	v_mad_u64_u32 v[2:3], s[8:9], v4, s22, v[2:3]
	v_mul_lo_u32 v4, v4, s11
	v_mul_lo_u32 v5, v5, s22
	v_add3_u32 v3, v5, v3, v4
	s_lshl_b32 s8, s12, 3
.LBB41_96:                              ; =>This Inner Loop Header: Depth=1
	v_lshl_or_b32 v4, s10, 8, v1
	v_lshl_or_b32 v5, s6, 8, v1
	ds_read_b32 v4, v4 offset:16384
	ds_read_b32 v5, v5 offset:16384
	s_add_i32 s6, s6, 2
	s_add_i32 s10, s10, 2
	s_add_i32 s8, s8, -8
	s_cmp_lg_u32 s8, 0
	s_waitcnt lgkmcnt(0)
	global_store_dwordx2 v[2:3], v[4:5], off
	v_add_co_u32_e32 v2, vcc, 8, v2
	v_addc_co_u32_e32 v3, vcc, 0, v3, vcc
	s_cbranch_scc1 .LBB41_96
.LBB41_97:
	s_and_b32 s10, s26, 0x7e
	s_cmp_lg_u32 s26, s10
	s_cselect_b64 s[8:9], -1, 0
	s_and_b64 vcc, exec, s[8:9]
	s_cbranch_vccnz .LBB41_99
	s_branch .LBB41_101
.LBB41_98:
	s_mov_b32 s10, 0
	s_cbranch_execz .LBB41_101
.LBB41_99:
	v_lshlrev_b32_e32 v0, 2, v0
	s_mul_i32 s1, s1, s7
	s_mul_hi_u32 s8, s0, s7
	v_lshl_or_b32 v1, s10, 8, v0
	s_add_i32 s1, s8, s1
	s_mul_i32 s0, s0, s7
	s_lshl_b64 s[4:5], s[4:5], 2
	v_add_u32_e32 v2, 0x4000, v1
	s_sub_i32 s6, s26, s10
	s_lshl_b64 s[0:1], s[0:1], 2
	v_mov_b32_e32 v1, s5
	v_add_co_u32_e32 v3, vcc, s4, v0
	s_lshl_b64 s[4:5], s[16:17], 2
	s_lshl_b32 s7, s10, 2
	s_add_u32 s2, s2, s7
	s_addc_u32 s3, s3, 0
	s_add_u32 s2, s2, s4
	s_addc_u32 s3, s3, s5
	;; [unrolled: 2-line block ×3, first 2 shown]
	v_addc_co_u32_e32 v4, vcc, 0, v1, vcc
	v_pk_mov_b32 v[0:1], s[0:1], s[0:1] op_sel:[0,1]
	v_mad_u64_u32 v[0:1], s[0:1], v3, s22, v[0:1]
	v_mul_lo_u32 v3, v3, s11
	v_mul_lo_u32 v4, v4, s22
	v_add3_u32 v1, v4, v1, v3
.LBB41_100:                             ; =>This Inner Loop Header: Depth=1
	ds_read_b32 v3, v2
	s_add_i32 s6, s6, -1
	v_add_u32_e32 v2, 0x100, v2
	s_cmp_lg_u32 s6, 0
	s_waitcnt lgkmcnt(0)
	global_store_dword v[0:1], v3, off
	v_add_co_u32_e32 v0, vcc, 4, v0
	v_addc_co_u32_e32 v1, vcc, 0, v1, vcc
	s_cbranch_scc1 .LBB41_100
.LBB41_101:
	s_endpgm
	.section	.rodata,"a",@progbits
	.p2align	6, 0x0
	.amdhsa_kernel _ZL38rocblas_trsm_small_left_device_sharedBILi64ELi32ELb0EffPKfPfEv13rocblas_fill_18rocblas_operation_17rocblas_diagonal_iiT3_T4_lilT5_lili
		.amdhsa_group_segment_fixed_size 32768
		.amdhsa_private_segment_fixed_size 0
		.amdhsa_kernarg_size 352
		.amdhsa_user_sgpr_count 6
		.amdhsa_user_sgpr_private_segment_buffer 1
		.amdhsa_user_sgpr_dispatch_ptr 0
		.amdhsa_user_sgpr_queue_ptr 0
		.amdhsa_user_sgpr_kernarg_segment_ptr 1
		.amdhsa_user_sgpr_dispatch_id 0
		.amdhsa_user_sgpr_flat_scratch_init 0
		.amdhsa_user_sgpr_kernarg_preload_length 0
		.amdhsa_user_sgpr_kernarg_preload_offset 0
		.amdhsa_user_sgpr_private_segment_size 0
		.amdhsa_uses_dynamic_stack 0
		.amdhsa_system_sgpr_private_segment_wavefront_offset 0
		.amdhsa_system_sgpr_workgroup_id_x 1
		.amdhsa_system_sgpr_workgroup_id_y 0
		.amdhsa_system_sgpr_workgroup_id_z 1
		.amdhsa_system_sgpr_workgroup_info 0
		.amdhsa_system_vgpr_workitem_id 0
		.amdhsa_next_free_vgpr 106
		.amdhsa_next_free_sgpr 52
		.amdhsa_accum_offset 108
		.amdhsa_reserve_vcc 1
		.amdhsa_reserve_flat_scratch 0
		.amdhsa_float_round_mode_32 0
		.amdhsa_float_round_mode_16_64 0
		.amdhsa_float_denorm_mode_32 3
		.amdhsa_float_denorm_mode_16_64 3
		.amdhsa_dx10_clamp 1
		.amdhsa_ieee_mode 1
		.amdhsa_fp16_overflow 0
		.amdhsa_tg_split 0
		.amdhsa_exception_fp_ieee_invalid_op 0
		.amdhsa_exception_fp_denorm_src 0
		.amdhsa_exception_fp_ieee_div_zero 0
		.amdhsa_exception_fp_ieee_overflow 0
		.amdhsa_exception_fp_ieee_underflow 0
		.amdhsa_exception_fp_ieee_inexact 0
		.amdhsa_exception_int_div_zero 0
	.end_amdhsa_kernel
	.section	.text._ZL38rocblas_trsm_small_left_device_sharedBILi64ELi32ELb0EffPKfPfEv13rocblas_fill_18rocblas_operation_17rocblas_diagonal_iiT3_T4_lilT5_lili,"axG",@progbits,_ZL38rocblas_trsm_small_left_device_sharedBILi64ELi32ELb0EffPKfPfEv13rocblas_fill_18rocblas_operation_17rocblas_diagonal_iiT3_T4_lilT5_lili,comdat
.Lfunc_end41:
	.size	_ZL38rocblas_trsm_small_left_device_sharedBILi64ELi32ELb0EffPKfPfEv13rocblas_fill_18rocblas_operation_17rocblas_diagonal_iiT3_T4_lilT5_lili, .Lfunc_end41-_ZL38rocblas_trsm_small_left_device_sharedBILi64ELi32ELb0EffPKfPfEv13rocblas_fill_18rocblas_operation_17rocblas_diagonal_iiT3_T4_lilT5_lili
                                        ; -- End function
	.section	.AMDGPU.csdata,"",@progbits
; Kernel info:
; codeLenInByte = 25680
; NumSgprs: 56
; NumVgprs: 106
; NumAgprs: 0
; TotalNumVgprs: 106
; ScratchSize: 0
; MemoryBound: 0
; FloatMode: 240
; IeeeMode: 1
; LDSByteSize: 32768 bytes/workgroup (compile time only)
; SGPRBlocks: 6
; VGPRBlocks: 13
; NumSGPRsForWavesPerEU: 56
; NumVGPRsForWavesPerEU: 106
; AccumOffset: 108
; Occupancy: 1
; WaveLimiterHint : 0
; COMPUTE_PGM_RSRC2:SCRATCH_EN: 0
; COMPUTE_PGM_RSRC2:USER_SGPR: 6
; COMPUTE_PGM_RSRC2:TRAP_HANDLER: 0
; COMPUTE_PGM_RSRC2:TGID_X_EN: 1
; COMPUTE_PGM_RSRC2:TGID_Y_EN: 0
; COMPUTE_PGM_RSRC2:TGID_Z_EN: 1
; COMPUTE_PGM_RSRC2:TIDIG_COMP_CNT: 0
; COMPUTE_PGM_RSRC3_GFX90A:ACCUM_OFFSET: 26
; COMPUTE_PGM_RSRC3_GFX90A:TG_SPLIT: 0
	.section	.text._ZL30rocblas_trsm_small_left_deviceILi64ELi32ELb0EffPKfPfEv13rocblas_fill_18rocblas_operation_17rocblas_diagonal_iiT3_T4_lilT5_lili,"axG",@progbits,_ZL30rocblas_trsm_small_left_deviceILi64ELi32ELb0EffPKfPfEv13rocblas_fill_18rocblas_operation_17rocblas_diagonal_iiT3_T4_lilT5_lili,comdat
	.globl	_ZL30rocblas_trsm_small_left_deviceILi64ELi32ELb0EffPKfPfEv13rocblas_fill_18rocblas_operation_17rocblas_diagonal_iiT3_T4_lilT5_lili ; -- Begin function _ZL30rocblas_trsm_small_left_deviceILi64ELi32ELb0EffPKfPfEv13rocblas_fill_18rocblas_operation_17rocblas_diagonal_iiT3_T4_lilT5_lili
	.p2align	8
	.type	_ZL30rocblas_trsm_small_left_deviceILi64ELi32ELb0EffPKfPfEv13rocblas_fill_18rocblas_operation_17rocblas_diagonal_iiT3_T4_lilT5_lili,@function
_ZL30rocblas_trsm_small_left_deviceILi64ELi32ELb0EffPKfPfEv13rocblas_fill_18rocblas_operation_17rocblas_diagonal_iiT3_T4_lilT5_lili: ; @_ZL30rocblas_trsm_small_left_deviceILi64ELi32ELb0EffPKfPfEv13rocblas_fill_18rocblas_operation_17rocblas_diagonal_iiT3_T4_lilT5_lili
; %bb.0:
	s_load_dwordx4 s[8:11], s[4:5], 0x4
	s_load_dword s16, s[4:5], 0x14
	s_load_dwordx4 s[0:3], s[4:5], 0x30
	s_load_dwordx2 s[18:19], s[4:5], 0x40
	s_mov_b32 s27, 0
	s_waitcnt lgkmcnt(0)
	s_min_i32 s26, s10, 64
	v_cmp_gt_i32_e32 vcc, s26, v0
	s_and_saveexec_b64 s[20:21], vcc
	s_cbranch_execz .LBB42_15
; %bb.1:
	s_load_dword s22, s[4:5], 0x28
	s_load_dwordx4 s[12:15], s[4:5], 0x18
	s_cmp_gt_u32 s26, 1
	s_cselect_b64 s[24:25], -1, 0
	s_mov_b32 s17, 1
	s_waitcnt lgkmcnt(0)
	s_cmp_eq_u32 s22, 1
	s_cselect_b64 s[28:29], -1, 0
	s_and_b64 s[28:29], s[24:25], s[28:29]
	s_mov_b64 s[24:25], -1
	s_and_b64 vcc, exec, s[28:29]
	s_cbranch_vccz .LBB42_9
; %bb.2:
	s_add_i32 s24, s26, -2
	s_lshr_b32 s25, s24, 1
	s_add_i32 s25, s25, 1
	s_mov_b32 s23, 0
	s_cmp_lt_u32 s24, 14
	s_mov_b32 s24, s23
	s_cbranch_scc1 .LBB42_5
; %bb.3:
	s_mul_i32 s17, s1, s7
	s_mul_hi_u32 s23, s0, s7
	s_add_i32 s29, s23, s17
	s_mul_i32 s28, s0, s7
	s_and_b32 s27, s25, -8
	s_lshl_b64 s[28:29], s[28:29], 2
	s_lshl_b64 s[30:31], s[14:15], 2
	s_add_u32 s17, s28, s30
	s_addc_u32 s23, s29, s31
	s_add_u32 s17, s12, s17
	v_lshlrev_b32_e32 v1, 2, v0
	s_addc_u32 s23, s13, s23
	v_mov_b32_e32 v2, s23
	v_add_co_u32_e32 v1, vcc, s17, v1
	v_addc_co_u32_e32 v3, vcc, 0, v2, vcc
	v_add_co_u32_e32 v2, vcc, 56, v1
	v_addc_co_u32_e32 v3, vcc, 0, v3, vcc
	s_mov_b32 s17, 1
	s_mov_b32 s24, 0
	;; [unrolled: 1-line block ×3, first 2 shown]
.LBB42_4:                               ; =>This Inner Loop Header: Depth=1
	global_load_dwordx4 v[4:7], v[2:3], off offset:-56
	global_load_dwordx4 v[8:11], v[2:3], off offset:-40
	;; [unrolled: 1-line block ×4, first 2 shown]
	s_lshl_b32 s28, s23, 6
	s_lshl_b32 s29, s17, 6
	s_add_i32 s24, s24, 16
	s_add_i32 s17, s17, 16
	;; [unrolled: 1-line block ×3, first 2 shown]
	s_add_i32 s27, s27, -8
	v_add_co_u32_e32 v2, vcc, 64, v2
	v_or_b32_e32 v1, s29, v0
	v_or_b32_e32 v20, s28, v0
	s_add_i32 s30, s28, 0x80
	s_add_i32 s31, s29, 0x80
	;; [unrolled: 1-line block ×12, first 2 shown]
	s_addk_i32 s28, 0x380
	s_addk_i32 s29, 0x380
	v_addc_co_u32_e32 v3, vcc, 0, v3, vcc
	v_lshlrev_b32_e32 v20, 2, v20
	v_or_b32_e32 v21, s31, v0
	v_or_b32_e32 v22, s30, v0
	;; [unrolled: 1-line block ×14, first 2 shown]
	s_cmp_lg_u32 s27, 0
	v_lshlrev_b32_e32 v1, 2, v1
	v_lshlrev_b32_e32 v22, 2, v22
	;; [unrolled: 1-line block ×15, first 2 shown]
	s_waitcnt vmcnt(3)
	ds_write_b32 v20, v4
	ds_write_b32 v1, v5
	ds_write_b32 v22, v6
	ds_write_b32 v21, v7
	s_waitcnt vmcnt(2)
	ds_write_b32 v24, v8
	ds_write_b32 v23, v9
	ds_write_b32 v26, v10
	ds_write_b32 v25, v11
	;; [unrolled: 5-line block ×4, first 2 shown]
	s_cbranch_scc1 .LBB42_4
.LBB42_5:
	s_and_b32 s27, s25, 7
	s_cmp_eq_u32 s27, 0
	s_mov_b32 s25, 0
	s_cbranch_scc1 .LBB42_8
; %bb.6:
	s_mul_i32 s28, s1, s7
	s_mul_hi_u32 s29, s0, s7
	s_add_i32 s29, s29, s28
	s_mul_i32 s28, s0, s7
	s_lshl_b64 s[28:29], s[28:29], 2
	s_lshl_b64 s[30:31], s[14:15], 2
	s_add_u32 s28, s28, s30
	s_addc_u32 s29, s29, s31
	s_lshl_b64 s[24:25], s[24:25], 2
	s_add_u32 s24, s12, s24
	s_addc_u32 s25, s13, s25
	s_add_u32 s24, s24, s28
	v_lshlrev_b32_e32 v1, 2, v0
	s_addc_u32 s25, s25, s29
	v_mov_b32_e32 v3, s25
	v_add_co_u32_e32 v2, vcc, s24, v1
	v_addc_co_u32_e32 v3, vcc, 0, v3, vcc
	s_lshl_b32 s24, s27, 3
.LBB42_7:                               ; =>This Inner Loop Header: Depth=1
	global_load_dwordx2 v[4:5], v[2:3], off
	v_lshl_or_b32 v6, s23, 8, v1
	v_lshl_or_b32 v7, s17, 8, v1
	s_add_i32 s17, s17, 2
	s_add_i32 s23, s23, 2
	v_add_co_u32_e32 v2, vcc, 8, v2
	s_add_i32 s24, s24, -8
	v_addc_co_u32_e32 v3, vcc, 0, v3, vcc
	s_cmp_lg_u32 s24, 0
	s_waitcnt vmcnt(0)
	ds_write_b32 v6, v4
	ds_write_b32 v7, v5
	s_cbranch_scc1 .LBB42_7
.LBB42_8:
	s_and_b32 s27, s26, -2
	s_cmp_lg_u32 s26, s27
	s_cselect_b64 s[24:25], -1, 0
.LBB42_9:
	s_and_b64 vcc, exec, s[24:25]
	s_cbranch_vccz .LBB42_12
; %bb.10:
	s_ashr_i32 s23, s22, 31
	s_mul_i32 s1, s1, s7
	s_mul_hi_u32 s17, s0, s7
	s_add_i32 s1, s17, s1
	s_mul_hi_u32 s17, s22, s27
	s_mul_i32 s24, s23, s27
	s_mul_i32 s0, s0, s7
	s_add_i32 s25, s17, s24
	s_mul_i32 s24, s22, s27
	s_lshl_b64 s[0:1], s[0:1], 2
	s_lshl_b64 s[24:25], s[24:25], 2
	s_add_u32 s17, s0, s24
	s_addc_u32 s24, s1, s25
	s_lshl_b64 s[0:1], s[14:15], 2
	s_add_u32 s0, s17, s0
	s_addc_u32 s1, s24, s1
	s_add_u32 s0, s12, s0
	v_lshlrev_b32_e32 v1, 2, v0
	s_addc_u32 s1, s13, s1
	v_mov_b32_e32 v3, s1
	v_add_co_u32_e32 v2, vcc, s0, v1
	s_lshl_b64 s[0:1], s[22:23], 2
	v_addc_co_u32_e32 v3, vcc, 0, v3, vcc
	v_lshl_or_b32 v1, s27, 8, v1
	s_sub_i32 s12, s26, s27
	v_mov_b32_e32 v4, s1
.LBB42_11:                              ; =>This Inner Loop Header: Depth=1
	global_load_dword v5, v[2:3], off
	v_add_co_u32_e32 v2, vcc, s0, v2
	s_add_i32 s12, s12, -1
	v_addc_co_u32_e32 v3, vcc, v3, v4, vcc
	s_cmp_eq_u32 s12, 0
	s_waitcnt vmcnt(0)
	ds_write_b32 v1, v5
	v_add_u32_e32 v1, 0x100, v1
	s_cbranch_scc0 .LBB42_11
.LBB42_12:
	v_mul_u32_u24_e32 v1, 0x41, v0
	s_cmpk_lg_i32 s9, 0x84
	v_lshlrev_b32_e32 v1, 2, v1
	v_mov_b32_e32 v2, 1.0
	s_cbranch_scc0 .LBB42_14
; %bb.13:
	ds_read_b32 v2, v1
	s_waitcnt lgkmcnt(0)
	v_div_scale_f32 v3, s[0:1], v2, v2, 1.0
	v_rcp_f32_e32 v4, v3
	v_div_scale_f32 v5, vcc, 1.0, v2, 1.0
	v_fma_f32 v6, -v3, v4, 1.0
	v_fmac_f32_e32 v4, v6, v4
	v_mul_f32_e32 v6, v5, v4
	v_fma_f32 v7, -v3, v6, v5
	v_fmac_f32_e32 v6, v7, v4
	v_fma_f32 v3, -v3, v6, v5
	v_div_fmas_f32 v3, v3, v4, v6
	v_div_fixup_f32 v2, v3, v2, 1.0
.LBB42_14:
	ds_write_b32 v1, v2
.LBB42_15:
	s_or_b64 exec, exec, s[20:21]
	s_load_dword s0, s[4:5], 0x60
	s_lshl_b32 s9, s6, 6
	s_sub_i32 s1, s11, s9
	s_waitcnt lgkmcnt(0)
	; wave barrier
	s_waitcnt lgkmcnt(0)
	s_add_i32 s0, s0, -1
	s_cmp_ge_u32 s6, s0
	s_cselect_b32 s0, s1, 64
	v_cmp_gt_i32_e32 vcc, s0, v0
	s_and_saveexec_b64 s[0:1], vcc
	s_cbranch_execz .LBB42_82
; %bb.16:
	s_load_dwordx2 s[0:1], s[4:5], 0x50
	s_load_dword s6, s[4:5], 0x48
	v_add_u32_e32 v0, s9, v0
	s_waitcnt lgkmcnt(0)
	s_mul_i32 s1, s7, s1
	s_mul_hi_u32 s4, s7, s0
	s_mul_i32 s0, s7, s0
	s_add_i32 s1, s4, s1
	s_lshl_b64 s[0:1], s[0:1], 2
	s_add_u32 s7, s2, s0
	s_addc_u32 s11, s3, s1
	s_lshl_b64 s[4:5], s[18:19], 2
	s_add_u32 s12, s7, s4
	v_mad_i64_i32 v[0:1], s[6:7], s6, v0, 0
	s_addc_u32 s11, s11, s5
	v_lshlrev_b64 v[36:37], 2, v[0:1]
	v_mov_b32_e32 v0, s11
	v_add_co_u32_e32 v34, vcc, s12, v36
	v_addc_co_u32_e32 v35, vcc, v0, v37, vcc
	s_cmpk_eq_i32 s8, 0x6f
	s_mov_b64 s[6:7], -1
	s_cbranch_scc1 .LBB42_50
; %bb.17:
	s_cmp_lt_i32 s10, 32
	s_mov_b32 s8, 0
	s_cbranch_scc1 .LBB42_24
; %bb.18:
	s_mov_b32 s17, s16
	s_mov_b32 s7, 0
	;; [unrolled: 1-line block ×4, first 2 shown]
.LBB42_19:                              ; =>This Loop Header: Depth=1
                                        ;     Child Loop BB42_21 Depth 2
	s_lshl_b64 s[12:13], s[6:7], 2
	v_mov_b32_e32 v0, s13
	v_add_co_u32_e32 v38, vcc, s12, v34
	v_addc_co_u32_e32 v39, vcc, v35, v0, vcc
	global_load_dwordx4 v[0:3], v[38:39], off
	global_load_dwordx4 v[4:7], v[38:39], off offset:16
	global_load_dwordx4 v[8:11], v[38:39], off offset:32
	;; [unrolled: 1-line block ×7, first 2 shown]
	s_cmp_eq_u32 s6, 0
	s_waitcnt vmcnt(7)
	v_pk_mul_f32 v[0:1], v[0:1], s[16:17]
	v_pk_mul_f32 v[2:3], v[2:3], s[16:17]
	s_waitcnt vmcnt(6)
	v_pk_mul_f32 v[4:5], v[4:5], s[16:17]
	v_pk_mul_f32 v[6:7], v[6:7], s[16:17]
	;; [unrolled: 3-line block ×8, first 2 shown]
	s_cbranch_scc1 .LBB42_22
; %bb.20:                               ;   in Loop: Header=BB42_19 Depth=1
	s_mov_b32 s8, 0
	v_pk_mov_b32 v[14:15], v[34:35], v[34:35] op_sel:[0,1]
	s_mov_b32 s11, s9
.LBB42_21:                              ;   Parent Loop BB42_19 Depth=1
                                        ; =>  This Inner Loop Header: Depth=2
	global_load_dword v16, v[14:15], off
	v_mov_b32_e32 v17, s11
	ds_read2st64_b32 v[20:21], v17 offset1:1
	ds_read2st64_b32 v[22:23], v17 offset0:2 offset1:3
	ds_read2st64_b32 v[24:25], v17 offset0:4 offset1:5
	;; [unrolled: 1-line block ×15, first 2 shown]
	s_add_i32 s8, s8, 1
	s_add_i32 s11, s11, 4
	v_add_co_u32_e32 v14, vcc, 4, v14
	v_addc_co_u32_e32 v15, vcc, 0, v15, vcc
	s_cmp_lt_u32 s8, s6
	s_waitcnt vmcnt(0) lgkmcnt(14)
	v_pk_fma_f32 v[0:1], v[16:17], v[20:21], v[0:1] op_sel_hi:[0,1,1] neg_lo:[1,0,0] neg_hi:[1,0,0]
	v_pk_fma_f32 v[2:3], v[16:17], v[22:23], v[2:3] op_sel_hi:[0,1,1] neg_lo:[1,0,0] neg_hi:[1,0,0]
	s_waitcnt lgkmcnt(13)
	v_pk_fma_f32 v[4:5], v[16:17], v[24:25], v[4:5] op_sel_hi:[0,1,1] neg_lo:[1,0,0] neg_hi:[1,0,0]
	s_waitcnt lgkmcnt(12)
	;; [unrolled: 2-line block ×14, first 2 shown]
	v_pk_fma_f32 v[40:41], v[16:17], v[72:73], v[40:41] op_sel_hi:[0,1,1] neg_lo:[1,0,0] neg_hi:[1,0,0]
	s_cbranch_scc1 .LBB42_21
.LBB42_22:                              ;   in Loop: Header=BB42_19 Depth=1
	s_mul_i32 s8, s6, 0x104
	v_mov_b32_e32 v30, s8
	s_lshl_b32 s8, s6, 6
	s_add_i32 s8, s6, s8
	s_lshl_b32 s8, s8, 2
	v_mov_b32_e32 v56, s8
	ds_read_b32 v20, v30
	ds_read2_b64 v[14:17], v56 offset0:32 offset1:162
	ds_read_b96 v[24:26], v56 offset:512
	s_or_b32 s8, s6, 16
	s_lshl_b32 s11, s8, 6
	s_waitcnt lgkmcnt(2)
	v_mul_f32_e32 v0, v20, v0
	ds_read_b128 v[20:23], v56 offset:768
	s_waitcnt lgkmcnt(2)
	v_fma_f32 v1, -v0, v14, v1
	v_mul_f32_e32 v1, v15, v1
	s_waitcnt lgkmcnt(1)
	v_fma_f32 v2, -v0, v24, v2
	v_fma_f32 v2, -v1, v25, v2
	v_mul_f32_e32 v2, v26, v2
	ds_read_b128 v[24:27], v56 offset:1024
	s_waitcnt lgkmcnt(1)
	v_fma_f32 v3, -v0, v20, v3
	v_fma_f32 v3, -v1, v21, v3
	;; [unrolled: 1-line block ×3, first 2 shown]
	v_mul_f32_e32 v3, v23, v3
	ds_read_b128 v[20:23], v56 offset:1280
	s_waitcnt lgkmcnt(1)
	v_fma_f32 v4, -v0, v24, v4
	v_add_u32_e32 v14, 0x400, v30
	ds_read2_b32 v[28:29], v14 offset0:4 offset1:134
	v_fma_f32 v4, -v1, v25, v4
	v_fma_f32 v4, -v2, v26, v4
	v_fma_f32 v4, -v3, v27, v4
	ds_read_b128 v[24:27], v56 offset:1536
	s_waitcnt lgkmcnt(2)
	v_fma_f32 v5, -v0, v20, v5
	v_fma_f32 v5, -v1, v21, v5
	;; [unrolled: 1-line block ×3, first 2 shown]
	s_waitcnt lgkmcnt(1)
	v_mul_f32_e32 v4, v28, v4
	v_fma_f32 v5, -v3, v23, v5
	v_fma_f32 v5, -v4, v16, v5
	ds_read_b64 v[20:21], v56 offset:1552
	v_mul_f32_e32 v5, v17, v5
	ds_read_b128 v[14:17], v56 offset:1792
	s_waitcnt lgkmcnt(2)
	v_fma_f32 v6, -v0, v24, v6
	v_fma_f32 v6, -v1, v25, v6
	;; [unrolled: 1-line block ×4, first 2 shown]
	s_waitcnt lgkmcnt(1)
	v_fma_f32 v6, -v4, v20, v6
	v_fma_f32 v6, -v5, v21, v6
	s_waitcnt lgkmcnt(0)
	v_fma_f32 v7, -v0, v14, v7
	ds_read_b96 v[20:22], v56 offset:1808
	v_fma_f32 v7, -v1, v15, v7
	global_store_dwordx4 v[38:39], v[0:3], off
	v_fma_f32 v7, -v2, v16, v7
	v_add_u32_e32 v14, 0x600, v30
	v_fma_f32 v7, -v3, v17, v7
	ds_read2_b32 v[24:25], v14 offset0:71 offset1:136
	ds_read_b128 v[14:17], v56 offset:2048
	s_waitcnt lgkmcnt(2)
	v_fma_f32 v7, -v4, v20, v7
	v_mul_f32_e32 v6, v29, v6
	v_fma_f32 v7, -v5, v21, v7
	v_fma_f32 v7, -v6, v22, v7
	ds_read_b128 v[20:23], v56 offset:2064
	s_waitcnt lgkmcnt(1)
	v_fma_f32 v8, -v0, v14, v8
	v_fma_f32 v8, -v1, v15, v8
	;; [unrolled: 1-line block ×4, first 2 shown]
	ds_read_b128 v[14:17], v56 offset:2304
	s_waitcnt lgkmcnt(1)
	v_fma_f32 v8, -v4, v20, v8
	v_fma_f32 v8, -v5, v21, v8
	v_mul_f32_e32 v7, v24, v7
	v_fma_f32 v8, -v6, v22, v8
	v_fma_f32 v8, -v7, v23, v8
	ds_read_b128 v[20:23], v56 offset:2320
	ds_read_b32 v26, v56 offset:2336
	s_waitcnt lgkmcnt(2)
	v_fma_f32 v9, -v0, v14, v9
	v_fma_f32 v9, -v1, v15, v9
	;; [unrolled: 1-line block ×3, first 2 shown]
	v_add_u32_e32 v14, 0x800, v30
	v_mul_f32_e32 v8, v25, v8
	v_fma_f32 v9, -v3, v17, v9
	ds_read2_b32 v[24:25], v14 offset0:73 offset1:138
	ds_read_b128 v[14:17], v56 offset:2560
	s_waitcnt lgkmcnt(3)
	v_fma_f32 v9, -v4, v20, v9
	v_fma_f32 v9, -v5, v21, v9
	;; [unrolled: 1-line block ×4, first 2 shown]
	ds_read_b128 v[20:23], v56 offset:2576
	s_waitcnt lgkmcnt(1)
	v_fma_f32 v10, -v0, v14, v10
	v_fma_f32 v10, -v1, v15, v10
	;; [unrolled: 1-line block ×5, first 2 shown]
	ds_read_b64 v[26:27], v56 offset:2592
	ds_read_b128 v[14:17], v56 offset:2816
	s_waitcnt lgkmcnt(2)
	v_fma_f32 v10, -v4, v20, v10
	v_fma_f32 v10, -v5, v21, v10
	;; [unrolled: 1-line block ×4, first 2 shown]
	ds_read_b128 v[20:23], v56 offset:2832
	s_waitcnt lgkmcnt(1)
	v_fma_f32 v11, -v0, v14, v11
	v_fma_f32 v11, -v1, v15, v11
	v_mul_f32_e32 v9, v24, v9
	v_fma_f32 v10, -v8, v26, v10
	v_fma_f32 v11, -v2, v16, v11
	v_add_u32_e32 v14, 0xa00, v30
	v_fma_f32 v10, -v9, v27, v10
	v_fma_f32 v11, -v3, v17, v11
	ds_read2_b32 v[28:29], v14 offset0:75 offset1:140
	ds_read_b128 v[14:17], v56 offset:3072
	v_mul_f32_e32 v10, v25, v10
	ds_read_b96 v[24:26], v56 offset:2848
	s_waitcnt lgkmcnt(3)
	v_fma_f32 v11, -v4, v20, v11
	v_fma_f32 v11, -v5, v21, v11
	v_fma_f32 v11, -v6, v22, v11
	v_fma_f32 v11, -v7, v23, v11
	ds_read_b128 v[20:23], v56 offset:3088
	s_waitcnt lgkmcnt(2)
	v_fma_f32 v12, -v0, v14, v12
	v_fma_f32 v12, -v1, v15, v12
	;; [unrolled: 1-line block ×4, first 2 shown]
	ds_read_b128 v[14:17], v56 offset:3104
	s_waitcnt lgkmcnt(1)
	v_fma_f32 v12, -v4, v20, v12
	v_fma_f32 v12, -v5, v21, v12
	;; [unrolled: 1-line block ×5, first 2 shown]
	ds_read_b128 v[20:23], v56 offset:3328
	v_fma_f32 v11, -v9, v25, v11
	s_waitcnt lgkmcnt(1)
	v_fma_f32 v12, -v8, v14, v12
	v_fma_f32 v11, -v10, v26, v11
	;; [unrolled: 1-line block ×3, first 2 shown]
	v_mul_f32_e32 v11, v28, v11
	v_fma_f32 v12, -v10, v16, v12
	v_fma_f32 v12, -v11, v17, v12
	ds_read_b128 v[14:17], v56 offset:3344
	s_waitcnt lgkmcnt(1)
	v_fma_f32 v13, -v0, v20, v13
	v_fma_f32 v13, -v1, v21, v13
	;; [unrolled: 1-line block ×4, first 2 shown]
	ds_read_b128 v[20:23], v56 offset:3360
	s_waitcnt lgkmcnt(1)
	v_fma_f32 v13, -v4, v14, v13
	v_fma_f32 v13, -v5, v15, v13
	;; [unrolled: 1-line block ×3, first 2 shown]
	global_store_dwordx4 v[38:39], v[4:7], off offset:16
	global_store_dwordx4 v[38:39], v[8:11], off offset:32
	v_fma_f32 v13, -v7, v17, v13
	v_add_u32_e32 v14, 0xc00, v30
	v_mul_f32_e32 v12, v29, v12
	s_waitcnt lgkmcnt(0)
	v_fma_f32 v13, -v8, v20, v13
	ds_read_b32 v20, v56 offset:3376
	ds_read2_b32 v[28:29], v14 offset0:77 offset1:142
	ds_read_b128 v[14:17], v56 offset:3584
	v_fma_f32 v13, -v9, v21, v13
	v_fma_f32 v13, -v10, v22, v13
	;; [unrolled: 1-line block ×3, first 2 shown]
	s_waitcnt lgkmcnt(2)
	v_fma_f32 v13, -v12, v20, v13
	ds_read_b128 v[20:23], v56 offset:3600
	ds_read_b128 v[24:27], v56 offset:3616
	s_waitcnt lgkmcnt(2)
	v_fma_f32 v14, -v0, v14, v18
	v_fma_f32 v14, -v1, v15, v14
	;; [unrolled: 1-line block ×4, first 2 shown]
	s_waitcnt lgkmcnt(1)
	v_fma_f32 v14, -v4, v20, v14
	v_fma_f32 v14, -v5, v21, v14
	;; [unrolled: 1-line block ×4, first 2 shown]
	s_waitcnt lgkmcnt(0)
	v_fma_f32 v18, -v8, v24, v14
	v_add_u32_e32 v14, 0xc00, v56
	ds_read2_b64 v[14:17], v14 offset0:70 offset1:168
	ds_read_b128 v[20:23], v56 offset:3840
	v_fma_f32 v18, -v9, v25, v18
	v_fma_f32 v18, -v10, v26, v18
	;; [unrolled: 1-line block ×3, first 2 shown]
	ds_read_b128 v[24:27], v56 offset:3856
	v_mul_f32_e32 v13, v28, v13
	s_waitcnt lgkmcnt(2)
	v_fma_f32 v14, -v12, v14, v18
	v_fma_f32 v14, -v13, v15, v14
	s_waitcnt lgkmcnt(1)
	v_fma_f32 v15, -v0, v20, v19
	v_fma_f32 v15, -v1, v21, v15
	;; [unrolled: 1-line block ×4, first 2 shown]
	ds_read_b128 v[18:21], v56 offset:3872
	s_waitcnt lgkmcnt(1)
	v_fma_f32 v15, -v4, v24, v15
	v_fma_f32 v15, -v5, v25, v15
	ds_read_b128 v[22:25], v56 offset:3888
	v_fma_f32 v15, -v6, v26, v15
	v_fma_f32 v15, -v7, v27, v15
	s_waitcnt lgkmcnt(1)
	v_fma_f32 v15, -v8, v18, v15
	s_add_i32 s11, s11, s6
	v_fma_f32 v15, -v9, v19, v15
	s_lshl_b32 s11, s11, 2
	v_fma_f32 v15, -v10, v20, v15
	v_mov_b32_e32 v57, s11
	v_mul_f32_e32 v14, v29, v14
	v_fma_f32 v15, -v11, v21, v15
	ds_read_b128 v[26:29], v57
	s_waitcnt lgkmcnt(1)
	v_fma_f32 v15, -v12, v22, v15
	v_fma_f32 v15, -v13, v23, v15
	;; [unrolled: 1-line block ×3, first 2 shown]
	v_mul_f32_e32 v15, v25, v15
	global_store_dwordx4 v[38:39], v[12:15], off offset:48
	s_waitcnt lgkmcnt(0)
	v_fma_f32 v26, -v0, v26, v54
	ds_read_b128 v[22:25], v57 offset:16
	ds_read_b128 v[18:21], v57 offset:32
	;; [unrolled: 1-line block ×3, first 2 shown]
	v_fma_f32 v26, -v1, v27, v26
	v_fma_f32 v26, -v2, v28, v26
	;; [unrolled: 1-line block ×3, first 2 shown]
	s_waitcnt lgkmcnt(2)
	v_fma_f32 v22, -v4, v22, v26
	v_fma_f32 v22, -v5, v23, v22
	;; [unrolled: 1-line block ×4, first 2 shown]
	s_waitcnt lgkmcnt(1)
	v_fma_f32 v18, -v8, v18, v22
	ds_read_b128 v[22:25], v57 offset:48
	v_fma_f32 v18, -v9, v19, v18
	v_fma_f32 v18, -v10, v20, v18
	;; [unrolled: 1-line block ×3, first 2 shown]
	s_mulk_i32 s8, 0x104
	v_mov_b32_e32 v19, s8
	s_waitcnt lgkmcnt(0)
	v_fma_f32 v18, -v12, v22, v18
	ds_read_b32 v19, v19
	v_fma_f32 v18, -v13, v23, v18
	ds_read_b128 v[20:23], v56 offset:4352
	v_fma_f32 v18, -v14, v24, v18
	v_fma_f32 v18, -v15, v25, v18
	s_waitcnt lgkmcnt(1)
	v_mul_f32_e32 v18, v19, v18
	ds_read_b128 v[24:27], v56 offset:4368
	ds_read_b128 v[58:61], v56 offset:4384
	;; [unrolled: 1-line block ×3, first 2 shown]
	s_waitcnt lgkmcnt(3)
	v_fma_f32 v19, -v0, v20, v55
	v_fma_f32 v19, -v1, v21, v19
	v_fma_f32 v19, -v2, v22, v19
	v_fma_f32 v19, -v3, v23, v19
	s_waitcnt lgkmcnt(2)
	v_fma_f32 v19, -v4, v24, v19
	v_fma_f32 v19, -v5, v25, v19
	v_fma_f32 v19, -v6, v26, v19
	v_fma_f32 v19, -v7, v27, v19
	;; [unrolled: 5-line block ×3, first 2 shown]
	s_waitcnt lgkmcnt(0)
	v_fma_f32 v19, -v12, v62, v19
	ds_read_b128 v[20:23], v56 offset:4608
	ds_read_b128 v[24:27], v56 offset:4624
	v_fma_f32 v19, -v13, v63, v19
	v_fma_f32 v19, -v14, v64, v19
	;; [unrolled: 1-line block ×4, first 2 shown]
	v_mul_f32_e32 v19, v17, v16
	s_waitcnt lgkmcnt(1)
	v_fma_f32 v16, -v0, v20, v52
	v_fma_f32 v16, -v1, v21, v16
	;; [unrolled: 1-line block ×4, first 2 shown]
	ds_read_b128 v[20:23], v56 offset:4640
	s_waitcnt lgkmcnt(1)
	v_fma_f32 v16, -v4, v24, v16
	v_fma_f32 v16, -v5, v25, v16
	;; [unrolled: 1-line block ×4, first 2 shown]
	ds_read_b128 v[24:27], v56 offset:4656
	s_waitcnt lgkmcnt(1)
	v_fma_f32 v16, -v8, v20, v16
	v_fma_f32 v16, -v9, v21, v16
	;; [unrolled: 1-line block ×4, first 2 shown]
	ds_read_b96 v[58:60], v56 offset:4672
	s_waitcnt lgkmcnt(1)
	v_fma_f32 v16, -v12, v24, v16
	v_fma_f32 v16, -v13, v25, v16
	ds_read_b128 v[22:25], v56 offset:4864
	v_fma_f32 v16, -v14, v26, v16
	v_fma_f32 v16, -v15, v27, v16
	s_waitcnt lgkmcnt(1)
	v_fma_f32 v16, -v18, v58, v16
	v_fma_f32 v16, -v19, v59, v16
	ds_read_b128 v[26:29], v56 offset:4880
	v_mul_f32_e32 v20, v60, v16
	s_waitcnt lgkmcnt(1)
	v_fma_f32 v16, -v0, v22, v53
	v_fma_f32 v16, -v1, v23, v16
	v_fma_f32 v16, -v2, v24, v16
	v_fma_f32 v16, -v3, v25, v16
	ds_read_b128 v[22:25], v56 offset:4896
	s_waitcnt lgkmcnt(1)
	v_fma_f32 v16, -v4, v26, v16
	v_fma_f32 v16, -v5, v27, v16
	v_fma_f32 v16, -v6, v28, v16
	v_fma_f32 v16, -v7, v29, v16
	ds_read_b128 v[26:29], v56 offset:4912
	;; [unrolled: 6-line block ×3, first 2 shown]
	s_waitcnt lgkmcnt(1)
	v_fma_f32 v16, -v12, v26, v16
	v_fma_f32 v16, -v13, v27, v16
	;; [unrolled: 1-line block ×4, first 2 shown]
	s_or_b32 s8, s6, 20
	s_waitcnt lgkmcnt(0)
	v_fma_f32 v16, -v18, v22, v16
	s_lshl_b32 s11, s8, 6
	v_fma_f32 v16, -v19, v23, v16
	s_add_i32 s11, s11, s6
	v_fma_f32 v16, -v20, v24, v16
	s_lshl_b32 s11, s11, 2
	v_mul_f32_e32 v21, v25, v16
	v_mov_b32_e32 v16, s11
	ds_read_b128 v[22:25], v16
	global_store_dwordx4 v[38:39], v[18:21], off offset:64
	ds_read_b128 v[26:29], v16 offset:16
	ds_read_b128 v[52:55], v16 offset:32
	;; [unrolled: 1-line block ×3, first 2 shown]
	s_mulk_i32 s8, 0x104
	s_addk_i32 s9, 0x2000
	s_waitcnt lgkmcnt(3)
	v_fma_f32 v17, -v0, v22, v50
	v_fma_f32 v17, -v1, v23, v17
	v_fma_f32 v17, -v2, v24, v17
	v_fma_f32 v17, -v3, v25, v17
	s_waitcnt lgkmcnt(2)
	v_fma_f32 v17, -v4, v26, v17
	v_fma_f32 v17, -v5, v27, v17
	v_fma_f32 v17, -v6, v28, v17
	v_fma_f32 v17, -v7, v29, v17
	;; [unrolled: 5-line block ×3, first 2 shown]
	ds_read_b128 v[22:25], v16 offset:64
	s_waitcnt lgkmcnt(1)
	v_fma_f32 v17, -v12, v58, v17
	v_fma_f32 v17, -v13, v59, v17
	;; [unrolled: 1-line block ×4, first 2 shown]
	s_waitcnt lgkmcnt(0)
	v_fma_f32 v16, -v18, v22, v16
	v_fma_f32 v16, -v19, v23, v16
	v_mov_b32_e32 v17, s8
	v_fma_f32 v16, -v20, v24, v16
	ds_read_b32 v17, v17
	v_fma_f32 v16, -v21, v25, v16
	ds_read_b128 v[24:27], v56 offset:5376
	ds_read_b128 v[52:55], v56 offset:5392
	;; [unrolled: 1-line block ×4, first 2 shown]
	s_or_b32 s8, s6, 24
	s_waitcnt lgkmcnt(4)
	v_mul_f32_e32 v22, v17, v16
	v_add_u32_e32 v17, 0x1400, v56
	s_waitcnt lgkmcnt(3)
	v_fma_f32 v16, -v0, v24, v51
	v_fma_f32 v16, -v1, v25, v16
	v_fma_f32 v16, -v2, v26, v16
	v_fma_f32 v16, -v3, v27, v16
	s_waitcnt lgkmcnt(2)
	v_fma_f32 v16, -v4, v52, v16
	v_fma_f32 v16, -v5, v53, v16
	v_fma_f32 v16, -v6, v54, v16
	v_fma_f32 v16, -v7, v55, v16
	;; [unrolled: 5-line block ×3, first 2 shown]
	ds_read_b128 v[24:27], v56 offset:5440
	s_waitcnt lgkmcnt(1)
	v_fma_f32 v16, -v12, v62, v16
	v_fma_f32 v16, -v13, v63, v16
	;; [unrolled: 1-line block ×4, first 2 shown]
	ds_read2_b64 v[50:53], v17 offset0:42 offset1:172
	ds_read_b128 v[58:61], v56 offset:5632
	s_waitcnt lgkmcnt(2)
	v_fma_f32 v16, -v18, v24, v16
	v_fma_f32 v16, -v19, v25, v16
	;; [unrolled: 1-line block ×4, first 2 shown]
	s_waitcnt lgkmcnt(1)
	v_fma_f32 v16, -v22, v50, v16
	ds_read_b128 v[24:27], v56 offset:5648
	v_mul_f32_e32 v23, v51, v16
	s_waitcnt lgkmcnt(1)
	v_fma_f32 v16, -v0, v58, v48
	v_fma_f32 v16, -v1, v59, v16
	v_fma_f32 v16, -v2, v60, v16
	v_fma_f32 v16, -v3, v61, v16
	ds_read_b128 v[58:61], v56 offset:5664
	s_waitcnt lgkmcnt(1)
	v_fma_f32 v16, -v4, v24, v16
	v_fma_f32 v16, -v5, v25, v16
	v_fma_f32 v16, -v6, v26, v16
	v_fma_f32 v16, -v7, v27, v16
	ds_read_b128 v[24:27], v56 offset:5680
	;; [unrolled: 6-line block ×3, first 2 shown]
	s_waitcnt lgkmcnt(1)
	v_fma_f32 v16, -v12, v24, v16
	v_fma_f32 v16, -v13, v25, v16
	;; [unrolled: 1-line block ×4, first 2 shown]
	ds_read_b96 v[62:64], v56 offset:5712
	ds_read_b128 v[26:29], v56 offset:5888
	s_waitcnt lgkmcnt(2)
	v_fma_f32 v16, -v18, v58, v16
	v_fma_f32 v16, -v19, v59, v16
	;; [unrolled: 1-line block ×4, first 2 shown]
	s_waitcnt lgkmcnt(1)
	v_fma_f32 v16, -v22, v62, v16
	v_fma_f32 v16, -v23, v63, v16
	v_mul_f32_e32 v24, v64, v16
	s_waitcnt lgkmcnt(0)
	v_fma_f32 v16, -v0, v26, v49
	ds_read_b128 v[48:51], v56 offset:5904
	v_fma_f32 v16, -v1, v27, v16
	v_fma_f32 v16, -v2, v28, v16
	v_fma_f32 v16, -v3, v29, v16
	ds_read_b128 v[26:29], v56 offset:5920
	s_waitcnt lgkmcnt(1)
	v_fma_f32 v16, -v4, v48, v16
	v_fma_f32 v16, -v5, v49, v16
	v_fma_f32 v16, -v6, v50, v16
	v_fma_f32 v16, -v7, v51, v16
	ds_read_b128 v[48:51], v56 offset:5936
	s_waitcnt lgkmcnt(1)
	v_fma_f32 v16, -v8, v26, v16
	;; [unrolled: 6-line block ×4, first 2 shown]
	v_fma_f32 v16, -v19, v27, v16
	v_fma_f32 v16, -v20, v28, v16
	;; [unrolled: 1-line block ×3, first 2 shown]
	s_waitcnt lgkmcnt(0)
	v_fma_f32 v16, -v22, v48, v16
	s_lshl_b32 s11, s8, 6
	v_fma_f32 v16, -v23, v49, v16
	s_add_i32 s11, s11, s6
	v_fma_f32 v16, -v24, v50, v16
	s_lshl_b32 s11, s11, 2
	v_mul_f32_e32 v25, v51, v16
	v_mov_b32_e32 v16, s11
	ds_read_b128 v[26:29], v56 offset:6400
	ds_read_b128 v[48:51], v16
	global_store_dwordx4 v[38:39], v[22:25], off offset:80
	ds_read_b128 v[58:61], v16 offset:16
	ds_read_b128 v[62:65], v16 offset:32
	;; [unrolled: 1-line block ×3, first 2 shown]
	s_mulk_i32 s8, 0x104
	s_waitcnt lgkmcnt(3)
	v_fma_f32 v17, -v0, v48, v46
	v_fma_f32 v17, -v1, v49, v17
	v_fma_f32 v17, -v2, v50, v17
	v_fma_f32 v17, -v3, v51, v17
	s_waitcnt lgkmcnt(2)
	v_fma_f32 v17, -v4, v58, v17
	v_fma_f32 v17, -v5, v59, v17
	v_fma_f32 v17, -v6, v60, v17
	v_fma_f32 v17, -v7, v61, v17
	;; [unrolled: 5-line block ×3, first 2 shown]
	ds_read_b128 v[48:51], v16 offset:64
	ds_read_b128 v[58:61], v16 offset:80
	s_waitcnt lgkmcnt(2)
	v_fma_f32 v17, -v12, v66, v17
	v_fma_f32 v17, -v13, v67, v17
	;; [unrolled: 1-line block ×4, first 2 shown]
	s_waitcnt lgkmcnt(1)
	v_fma_f32 v16, -v18, v48, v17
	v_fma_f32 v16, -v19, v49, v16
	;; [unrolled: 1-line block ×3, first 2 shown]
	v_mov_b32_e32 v17, s8
	v_fma_f32 v16, -v21, v51, v16
	s_or_b32 s8, s6, 28
	ds_read_b32 v17, v17
	s_waitcnt lgkmcnt(1)
	v_fma_f32 v16, -v22, v58, v16
	s_lshl_b32 s11, s8, 6
	v_fma_f32 v16, -v23, v59, v16
	s_add_i32 s11, s11, s6
	v_fma_f32 v16, -v24, v60, v16
	s_lshl_b32 s11, s11, 2
	v_fma_f32 v16, -v25, v61, v16
	v_mov_b32_e32 v57, s11
	ds_read_b128 v[48:51], v57
	s_waitcnt lgkmcnt(1)
	v_mul_f32_e32 v58, v17, v16
	ds_read_b128 v[60:63], v56 offset:6416
	ds_read_b128 v[64:67], v56 offset:6432
	v_fma_f32 v16, -v0, v26, v47
	v_fma_f32 v16, -v1, v27, v16
	;; [unrolled: 1-line block ×4, first 2 shown]
	s_waitcnt lgkmcnt(1)
	v_fma_f32 v16, -v4, v60, v16
	v_fma_f32 v16, -v5, v61, v16
	;; [unrolled: 1-line block ×4, first 2 shown]
	ds_read_b128 v[26:29], v56 offset:6448
	ds_read_b128 v[60:63], v56 offset:6464
	s_waitcnt lgkmcnt(2)
	v_fma_f32 v16, -v8, v64, v16
	v_fma_f32 v16, -v9, v65, v16
	;; [unrolled: 1-line block ×4, first 2 shown]
	s_waitcnt lgkmcnt(1)
	v_fma_f32 v16, -v12, v26, v16
	v_fma_f32 v16, -v13, v27, v16
	;; [unrolled: 1-line block ×4, first 2 shown]
	ds_read_b128 v[26:29], v56 offset:6480
	s_waitcnt lgkmcnt(1)
	v_fma_f32 v16, -v18, v60, v16
	v_fma_f32 v16, -v19, v61, v16
	;; [unrolled: 1-line block ×4, first 2 shown]
	ds_read_b128 v[60:63], v56 offset:6656
	s_waitcnt lgkmcnt(1)
	v_fma_f32 v16, -v22, v26, v16
	v_fma_f32 v16, -v23, v27, v16
	;; [unrolled: 1-line block ×5, first 2 shown]
	ds_read_b128 v[26:29], v56 offset:6672
	v_mul_f32_e32 v59, v53, v16
	ds_read_b128 v[52:55], v56 offset:6688
	s_waitcnt lgkmcnt(2)
	v_fma_f32 v16, -v0, v60, v44
	v_fma_f32 v16, -v1, v61, v16
	;; [unrolled: 1-line block ×4, first 2 shown]
	s_waitcnt lgkmcnt(1)
	v_fma_f32 v16, -v4, v26, v16
	v_fma_f32 v16, -v5, v27, v16
	v_fma_f32 v16, -v6, v28, v16
	v_fma_f32 v16, -v7, v29, v16
	ds_read_b128 v[26:29], v56 offset:6704
	s_waitcnt lgkmcnt(1)
	v_fma_f32 v16, -v8, v52, v16
	v_fma_f32 v16, -v9, v53, v16
	v_fma_f32 v16, -v10, v54, v16
	v_fma_f32 v16, -v11, v55, v16
	ds_read_b128 v[52:55], v56 offset:6720
	;; [unrolled: 6-line block ×3, first 2 shown]
	s_waitcnt lgkmcnt(1)
	v_fma_f32 v16, -v18, v52, v16
	v_fma_f32 v16, -v19, v53, v16
	;; [unrolled: 1-line block ×3, first 2 shown]
	ds_read_b96 v[52:54], v56 offset:6752
	v_fma_f32 v16, -v21, v55, v16
	s_waitcnt lgkmcnt(1)
	v_fma_f32 v16, -v22, v26, v16
	v_fma_f32 v16, -v23, v27, v16
	;; [unrolled: 1-line block ×4, first 2 shown]
	ds_read_b128 v[26:29], v56 offset:6912
	s_waitcnt lgkmcnt(1)
	v_fma_f32 v16, -v58, v52, v16
	v_fma_f32 v16, -v59, v53, v16
	v_mul_f32_e32 v60, v54, v16
	ds_read_b128 v[52:55], v56 offset:6928
	s_waitcnt lgkmcnt(1)
	v_fma_f32 v16, -v0, v26, v45
	v_fma_f32 v16, -v1, v27, v16
	;; [unrolled: 1-line block ×4, first 2 shown]
	ds_read_b128 v[26:29], v56 offset:6944
	ds_read_b128 v[44:47], v56 offset:6960
	s_waitcnt lgkmcnt(2)
	v_fma_f32 v16, -v4, v52, v16
	v_fma_f32 v16, -v5, v53, v16
	v_fma_f32 v16, -v6, v54, v16
	v_fma_f32 v16, -v7, v55, v16
	s_waitcnt lgkmcnt(1)
	v_fma_f32 v16, -v8, v26, v16
	v_fma_f32 v16, -v9, v27, v16
	v_fma_f32 v16, -v10, v28, v16
	v_fma_f32 v16, -v11, v29, v16
	ds_read_b128 v[26:29], v56 offset:6976
	s_waitcnt lgkmcnt(1)
	v_fma_f32 v16, -v12, v44, v16
	v_fma_f32 v16, -v13, v45, v16
	v_fma_f32 v16, -v14, v46, v16
	v_fma_f32 v16, -v15, v47, v16
	ds_read_b128 v[44:47], v56 offset:6992
	;; [unrolled: 6-line block ×4, first 2 shown]
	s_waitcnt lgkmcnt(1)
	v_fma_f32 v16, -v58, v26, v16
	v_fma_f32 v16, -v59, v27, v16
	v_fma_f32 v16, -v60, v28, v16
	v_mul_f32_e32 v61, v29, v16
	global_store_dwordx4 v[38:39], v[58:61], off offset:96
	ds_read_b128 v[26:29], v57 offset:16
	ds_read_b128 v[52:55], v57 offset:32
	v_fma_f32 v16, -v0, v48, v42
	v_fma_f32 v16, -v1, v49, v16
	;; [unrolled: 1-line block ×4, first 2 shown]
	s_waitcnt lgkmcnt(1)
	v_fma_f32 v16, -v4, v26, v16
	v_fma_f32 v16, -v5, v27, v16
	;; [unrolled: 1-line block ×4, first 2 shown]
	ds_read_b128 v[26:29], v57 offset:48
	s_waitcnt lgkmcnt(1)
	v_fma_f32 v16, -v8, v52, v16
	v_fma_f32 v16, -v9, v53, v16
	;; [unrolled: 1-line block ×3, first 2 shown]
	s_mulk_i32 s8, 0x104
	v_fma_f32 v16, -v11, v55, v16
	ds_read_b128 v[48:51], v57 offset:64
	v_mov_b32_e32 v17, s8
	ds_read_b32 v17, v17
	s_waitcnt lgkmcnt(2)
	v_fma_f32 v16, -v12, v26, v16
	v_fma_f32 v16, -v13, v27, v16
	;; [unrolled: 1-line block ×4, first 2 shown]
	ds_read_b128 v[26:29], v57 offset:80
	s_waitcnt lgkmcnt(2)
	v_fma_f32 v16, -v18, v48, v16
	v_fma_f32 v16, -v19, v49, v16
	;; [unrolled: 1-line block ×4, first 2 shown]
	ds_read_b128 v[48:51], v57 offset:96
	s_waitcnt lgkmcnt(1)
	v_fma_f32 v16, -v22, v26, v16
	v_fma_f32 v16, -v23, v27, v16
	;; [unrolled: 1-line block ×4, first 2 shown]
	s_waitcnt lgkmcnt(0)
	v_fma_f32 v16, -v58, v48, v16
	v_fma_f32 v16, -v59, v49, v16
	;; [unrolled: 1-line block ×4, first 2 shown]
	v_mul_f32_e32 v26, v17, v16
	ds_read_b128 v[48:51], v56 offset:7440
	ds_read_b128 v[52:55], v56 offset:7456
	v_fma_f32 v16, -v0, v44, v43
	v_fma_f32 v16, -v1, v45, v16
	;; [unrolled: 1-line block ×4, first 2 shown]
	s_waitcnt lgkmcnt(1)
	v_fma_f32 v16, -v4, v48, v16
	v_fma_f32 v16, -v5, v49, v16
	;; [unrolled: 1-line block ×4, first 2 shown]
	ds_read_b128 v[42:45], v56 offset:7472
	ds_read_b128 v[46:49], v56 offset:7488
	s_waitcnt lgkmcnt(2)
	v_fma_f32 v16, -v8, v52, v16
	v_fma_f32 v16, -v9, v53, v16
	;; [unrolled: 1-line block ×4, first 2 shown]
	s_waitcnt lgkmcnt(1)
	v_fma_f32 v16, -v12, v42, v16
	v_fma_f32 v16, -v13, v43, v16
	;; [unrolled: 1-line block ×4, first 2 shown]
	ds_read_b128 v[42:45], v56 offset:7504
	s_waitcnt lgkmcnt(1)
	v_fma_f32 v16, -v18, v46, v16
	v_fma_f32 v16, -v19, v47, v16
	;; [unrolled: 1-line block ×4, first 2 shown]
	ds_read_b128 v[46:49], v56 offset:7520
	s_waitcnt lgkmcnt(1)
	v_fma_f32 v16, -v22, v42, v16
	v_fma_f32 v16, -v23, v43, v16
	;; [unrolled: 1-line block ×4, first 2 shown]
	s_waitcnt lgkmcnt(0)
	v_fma_f32 v27, -v58, v46, v16
	ds_read_b64 v[16:17], v56 offset:7536
	ds_read_b128 v[42:45], v56 offset:7680
	v_fma_f32 v27, -v59, v47, v27
	v_fma_f32 v27, -v60, v48, v27
	;; [unrolled: 1-line block ×3, first 2 shown]
	s_waitcnt lgkmcnt(1)
	v_fma_f32 v16, -v26, v16, v27
	ds_read_b128 v[46:49], v56 offset:7696
	v_mul_f32_e32 v27, v17, v16
	s_waitcnt lgkmcnt(1)
	v_fma_f32 v16, -v0, v42, v40
	v_fma_f32 v16, -v1, v43, v16
	v_fma_f32 v16, -v2, v44, v16
	v_fma_f32 v16, -v3, v45, v16
	ds_read_b128 v[42:45], v56 offset:7712
	s_waitcnt lgkmcnt(1)
	v_fma_f32 v16, -v4, v46, v16
	v_fma_f32 v16, -v5, v47, v16
	v_fma_f32 v16, -v6, v48, v16
	v_fma_f32 v16, -v7, v49, v16
	ds_read_b128 v[46:49], v56 offset:7728
	;; [unrolled: 6-line block ×5, first 2 shown]
	s_waitcnt lgkmcnt(1)
	v_fma_f32 v16, -v22, v46, v16
	v_fma_f32 v16, -v23, v47, v16
	;; [unrolled: 1-line block ×4, first 2 shown]
	ds_read_b96 v[50:52], v56 offset:7792
	ds_read_b128 v[46:49], v56 offset:7936
	s_waitcnt lgkmcnt(2)
	v_fma_f32 v16, -v58, v42, v16
	v_fma_f32 v16, -v59, v43, v16
	;; [unrolled: 1-line block ×4, first 2 shown]
	s_waitcnt lgkmcnt(0)
	v_fma_f32 v0, -v0, v46, v41
	ds_read_b128 v[40:43], v56 offset:7952
	v_fma_f32 v16, -v26, v50, v16
	v_fma_f32 v0, -v1, v47, v0
	;; [unrolled: 1-line block ×4, first 2 shown]
	v_mul_f32_e32 v28, v52, v16
	v_fma_f32 v16, -v3, v49, v0
	ds_read_b128 v[0:3], v56 offset:7968
	s_waitcnt lgkmcnt(1)
	v_fma_f32 v4, -v4, v40, v16
	v_fma_f32 v4, -v5, v41, v4
	;; [unrolled: 1-line block ×4, first 2 shown]
	s_waitcnt lgkmcnt(0)
	v_fma_f32 v0, -v8, v0, v4
	ds_read_b128 v[4:7], v56 offset:7984
	v_fma_f32 v0, -v9, v1, v0
	v_fma_f32 v0, -v10, v2, v0
	;; [unrolled: 1-line block ×3, first 2 shown]
	ds_read_b128 v[0:3], v56 offset:8000
	s_waitcnt lgkmcnt(1)
	v_fma_f32 v4, -v12, v4, v8
	v_fma_f32 v4, -v13, v5, v4
	;; [unrolled: 1-line block ×4, first 2 shown]
	s_waitcnt lgkmcnt(0)
	v_fma_f32 v0, -v18, v0, v4
	ds_read_b128 v[4:7], v56 offset:8016
	v_fma_f32 v0, -v19, v1, v0
	v_fma_f32 v0, -v20, v2, v0
	;; [unrolled: 1-line block ×3, first 2 shown]
	ds_read_b128 v[0:3], v56 offset:8032
	s_waitcnt lgkmcnt(1)
	v_fma_f32 v4, -v22, v4, v8
	v_fma_f32 v4, -v23, v5, v4
	;; [unrolled: 1-line block ×4, first 2 shown]
	s_waitcnt lgkmcnt(0)
	v_fma_f32 v0, -v58, v0, v4
	v_fma_f32 v0, -v59, v1, v0
	;; [unrolled: 1-line block ×7, first 2 shown]
	s_add_i32 s8, s6, 32
	s_add_i32 s6, s6, 63
	v_mul_f32_e32 v29, v33, v0
	s_cmp_lt_i32 s6, s26
	global_store_dwordx4 v[38:39], v[26:29], off offset:112
	s_cbranch_scc0 .LBB42_24
; %bb.23:                               ;   in Loop: Header=BB42_19 Depth=1
	s_mov_b32 s6, s8
	s_branch .LBB42_19
.LBB42_24:
	s_cmp_lt_i32 s8, s26
	s_cbranch_scc0 .LBB42_49
; %bb.25:
	s_add_i32 s6, s8, 3
	s_cmp_ge_i32 s6, s26
	s_cbranch_scc1 .LBB42_37
; %bb.26:
	s_add_i32 s11, s8, -1
	s_lshl_b32 s12, s8, 8
	s_add_u32 s6, s2, s4
	s_addc_u32 s7, s3, s5
	s_add_u32 s6, s6, s0
	s_addc_u32 s7, s7, s1
	v_mov_b32_e32 v0, s7
	v_add_co_u32_e32 v10, vcc, s6, v36
	v_addc_co_u32_e32 v11, vcc, v0, v37, vcc
	v_add_co_u32_e32 v0, vcc, 28, v10
	s_mov_b32 s17, s16
	v_addc_co_u32_e32 v1, vcc, 0, v11, vcc
	s_mov_b32 s7, 0
	s_mov_b32 s14, s8
	;; [unrolled: 1-line block ×3, first 2 shown]
.LBB42_27:                              ; =>This Loop Header: Depth=1
                                        ;     Child Loop BB42_30 Depth 2
                                        ;     Child Loop BB42_34 Depth 2
	s_ashr_i32 s9, s8, 31
	s_lshl_b64 s[18:19], s[8:9], 2
	v_mov_b32_e32 v3, s19
	v_add_co_u32_e32 v2, vcc, s18, v34
	v_addc_co_u32_e32 v3, vcc, v35, v3, vcc
	global_load_dwordx4 v[6:9], v[2:3], off
	s_cmp_eq_u32 s8, 0
	s_waitcnt vmcnt(0)
	v_pk_mul_f32 v[6:7], v[6:7], s[16:17]
	v_pk_mul_f32 v[4:5], v[8:9], s[16:17]
	s_cbranch_scc1 .LBB42_35
; %bb.28:                               ;   in Loop: Header=BB42_27 Depth=1
	s_lshl_b32 s6, s13, 2
	s_add_i32 s6, s11, s6
	s_cmp_lt_u32 s6, 7
	s_cbranch_scc1 .LBB42_32
; %bb.29:                               ;   in Loop: Header=BB42_27 Depth=1
	s_and_b32 s6, s8, -8
	s_mov_b32 s9, 0
	v_pk_mov_b32 v[8:9], v[0:1], v[0:1] op_sel:[0,1]
	s_mov_b32 s15, s12
.LBB42_30:                              ;   Parent Loop BB42_27 Depth=1
                                        ; =>  This Inner Loop Header: Depth=2
	global_load_dwordx4 v[12:15], v[8:9], off offset:-28
	global_load_dwordx4 v[16:19], v[8:9], off offset:-12
	v_mov_b32_e32 v32, s15
	ds_read_b128 v[20:23], v32
	ds_read_b128 v[24:27], v32 offset:16
	ds_read_b128 v[28:31], v32 offset:256
	;; [unrolled: 1-line block ×7, first 2 shown]
	s_waitcnt lgkmcnt(7)
	v_mov_b32_e32 v32, v20
	s_waitcnt lgkmcnt(5)
	v_mov_b32_e32 v33, v28
	s_waitcnt lgkmcnt(3)
	v_mov_b32_e32 v58, v42
	s_waitcnt lgkmcnt(1)
	v_mov_b32_e32 v59, v50
	v_mov_b32_e32 v28, v21
	v_mov_b32_e32 v50, v43
	;; [unrolled: 1-line block ×12, first 2 shown]
	s_waitcnt lgkmcnt(0)
	v_mov_b32_e32 v45, v54
	v_mov_b32_e32 v38, v25
	;; [unrolled: 1-line block ×6, first 2 shown]
	s_add_i32 s9, s9, 8
	s_add_i32 s15, s15, 32
	v_add_co_u32_e32 v8, vcc, 32, v8
	v_mov_b32_e32 v40, v27
	v_mov_b32_e32 v56, v49
	v_addc_co_u32_e32 v9, vcc, 0, v9, vcc
	s_cmp_lg_u32 s6, s9
	s_waitcnt vmcnt(1)
	v_pk_fma_f32 v[6:7], v[12:13], v[32:33], v[6:7] op_sel_hi:[0,1,1] neg_lo:[1,0,0] neg_hi:[1,0,0]
	v_pk_fma_f32 v[4:5], v[12:13], v[58:59], v[4:5] op_sel_hi:[0,1,1] neg_lo:[1,0,0] neg_hi:[1,0,0]
	v_pk_fma_f32 v[6:7], v[12:13], v[28:29], v[6:7] op_sel:[1,0,0] neg_lo:[1,0,0] neg_hi:[1,0,0]
	v_pk_fma_f32 v[4:5], v[12:13], v[50:51], v[4:5] op_sel:[1,0,0] neg_lo:[1,0,0] neg_hi:[1,0,0]
	v_mov_b32_e32 v26, v15
	v_pk_fma_f32 v[6:7], v[14:15], v[20:21], v[6:7] op_sel_hi:[0,1,1] neg_lo:[1,0,0] neg_hi:[1,0,0]
	v_pk_fma_f32 v[4:5], v[14:15], v[42:43], v[4:5] op_sel_hi:[0,1,1] neg_lo:[1,0,0] neg_hi:[1,0,0]
	;; [unrolled: 1-line block ×4, first 2 shown]
	s_waitcnt vmcnt(0)
	v_pk_fma_f32 v[6:7], v[16:17], v[22:23], v[6:7] op_sel_hi:[0,1,1] neg_lo:[1,0,0] neg_hi:[1,0,0]
	v_pk_fma_f32 v[4:5], v[16:17], v[44:45], v[4:5] op_sel_hi:[0,1,1] neg_lo:[1,0,0] neg_hi:[1,0,0]
	v_pk_fma_f32 v[6:7], v[16:17], v[38:39], v[6:7] op_sel:[1,0,0] neg_lo:[1,0,0] neg_hi:[1,0,0]
	v_pk_fma_f32 v[4:5], v[16:17], v[54:55], v[4:5] op_sel:[1,0,0] neg_lo:[1,0,0] neg_hi:[1,0,0]
	v_mov_b32_e32 v32, v19
	v_pk_fma_f32 v[6:7], v[18:19], v[24:25], v[6:7] op_sel_hi:[0,1,1] neg_lo:[1,0,0] neg_hi:[1,0,0]
	v_pk_fma_f32 v[4:5], v[18:19], v[46:47], v[4:5] op_sel_hi:[0,1,1] neg_lo:[1,0,0] neg_hi:[1,0,0]
	v_pk_fma_f32 v[6:7], v[32:33], v[40:41], v[6:7] op_sel_hi:[0,1,1] neg_lo:[1,0,0] neg_hi:[1,0,0]
	v_pk_fma_f32 v[4:5], v[32:33], v[56:57], v[4:5] op_sel_hi:[0,1,1] neg_lo:[1,0,0] neg_hi:[1,0,0]
	s_cbranch_scc1 .LBB42_30
; %bb.31:                               ;   in Loop: Header=BB42_27 Depth=1
	s_and_b32 s9, s8, 7
	s_cmp_eq_u32 s9, 0
	s_cbranch_scc0 .LBB42_33
	s_branch .LBB42_35
.LBB42_32:                              ;   in Loop: Header=BB42_27 Depth=1
	s_mov_b32 s6, 0
	s_and_b32 s9, s8, 7
	s_cmp_eq_u32 s9, 0
	s_cbranch_scc1 .LBB42_35
.LBB42_33:                              ;   in Loop: Header=BB42_27 Depth=1
	s_lshl_b64 s[18:19], s[6:7], 2
	v_mov_b32_e32 v9, s19
	v_add_co_u32_e32 v8, vcc, s18, v10
	s_and_b32 s9, s14, 7
	s_lshl_b32 s15, s6, 2
	v_addc_co_u32_e32 v9, vcc, v11, v9, vcc
.LBB42_34:                              ;   Parent Loop BB42_27 Depth=1
                                        ; =>  This Inner Loop Header: Depth=2
	global_load_dword v12, v[8:9], off
	s_add_i32 s6, s12, s15
	v_mov_b32_e32 v13, s6
	ds_read2st64_b32 v[14:15], v13 offset1:1
	ds_read2st64_b32 v[16:17], v13 offset0:2 offset1:3
	s_add_i32 s15, s15, 4
	v_add_co_u32_e32 v8, vcc, 4, v8
	s_add_i32 s9, s9, -1
	v_addc_co_u32_e32 v9, vcc, 0, v9, vcc
	s_cmp_lg_u32 s9, 0
	s_waitcnt vmcnt(0) lgkmcnt(1)
	v_pk_fma_f32 v[6:7], v[12:13], v[14:15], v[6:7] op_sel_hi:[0,1,1] neg_lo:[1,0,0] neg_hi:[1,0,0]
	s_waitcnt lgkmcnt(0)
	v_pk_fma_f32 v[4:5], v[12:13], v[16:17], v[4:5] op_sel_hi:[0,1,1] neg_lo:[1,0,0] neg_hi:[1,0,0]
	s_cbranch_scc1 .LBB42_34
.LBB42_35:                              ;   in Loop: Header=BB42_27 Depth=1
	s_mul_i32 s6, s8, 0x104
	v_mov_b32_e32 v8, s6
	s_lshl_b32 s6, s8, 6
	s_add_i32 s6, s6, s8
	s_lshl_b32 s6, s6, 2
	ds_read2_b32 v[8:9], v8 offset1:130
	v_mov_b32_e32 v18, s6
	ds_read2_b32 v[12:13], v18 offset0:64 offset1:65
	ds_read2_b32 v[14:15], v18 offset0:128 offset1:129
	;; [unrolled: 1-line block ×4, first 2 shown]
	s_add_i32 s6, s8, 4
	s_waitcnt lgkmcnt(4)
	v_mul_f32_e32 v6, v8, v6
	s_waitcnt lgkmcnt(2)
	v_fma_f32 v4, -v6, v14, v4
	v_fma_f32 v7, -v6, v12, v7
	v_mul_f32_e32 v7, v13, v7
	v_fma_f32 v4, -v7, v15, v4
	v_mul_f32_e32 v8, v9, v4
	s_waitcnt lgkmcnt(1)
	v_fma_f32 v4, -v6, v16, v5
	v_fma_f32 v4, -v7, v17, v4
	s_waitcnt lgkmcnt(0)
	v_fma_f32 v4, -v8, v18, v4
	v_mul_f32_e32 v9, v19, v4
	global_store_dwordx4 v[2:3], v[6:9], off
	s_add_i32 s8, s8, 7
	s_add_i32 s13, s13, 1
	s_addk_i32 s12, 0x400
	v_add_u16_e64 v2, s14, 4
	s_cmp_lt_i32 s8, s26
	v_readfirstlane_b32 s14, v2
	s_cbranch_scc0 .LBB42_38
; %bb.36:                               ;   in Loop: Header=BB42_27 Depth=1
	s_mov_b32 s8, s6
	s_branch .LBB42_27
.LBB42_37:
	s_mov_b32 s6, s8
.LBB42_38:
	s_cmp_ge_i32 s6, s26
	s_cbranch_scc1 .LBB42_49
; %bb.39:
	s_add_i32 s11, s6, -1
	s_lshl_b32 s12, s6, 8
	s_add_u32 s7, s2, s4
	s_addc_u32 s8, s3, s5
	s_add_u32 s7, s7, s0
	s_addc_u32 s8, s8, s1
	v_mov_b32_e32 v0, s8
	v_add_co_u32_e32 v6, vcc, s7, v36
	v_addc_co_u32_e32 v7, vcc, v0, v37, vcc
	v_add_co_u32_e32 v0, vcc, 28, v6
	v_addc_co_u32_e32 v1, vcc, 0, v7, vcc
	s_mov_b32 s9, 0
	s_mov_b32 s14, s6
	;; [unrolled: 1-line block ×3, first 2 shown]
	s_branch .LBB42_41
.LBB42_40:                              ;   in Loop: Header=BB42_41 Depth=1
	s_mul_i32 s7, s6, 0x104
	v_mov_b32_e32 v4, s7
	ds_read_b32 v4, v4
	s_add_i32 s6, s6, 1
	s_add_i32 s13, s13, 1
	s_addk_i32 s12, 0x100
	v_add_u16_e64 v5, s14, 1
	s_waitcnt lgkmcnt(0)
	v_mul_f32_e32 v4, v4, v8
	s_cmp_ge_i32 s6, s26
	v_readfirstlane_b32 s14, v5
	global_store_dword v[2:3], v4, off
	s_cbranch_scc1 .LBB42_49
.LBB42_41:                              ; =>This Loop Header: Depth=1
                                        ;     Child Loop BB42_44 Depth 2
                                        ;     Child Loop BB42_48 Depth 2
	s_ashr_i32 s7, s6, 31
	s_lshl_b64 s[18:19], s[6:7], 2
	v_mov_b32_e32 v3, s19
	v_add_co_u32_e32 v2, vcc, s18, v34
	v_addc_co_u32_e32 v3, vcc, v35, v3, vcc
	global_load_dword v4, v[2:3], off
	s_cmp_eq_u32 s6, 0
	s_waitcnt vmcnt(0)
	v_mul_f32_e32 v8, s16, v4
	s_cbranch_scc1 .LBB42_40
; %bb.42:                               ;   in Loop: Header=BB42_41 Depth=1
	s_add_i32 s7, s11, s13
	s_cmp_lt_u32 s7, 7
	s_cbranch_scc1 .LBB42_46
; %bb.43:                               ;   in Loop: Header=BB42_41 Depth=1
	s_and_b32 s8, s6, -8
	s_mov_b32 s7, 0
	v_pk_mov_b32 v[4:5], v[0:1], v[0:1] op_sel:[0,1]
	s_mov_b32 s15, s12
.LBB42_44:                              ;   Parent Loop BB42_41 Depth=1
                                        ; =>  This Inner Loop Header: Depth=2
	global_load_dwordx4 v[10:13], v[4:5], off offset:-28
	global_load_dwordx4 v[14:17], v[4:5], off offset:-12
	v_mov_b32_e32 v9, s15
	ds_read_b128 v[18:21], v9
	ds_read_b128 v[22:25], v9 offset:16
	s_add_i32 s7, s7, 8
	s_add_i32 s15, s15, 32
	v_add_co_u32_e32 v4, vcc, 32, v4
	v_addc_co_u32_e32 v5, vcc, 0, v5, vcc
	s_cmp_lg_u32 s8, s7
	s_waitcnt vmcnt(1) lgkmcnt(1)
	v_fma_f32 v8, -v10, v18, v8
	v_fma_f32 v8, -v11, v19, v8
	;; [unrolled: 1-line block ×4, first 2 shown]
	s_waitcnt vmcnt(0) lgkmcnt(0)
	v_fma_f32 v8, -v14, v22, v8
	v_fma_f32 v8, -v15, v23, v8
	;; [unrolled: 1-line block ×4, first 2 shown]
	s_cbranch_scc1 .LBB42_44
; %bb.45:                               ;   in Loop: Header=BB42_41 Depth=1
	s_and_b32 s7, s6, 7
	s_cmp_eq_u32 s7, 0
	s_cbranch_scc0 .LBB42_47
	s_branch .LBB42_40
.LBB42_46:                              ;   in Loop: Header=BB42_41 Depth=1
	s_mov_b32 s8, 0
	s_and_b32 s7, s6, 7
	s_cmp_eq_u32 s7, 0
	s_cbranch_scc1 .LBB42_40
.LBB42_47:                              ;   in Loop: Header=BB42_41 Depth=1
	s_lshl_b64 s[18:19], s[8:9], 2
	v_mov_b32_e32 v5, s19
	v_add_co_u32_e32 v4, vcc, s18, v6
	s_and_b32 s7, s14, 7
	s_lshl_b32 s15, s8, 2
	v_addc_co_u32_e32 v5, vcc, v7, v5, vcc
.LBB42_48:                              ;   Parent Loop BB42_41 Depth=1
                                        ; =>  This Inner Loop Header: Depth=2
	global_load_dword v9, v[4:5], off
	s_add_i32 s8, s12, s15
	v_mov_b32_e32 v10, s8
	ds_read_b32 v10, v10
	s_add_i32 s15, s15, 4
	v_add_co_u32_e32 v4, vcc, 4, v4
	s_add_i32 s7, s7, -1
	v_addc_co_u32_e32 v5, vcc, 0, v5, vcc
	s_cmp_lg_u32 s7, 0
	s_waitcnt vmcnt(0) lgkmcnt(0)
	v_fma_f32 v8, -v9, v10, v8
	s_cbranch_scc1 .LBB42_48
	s_branch .LBB42_40
.LBB42_49:
	s_mov_b64 s[6:7], 0
.LBB42_50:
	s_and_b64 vcc, exec, s[6:7]
	s_cbranch_vccz .LBB42_82
; %bb.51:
	s_add_i32 s6, s26, -1
	s_cmp_gt_i32 s10, 31
	s_mov_b32 s12, s6
	s_cbranch_scc0 .LBB42_57
; %bb.52:
	s_ashr_i32 s7, s6, 31
	s_lshl_b64 s[8:9], s[6:7], 2
	s_add_u32 s7, s2, s8
	s_addc_u32 s8, s3, s9
	s_add_u32 s7, s7, s4
	s_addc_u32 s8, s8, s5
	;; [unrolled: 2-line block ×3, first 2 shown]
	v_mov_b32_e32 v0, s8
	v_add_co_u32_e32 v1, vcc, s7, v36
	v_addc_co_u32_e32 v0, vcc, v0, v37, vcc
	v_add_co_u32_e32 v32, vcc, -4, v1
	s_mul_i32 s7, s26, 0x104
	s_mov_b32 s17, s16
	v_addc_co_u32_e32 v33, vcc, -1, v0, vcc
	s_addk_i32 s7, 0xfd80
	s_mov_b32 s8, s6
.LBB42_53:                              ; =>This Loop Header: Depth=1
                                        ;     Child Loop BB42_54 Depth 2
	s_ashr_i32 s9, s8, 31
	s_lshl_b64 s[12:13], s[8:9], 2
	v_mov_b32_e32 v0, s13
	v_add_co_u32_e32 v38, vcc, s12, v34
	v_addc_co_u32_e32 v39, vcc, v35, v0, vcc
	global_load_dwordx4 v[0:3], v[38:39], off offset:-12
	global_load_dwordx4 v[4:7], v[38:39], off offset:-28
	;; [unrolled: 1-line block ×8, first 2 shown]
	s_mov_b32 s9, s7
	v_pk_mov_b32 v[40:41], v[32:33], v[32:33] op_sel:[0,1]
	s_cmp_le_i32 s6, s8
	s_mov_b32 s11, s6
	s_waitcnt vmcnt(7)
	v_pk_mul_f32 v[2:3], v[2:3], s[16:17]
	v_pk_mul_f32 v[0:1], v[0:1], s[16:17]
	s_waitcnt vmcnt(6)
	v_pk_mul_f32 v[6:7], v[6:7], s[16:17]
	v_pk_mul_f32 v[4:5], v[4:5], s[16:17]
	;; [unrolled: 3-line block ×8, first 2 shown]
	s_cbranch_scc1 .LBB42_55
.LBB42_54:                              ;   Parent Loop BB42_53 Depth=1
                                        ; =>  This Inner Loop Header: Depth=2
	global_load_dwordx2 v[42:43], v[40:41], off
	v_mov_b32_e32 v106, s9
	ds_read2_b32 v[44:45], v106 offset0:94 offset1:95
	ds_read2_b32 v[46:47], v106 offset0:92 offset1:93
	ds_read2_b32 v[48:49], v106 offset0:90 offset1:91
	ds_read2_b32 v[50:51], v106 offset0:88 offset1:89
	ds_read2_b32 v[52:53], v106 offset0:86 offset1:87
	ds_read2_b32 v[54:55], v106 offset0:84 offset1:85
	ds_read2_b32 v[56:57], v106 offset0:82 offset1:83
	ds_read2_b32 v[58:59], v106 offset0:80 offset1:81
	ds_read2_b32 v[60:61], v106 offset0:78 offset1:79
	ds_read2_b32 v[62:63], v106 offset0:76 offset1:77
	ds_read2_b32 v[64:65], v106 offset0:74 offset1:75
	ds_read2_b32 v[66:67], v106 offset0:72 offset1:73
	ds_read2_b32 v[68:69], v106 offset0:70 offset1:71
	ds_read2_b32 v[70:71], v106 offset0:68 offset1:69
	ds_read2_b32 v[72:73], v106 offset0:66 offset1:67
	ds_read2_b32 v[74:75], v106 offset0:64 offset1:65
	ds_read2_b32 v[76:77], v106 offset0:30 offset1:31
	ds_read2_b32 v[78:79], v106 offset0:28 offset1:29
	ds_read2_b32 v[80:81], v106 offset0:26 offset1:27
	ds_read2_b32 v[82:83], v106 offset0:24 offset1:25
	ds_read2_b32 v[84:85], v106 offset0:22 offset1:23
	ds_read2_b32 v[86:87], v106 offset0:20 offset1:21
	ds_read2_b32 v[88:89], v106 offset0:18 offset1:19
	ds_read2_b32 v[90:91], v106 offset0:16 offset1:17
	ds_read2_b32 v[92:93], v106 offset0:14 offset1:15
	ds_read2_b32 v[94:95], v106 offset0:12 offset1:13
	ds_read2_b32 v[96:97], v106 offset0:10 offset1:11
	ds_read2_b32 v[98:99], v106 offset0:8 offset1:9
	ds_read2_b32 v[100:101], v106 offset0:6 offset1:7
	ds_read2_b32 v[102:103], v106 offset0:4 offset1:5
	ds_read2_b32 v[104:105], v106 offset0:2 offset1:3
	ds_read2_b32 v[106:107], v106 offset1:1
	s_add_i32 s11, s11, -2
	v_add_co_u32_e32 v40, vcc, -8, v40
	s_addk_i32 s9, 0xfe00
	v_addc_co_u32_e32 v41, vcc, -1, v41, vcc
	s_cmp_gt_i32 s11, s8
	s_waitcnt vmcnt(0) lgkmcnt(14)
	v_pk_fma_f32 v[2:3], v[42:43], v[44:45], v[2:3] op_sel:[1,0,0] neg_lo:[1,0,0] neg_hi:[1,0,0]
	v_pk_fma_f32 v[0:1], v[42:43], v[46:47], v[0:1] op_sel:[1,0,0] neg_lo:[1,0,0] neg_hi:[1,0,0]
	;; [unrolled: 1-line block ×16, first 2 shown]
	v_pk_fma_f32 v[2:3], v[42:43], v[76:77], v[2:3] op_sel_hi:[0,1,1] neg_lo:[1,0,0] neg_hi:[1,0,0]
	v_pk_fma_f32 v[0:1], v[42:43], v[78:79], v[0:1] op_sel_hi:[0,1,1] neg_lo:[1,0,0] neg_hi:[1,0,0]
	s_waitcnt lgkmcnt(13)
	v_pk_fma_f32 v[6:7], v[42:43], v[80:81], v[6:7] op_sel_hi:[0,1,1] neg_lo:[1,0,0] neg_hi:[1,0,0]
	s_waitcnt lgkmcnt(12)
	;; [unrolled: 2-line block ×14, first 2 shown]
	v_pk_fma_f32 v[28:29], v[42:43], v[106:107], v[28:29] op_sel_hi:[0,1,1] neg_lo:[1,0,0] neg_hi:[1,0,0]
	s_cbranch_scc1 .LBB42_54
.LBB42_55:                              ;   in Loop: Header=BB42_53 Depth=1
	s_add_i32 s12, s8, -1
	s_lshl_b32 s11, s8, 6
	s_add_i32 s9, s12, s11
	s_lshl_b32 s9, s9, 2
	v_mov_b32_e32 v40, s9
	s_mul_i32 s9, s8, 0x104
	s_add_i32 s13, s9, 0xfffffefc
	s_add_i32 s14, s8, -3
	v_mov_b32_e32 v42, s13
	s_add_i32 s13, s14, s11
	s_lshl_b32 s13, s13, 2
	s_lshl_b32 s12, s12, 6
	v_mov_b32_e32 v43, s13
	s_add_i32 s13, s14, s12
	ds_read2_b32 v[40:41], v40 offset1:1
	s_lshl_b32 s13, s13, 2
	v_mov_b32_e32 v44, s13
	ds_read_b32 v46, v42
	ds_read2_b32 v[42:43], v43 offset1:1
	ds_read2_b32 v[44:45], v44 offset1:1
	s_add_i32 s13, s11, 0xffffff80
	s_add_i32 s15, s14, s13
	s_waitcnt lgkmcnt(3)
	v_mul_f32_e32 v3, v41, v3
	s_lshl_b32 s15, s15, 2
	v_fma_f32 v2, -v3, v40, v2
	v_mov_b32_e32 v40, s15
	s_add_i32 s15, s9, 0xfffffcf4
	s_add_i32 s18, s8, -5
	s_waitcnt lgkmcnt(1)
	v_fma_f32 v1, -v3, v43, v1
	v_mov_b32_e32 v43, s15
	s_add_i32 s15, s18, s11
	ds_read2_b32 v[40:41], v40 offset1:1
	v_mul_f32_e32 v2, v46, v2
	s_lshl_b32 s15, s15, 2
	s_waitcnt lgkmcnt(1)
	v_fma_f32 v1, -v2, v45, v1
	v_mov_b32_e32 v45, s15
	s_add_i32 s15, s18, s12
	s_lshl_b32 s15, s15, 2
	v_mov_b32_e32 v48, s15
	v_fma_f32 v0, -v3, v42, v0
	s_add_i32 s15, s18, s13
	s_waitcnt lgkmcnt(0)
	v_mul_f32_e32 v1, v41, v1
	v_fma_f32 v0, -v2, v44, v0
	s_lshl_b32 s15, s15, 2
	v_fma_f32 v0, -v1, v40, v0
	v_mov_b32_e32 v40, s15
	s_lshl_b32 s15, s14, 6
	s_add_i32 s14, s18, s15
	ds_read_b32 v43, v43
	ds_read2_b32 v[46:47], v45 offset1:1
	ds_read2_b32 v[48:49], v48 offset1:1
	s_lshl_b32 s14, s14, 2
	v_mov_b32_e32 v42, s14
	s_add_i32 s14, s11, 0xffffff00
	s_add_i32 s19, s18, s14
	s_waitcnt lgkmcnt(2)
	v_mul_f32_e32 v0, v43, v0
	s_lshl_b32 s19, s19, 2
	global_store_dwordx4 v[38:39], v[0:3], off offset:-12
	v_mov_b32_e32 v44, s19
	s_add_i32 s19, s9, 0xfffffaec
	ds_read2_b32 v[40:41], v40 offset1:1
	ds_read2_b32 v[42:43], v42 offset1:1
	;; [unrolled: 1-line block ×3, first 2 shown]
	s_add_i32 s20, s8, -7
	s_waitcnt lgkmcnt(4)
	v_fma_f32 v7, -v3, v47, v7
	v_mov_b32_e32 v47, s19
	v_fma_f32 v6, -v3, v46, v6
	s_add_i32 s19, s20, s11
	s_waitcnt lgkmcnt(3)
	v_fma_f32 v6, -v2, v48, v6
	s_lshl_b32 s19, s19, 2
	v_fma_f32 v7, -v2, v49, v7
	s_waitcnt lgkmcnt(2)
	v_fma_f32 v6, -v1, v40, v6
	v_mov_b32_e32 v40, s19
	s_add_i32 s19, s20, s12
	v_fma_f32 v7, -v1, v41, v7
	s_lshl_b32 s19, s19, 2
	s_waitcnt lgkmcnt(1)
	v_fma_f32 v7, -v0, v43, v7
	v_fma_f32 v6, -v0, v42, v6
	v_mov_b32_e32 v42, s19
	s_add_i32 s19, s20, s13
	s_waitcnt lgkmcnt(0)
	v_mul_f32_e32 v7, v45, v7
	s_lshl_b32 s19, s19, 2
	ds_read_b32 v47, v47
	v_fma_f32 v6, -v7, v44, v6
	v_mov_b32_e32 v44, s19
	s_add_i32 s19, s20, s15
	ds_read2_b32 v[40:41], v40 offset1:1
	ds_read2_b32 v[42:43], v42 offset1:1
	s_lshl_b32 s19, s19, 2
	v_mov_b32_e32 v46, s19
	s_add_i32 s19, s20, s14
	s_lshl_b32 s19, s19, 2
	s_lshl_b32 s18, s18, 6
	s_waitcnt lgkmcnt(1)
	v_fma_f32 v5, -v3, v41, v5
	v_mov_b32_e32 v41, s19
	s_add_i32 s19, s20, s18
	s_lshl_b32 s19, s19, 2
	v_mul_f32_e32 v6, v47, v6
	ds_read2_b32 v[44:45], v44 offset1:1
	ds_read2_b32 v[46:47], v46 offset1:1
	s_waitcnt lgkmcnt(2)
	v_fma_f32 v5, -v2, v43, v5
	v_mov_b32_e32 v43, s19
	s_add_i32 s19, s9, 0xfffff9e8
	ds_read2_b32 v[48:49], v41 offset1:1
	ds_read2_b32 v[50:51], v43 offset1:1
	v_mov_b32_e32 v41, s19
	s_add_i32 s19, s11, 0xfffffe80
	s_add_i32 s21, s20, s19
	ds_read_b32 v41, v41
	s_lshl_b32 s21, s21, 2
	s_waitcnt lgkmcnt(4)
	v_fma_f32 v5, -v1, v45, v5
	v_fma_f32 v4, -v3, v40, v4
	v_mov_b32_e32 v40, s21
	s_waitcnt lgkmcnt(3)
	v_fma_f32 v5, -v0, v47, v5
	v_fma_f32 v4, -v2, v42, v4
	ds_read_b32 v40, v40
	s_waitcnt lgkmcnt(3)
	v_fma_f32 v5, -v7, v49, v5
	v_fma_f32 v4, -v1, v44, v4
	s_waitcnt lgkmcnt(2)
	v_fma_f32 v5, -v6, v51, v5
	s_add_i32 s21, s9, 0xfffff8e4
	v_fma_f32 v4, -v0, v46, v4
	s_add_i32 s22, s8, -9
	s_waitcnt lgkmcnt(1)
	v_mul_f32_e32 v5, v41, v5
	v_mov_b32_e32 v41, s21
	v_fma_f32 v4, -v7, v48, v4
	s_add_i32 s21, s22, s11
	v_fma_f32 v4, -v6, v50, v4
	s_lshl_b32 s21, s21, 2
	s_waitcnt lgkmcnt(0)
	v_fma_f32 v4, -v5, v40, v4
	v_mov_b32_e32 v40, s21
	s_add_i32 s21, s22, s12
	s_lshl_b32 s21, s21, 2
	ds_read_b32 v41, v41
	v_mov_b32_e32 v42, s21
	s_add_i32 s21, s22, s13
	s_lshl_b32 s21, s21, 2
	v_mov_b32_e32 v44, s21
	s_add_i32 s21, s22, s15
	s_lshl_b32 s21, s21, 2
	v_mov_b32_e32 v46, s21
	s_waitcnt lgkmcnt(0)
	v_mul_f32_e32 v4, v41, v4
	ds_read2_b32 v[40:41], v40 offset1:1
	ds_read2_b32 v[42:43], v42 offset1:1
	ds_read2_b32 v[44:45], v44 offset1:1
	ds_read2_b32 v[46:47], v46 offset1:1
	s_add_i32 s21, s22, s14
	s_lshl_b32 s21, s21, 2
	s_waitcnt lgkmcnt(3)
	v_fma_f32 v11, -v3, v41, v11
	v_mov_b32_e32 v41, s21
	s_add_i32 s21, s22, s18
	s_lshl_b32 s21, s21, 2
	s_waitcnt lgkmcnt(2)
	v_fma_f32 v11, -v2, v43, v11
	v_mov_b32_e32 v43, s21
	s_add_i32 s21, s22, s19
	s_lshl_b32 s21, s21, 2
	s_lshl_b32 s20, s20, 6
	s_waitcnt lgkmcnt(1)
	v_fma_f32 v11, -v1, v45, v11
	v_mov_b32_e32 v45, s21
	s_add_i32 s21, s22, s20
	s_lshl_b32 s21, s21, 2
	global_store_dwordx4 v[38:39], v[4:7], off offset:-28
	s_waitcnt lgkmcnt(0)
	v_fma_f32 v11, -v0, v47, v11
	v_mov_b32_e32 v47, s21
	s_add_i32 s21, s9, 0xfffff7e0
	ds_read2_b32 v[48:49], v41 offset1:1
	ds_read2_b32 v[50:51], v43 offset1:1
	;; [unrolled: 1-line block ×4, first 2 shown]
	v_mov_b32_e32 v41, s21
	s_add_i32 s21, s11, 0xfffffe00
	v_fma_f32 v10, -v3, v40, v10
	s_add_i32 s23, s22, s21
	v_fma_f32 v10, -v2, v42, v10
	s_lshl_b32 s23, s23, 2
	ds_read_b32 v41, v41
	v_fma_f32 v10, -v1, v44, v10
	v_mov_b32_e32 v40, s23
	s_waitcnt lgkmcnt(4)
	v_fma_f32 v11, -v7, v49, v11
	v_fma_f32 v10, -v0, v46, v10
	ds_read_b32 v40, v40
	s_waitcnt lgkmcnt(4)
	v_fma_f32 v11, -v6, v51, v11
	v_fma_f32 v10, -v7, v48, v10
	s_waitcnt lgkmcnt(3)
	v_fma_f32 v11, -v5, v53, v11
	v_fma_f32 v10, -v6, v50, v10
	;; [unrolled: 3-line block ×3, first 2 shown]
	s_waitcnt lgkmcnt(1)
	v_mul_f32_e32 v11, v41, v11
	v_fma_f32 v10, -v4, v54, v10
	s_add_i32 s23, s9, 0xfffff6dc
	s_add_i32 s24, s8, -11
	s_waitcnt lgkmcnt(0)
	v_fma_f32 v10, -v11, v40, v10
	v_mov_b32_e32 v40, s23
	s_add_i32 s23, s24, s11
	s_lshl_b32 s23, s23, 2
	ds_read_b32 v48, v40
	v_mov_b32_e32 v40, s23
	s_add_i32 s23, s24, s12
	s_lshl_b32 s23, s23, 2
	v_mov_b32_e32 v42, s23
	s_add_i32 s23, s24, s13
	s_lshl_b32 s23, s23, 2
	;; [unrolled: 3-line block ×3, first 2 shown]
	v_mov_b32_e32 v46, s23
	ds_read2_b32 v[40:41], v40 offset1:1
	ds_read2_b32 v[42:43], v42 offset1:1
	;; [unrolled: 1-line block ×4, first 2 shown]
	s_add_i32 s23, s24, s14
	s_lshl_b32 s23, s23, 2
	s_waitcnt lgkmcnt(3)
	v_fma_f32 v9, -v3, v41, v9
	v_mov_b32_e32 v41, s23
	s_add_i32 s23, s24, s18
	s_lshl_b32 s23, s23, 2
	s_waitcnt lgkmcnt(2)
	v_fma_f32 v9, -v2, v43, v9
	v_mov_b32_e32 v43, s23
	;; [unrolled: 5-line block ×3, first 2 shown]
	s_add_i32 s23, s24, s20
	s_lshl_b32 s23, s23, 2
	v_mul_f32_e32 v10, v48, v10
	ds_read2_b32 v[48:49], v41 offset1:1
	ds_read2_b32 v[50:51], v43 offset1:1
	v_mov_b32_e32 v41, s23
	s_add_i32 s23, s24, s21
	s_lshl_b32 s23, s23, 2
	s_lshl_b32 s22, s22, 6
	ds_read2_b32 v[52:53], v45 offset1:1
	ds_read2_b32 v[54:55], v41 offset1:1
	v_mov_b32_e32 v41, s23
	s_add_i32 s23, s24, s22
	s_lshl_b32 s23, s23, 2
	s_waitcnt lgkmcnt(4)
	v_fma_f32 v9, -v0, v47, v9
	v_mov_b32_e32 v43, s23
	s_add_i32 s23, s9, 0xfffff5d8
	s_waitcnt lgkmcnt(3)
	v_fma_f32 v9, -v7, v49, v9
	ds_read2_b32 v[56:57], v41 offset1:1
	ds_read2_b32 v[58:59], v43 offset1:1
	v_mov_b32_e32 v41, s23
	s_waitcnt lgkmcnt(4)
	v_fma_f32 v9, -v6, v51, v9
	ds_read_b32 v41, v41
	s_waitcnt lgkmcnt(4)
	v_fma_f32 v9, -v5, v53, v9
	s_add_i32 s23, s11, 0xfffffd80
	s_waitcnt lgkmcnt(3)
	v_fma_f32 v9, -v4, v55, v9
	s_add_i32 s25, s24, s23
	s_waitcnt lgkmcnt(2)
	v_fma_f32 v9, -v11, v57, v9
	s_lshl_b32 s25, s25, 2
	s_waitcnt lgkmcnt(1)
	v_fma_f32 v9, -v10, v59, v9
	v_fma_f32 v8, -v3, v40, v8
	v_mov_b32_e32 v40, s25
	s_add_i32 s25, s9, 0xfffff4d4
	s_add_i32 s27, s8, -13
	s_waitcnt lgkmcnt(0)
	v_mul_f32_e32 v9, v41, v9
	v_mov_b32_e32 v41, s25
	s_add_i32 s25, s27, s11
	s_lshl_b32 s25, s25, 2
	v_fma_f32 v8, -v2, v42, v8
	v_mov_b32_e32 v42, s25
	s_add_i32 s25, s27, s12
	s_lshl_b32 s25, s25, 2
	v_fma_f32 v8, -v1, v44, v8
	v_mov_b32_e32 v43, s25
	v_fma_f32 v8, -v0, v46, v8
	ds_read_b32 v44, v40
	ds_read_b32 v45, v41
	ds_read2_b32 v[40:41], v42 offset1:1
	ds_read2_b32 v[42:43], v43 offset1:1
	v_fma_f32 v8, -v7, v48, v8
	v_fma_f32 v8, -v6, v50, v8
	s_add_i32 s25, s27, s13
	v_fma_f32 v8, -v5, v52, v8
	s_lshl_b32 s25, s25, 2
	v_fma_f32 v8, -v4, v54, v8
	s_waitcnt lgkmcnt(1)
	v_fma_f32 v15, -v3, v41, v15
	v_mov_b32_e32 v41, s25
	s_add_i32 s25, s27, s15
	v_fma_f32 v8, -v11, v56, v8
	s_lshl_b32 s25, s25, 2
	v_fma_f32 v8, -v10, v58, v8
	s_waitcnt lgkmcnt(0)
	v_fma_f32 v15, -v2, v43, v15
	v_mov_b32_e32 v43, s25
	s_add_i32 s25, s27, s14
	v_fma_f32 v8, -v9, v44, v8
	s_lshl_b32 s25, s25, 2
	v_mul_f32_e32 v8, v45, v8
	v_mov_b32_e32 v48, s25
	s_add_i32 s25, s27, s18
	global_store_dwordx4 v[38:39], v[8:11], off offset:-44
	s_lshl_b32 s25, s25, 2
	ds_read2_b32 v[44:45], v41 offset1:1
	ds_read2_b32 v[46:47], v43 offset1:1
	;; [unrolled: 1-line block ×3, first 2 shown]
	v_mov_b32_e32 v41, s25
	s_add_i32 s25, s27, s19
	s_lshl_b32 s25, s25, 2
	ds_read2_b32 v[50:51], v41 offset1:1
	v_mov_b32_e32 v41, s25
	s_add_i32 s25, s27, s20
	s_lshl_b32 s25, s25, 2
	v_mov_b32_e32 v43, s25
	s_add_i32 s25, s27, s21
	s_lshl_b32 s25, s25, 2
	s_waitcnt lgkmcnt(3)
	v_fma_f32 v15, -v1, v45, v15
	v_mov_b32_e32 v45, s25
	s_add_i32 s25, s27, s22
	s_lshl_b32 s25, s25, 2
	s_waitcnt lgkmcnt(2)
	v_fma_f32 v15, -v0, v47, v15
	v_mov_b32_e32 v47, s25
	s_add_i32 s25, s27, s23
	s_lshl_b32 s25, s25, 2
	ds_read2_b32 v[52:53], v41 offset1:1
	ds_read2_b32 v[54:55], v43 offset1:1
	;; [unrolled: 1-line block ×4, first 2 shown]
	v_mov_b32_e32 v41, s25
	s_lshl_b32 s25, s24, 6
	s_add_i32 s24, s27, s25
	s_lshl_b32 s24, s24, 2
	v_mov_b32_e32 v43, s24
	s_add_i32 s24, s11, 0xfffffd00
	s_add_i32 s28, s27, s24
	s_lshl_b32 s28, s28, 2
	v_mov_b32_e32 v45, s28
	s_add_i32 s28, s9, 0xfffff2cc
	s_add_i32 s29, s8, -15
	ds_read2_b32 v[60:61], v41 offset1:1
	ds_read2_b32 v[62:63], v43 offset1:1
	;; [unrolled: 1-line block ×3, first 2 shown]
	v_mov_b32_e32 v41, s28
	s_add_i32 s28, s29, s11
	s_lshl_b32 s28, s28, 2
	v_fma_f32 v14, -v3, v40, v14
	v_mov_b32_e32 v40, s28
	s_add_i32 s28, s29, s12
	s_lshl_b32 s28, s28, 2
	v_fma_f32 v14, -v2, v42, v14
	;; [unrolled: 4-line block ×3, first 2 shown]
	v_mov_b32_e32 v44, s28
	s_add_i32 s28, s29, s15
	s_waitcnt lgkmcnt(8)
	v_fma_f32 v15, -v7, v49, v15
	v_fma_f32 v14, -v0, v46, v14
	s_lshl_b32 s28, s28, 2
	s_waitcnt lgkmcnt(7)
	v_fma_f32 v15, -v6, v51, v15
	v_fma_f32 v14, -v7, v48, v14
	v_mov_b32_e32 v46, s28
	s_waitcnt lgkmcnt(6)
	v_fma_f32 v15, -v5, v53, v15
	ds_read_b32 v49, v41
	v_fma_f32 v14, -v6, v50, v14
	ds_read2_b32 v[40:41], v40 offset1:1
	ds_read2_b32 v[42:43], v42 offset1:1
	;; [unrolled: 1-line block ×4, first 2 shown]
	s_add_i32 s28, s29, s14
	s_waitcnt lgkmcnt(10)
	v_fma_f32 v15, -v4, v55, v15
	v_fma_f32 v14, -v5, v52, v14
	s_lshl_b32 s28, s28, 2
	s_waitcnt lgkmcnt(9)
	v_fma_f32 v15, -v11, v57, v15
	v_fma_f32 v14, -v4, v54, v14
	s_waitcnt lgkmcnt(3)
	v_fma_f32 v13, -v3, v41, v13
	v_mov_b32_e32 v41, s28
	s_add_i32 s28, s29, s18
	v_fma_f32 v15, -v10, v59, v15
	v_fma_f32 v14, -v11, v56, v14
	s_lshl_b32 s28, s28, 2
	v_fma_f32 v15, -v9, v61, v15
	v_fma_f32 v14, -v10, v58, v14
	s_waitcnt lgkmcnt(2)
	v_fma_f32 v13, -v2, v43, v13
	v_mov_b32_e32 v43, s28
	s_add_i32 s28, s29, s19
	v_fma_f32 v15, -v8, v63, v15
	v_fma_f32 v14, -v9, v60, v14
	s_lshl_b32 s28, s28, 2
	v_mul_f32_e32 v15, v65, v15
	v_fma_f32 v14, -v8, v62, v14
	s_waitcnt lgkmcnt(1)
	v_fma_f32 v13, -v1, v45, v13
	v_mov_b32_e32 v45, s28
	s_add_i32 s28, s29, s20
	v_fma_f32 v14, -v15, v64, v14
	s_lshl_b32 s28, s28, 2
	v_mul_f32_e32 v14, v49, v14
	ds_read2_b32 v[48:49], v41 offset1:1
	ds_read2_b32 v[50:51], v43 offset1:1
	;; [unrolled: 1-line block ×3, first 2 shown]
	v_mov_b32_e32 v41, s28
	s_add_i32 s28, s29, s21
	s_lshl_b32 s28, s28, 2
	ds_read2_b32 v[54:55], v41 offset1:1
	v_mov_b32_e32 v41, s28
	s_add_i32 s28, s29, s22
	s_lshl_b32 s28, s28, 2
	v_mov_b32_e32 v43, s28
	s_add_i32 s28, s29, s23
	s_lshl_b32 s28, s28, 2
	;; [unrolled: 3-line block ×3, first 2 shown]
	v_fma_f32 v12, -v3, v40, v12
	s_waitcnt lgkmcnt(4)
	v_fma_f32 v13, -v0, v47, v13
	v_mov_b32_e32 v47, s28
	s_add_i32 s28, s29, s24
	v_fma_f32 v12, -v2, v42, v12
	s_lshl_b32 s28, s28, 2
	s_lshl_b32 s27, s27, 6
	v_fma_f32 v12, -v1, v44, v12
	s_waitcnt lgkmcnt(3)
	v_fma_f32 v13, -v7, v49, v13
	ds_read2_b32 v[56:57], v41 offset1:1
	ds_read2_b32 v[58:59], v43 offset1:1
	;; [unrolled: 1-line block ×4, first 2 shown]
	v_mov_b32_e32 v41, s28
	s_add_i32 s28, s29, s27
	v_fma_f32 v12, -v0, v46, v12
	s_waitcnt lgkmcnt(6)
	v_fma_f32 v13, -v6, v51, v13
	s_lshl_b32 s28, s28, 2
	v_fma_f32 v12, -v7, v48, v12
	s_waitcnt lgkmcnt(5)
	v_fma_f32 v13, -v5, v53, v13
	v_mov_b32_e32 v43, s28
	s_add_i32 s28, s11, 0xfffffc80
	v_fma_f32 v12, -v6, v50, v12
	s_waitcnt lgkmcnt(4)
	v_fma_f32 v13, -v4, v55, v13
	s_add_i32 s30, s29, s28
	v_fma_f32 v12, -v5, v52, v12
	s_waitcnt lgkmcnt(3)
	v_fma_f32 v13, -v11, v57, v13
	s_lshl_b32 s30, s30, 2
	v_fma_f32 v12, -v4, v54, v12
	s_waitcnt lgkmcnt(2)
	v_fma_f32 v13, -v10, v59, v13
	v_mov_b32_e32 v45, s30
	s_add_i32 s30, s9, 0xfffff0c4
	ds_read2_b32 v[64:65], v41 offset1:1
	ds_read2_b32 v[66:67], v43 offset1:1
	;; [unrolled: 1-line block ×3, first 2 shown]
	v_fma_f32 v12, -v11, v56, v12
	s_waitcnt lgkmcnt(4)
	v_fma_f32 v13, -v9, v61, v13
	v_mov_b32_e32 v41, s30
	v_fma_f32 v12, -v10, v58, v12
	s_sub_i32 s31, s8, 17
	s_waitcnt lgkmcnt(3)
	v_fma_f32 v13, -v8, v63, v13
	ds_read_b32 v41, v41
	v_fma_f32 v12, -v9, v60, v12
	s_add_i32 s30, s31, s11
	s_waitcnt lgkmcnt(3)
	v_fma_f32 v13, -v15, v65, v13
	v_fma_f32 v12, -v8, v62, v12
	s_lshl_b32 s30, s30, 2
	s_waitcnt lgkmcnt(2)
	v_fma_f32 v13, -v14, v67, v13
	v_fma_f32 v12, -v15, v64, v12
	v_mov_b32_e32 v40, s30
	s_add_i32 s30, s31, s12
	s_waitcnt lgkmcnt(1)
	v_mul_f32_e32 v13, v69, v13
	v_fma_f32 v12, -v14, v66, v12
	s_lshl_b32 s30, s30, 2
	v_fma_f32 v12, -v13, v68, v12
	v_mov_b32_e32 v42, s30
	s_add_i32 s30, s31, s13
	s_waitcnt lgkmcnt(0)
	v_mul_f32_e32 v12, v41, v12
	s_lshl_b32 s30, s30, 2
	global_store_dwordx4 v[38:39], v[12:15], off offset:-60
	v_mov_b32_e32 v44, s30
	s_add_i32 s30, s31, s15
	s_lshl_b32 s30, s30, 2
	ds_read2_b32 v[40:41], v40 offset1:1
	ds_read2_b32 v[42:43], v42 offset1:1
	;; [unrolled: 1-line block ×3, first 2 shown]
	v_mov_b32_e32 v46, s30
	s_add_i32 s30, s31, s14
	s_lshl_b32 s30, s30, 2
	s_waitcnt lgkmcnt(2)
	v_fma_f32 v19, -v3, v41, v19
	v_mov_b32_e32 v41, s30
	s_add_i32 s30, s31, s18
	s_lshl_b32 s30, s30, 2
	s_waitcnt lgkmcnt(1)
	v_fma_f32 v19, -v2, v43, v19
	;; [unrolled: 5-line block ×3, first 2 shown]
	v_mov_b32_e32 v45, s30
	s_add_i32 s30, s31, s20
	s_lshl_b32 s30, s30, 2
	v_mov_b32_e32 v54, s30
	s_add_i32 s30, s31, s21
	s_lshl_b32 s30, s30, 2
	ds_read2_b32 v[46:47], v46 offset1:1
	ds_read2_b32 v[48:49], v41 offset1:1
	ds_read2_b32 v[50:51], v43 offset1:1
	ds_read2_b32 v[52:53], v45 offset1:1
	ds_read2_b32 v[54:55], v54 offset1:1
	v_mov_b32_e32 v41, s30
	s_add_i32 s30, s31, s22
	s_lshl_b32 s30, s30, 2
	v_mov_b32_e32 v43, s30
	s_add_i32 s30, s31, s23
	s_lshl_b32 s30, s30, 2
	;; [unrolled: 3-line block ×3, first 2 shown]
	ds_read2_b32 v[56:57], v41 offset1:1
	ds_read2_b32 v[58:59], v43 offset1:1
	ds_read2_b32 v[60:61], v45 offset1:1
	v_mov_b32_e32 v41, s30
	s_add_i32 s30, s31, s24
	s_lshl_b32 s30, s30, 2
	ds_read2_b32 v[62:63], v41 offset1:1
	v_mov_b32_e32 v41, s30
	s_add_i32 s30, s31, s27
	s_lshl_b32 s30, s30, 2
	v_mov_b32_e32 v43, s30
	s_add_i32 s30, s31, s28
	s_lshl_b32 s30, s30, 2
	s_lshl_b32 s29, s29, 6
	v_mov_b32_e32 v45, s30
	s_add_i32 s30, s31, s29
	v_fma_f32 v18, -v3, v40, v18
	s_lshl_b32 s30, s30, 2
	v_fma_f32 v18, -v2, v42, v18
	s_waitcnt lgkmcnt(8)
	v_fma_f32 v19, -v0, v47, v19
	v_mov_b32_e32 v47, s30
	s_add_i32 s30, s11, 0xfffffc00
	v_fma_f32 v18, -v1, v44, v18
	s_waitcnt lgkmcnt(7)
	v_fma_f32 v19, -v7, v49, v19
	s_add_i32 s33, s31, s30
	v_fma_f32 v18, -v0, v46, v18
	s_waitcnt lgkmcnt(6)
	v_fma_f32 v19, -v6, v51, v19
	s_lshl_b32 s33, s33, 2
	v_fma_f32 v18, -v7, v48, v18
	s_waitcnt lgkmcnt(5)
	v_fma_f32 v19, -v5, v53, v19
	ds_read2_b32 v[64:65], v41 offset1:1
	ds_read2_b32 v[66:67], v43 offset1:1
	ds_read2_b32 v[68:69], v45 offset1:1
	ds_read2_b32 v[70:71], v47 offset1:1
	v_mov_b32_e32 v41, s33
	s_add_i32 s33, s9, 0xffffeebc
	s_sub_i32 s34, s8, 19
	v_fma_f32 v18, -v6, v50, v18
	s_waitcnt lgkmcnt(8)
	v_fma_f32 v19, -v4, v55, v19
	v_mov_b32_e32 v43, s33
	s_add_i32 s33, s34, s11
	v_fma_f32 v18, -v5, v52, v18
	s_waitcnt lgkmcnt(7)
	v_fma_f32 v19, -v11, v57, v19
	s_lshl_b32 s33, s33, 2
	v_fma_f32 v18, -v4, v54, v18
	s_waitcnt lgkmcnt(6)
	v_fma_f32 v19, -v10, v59, v19
	v_mov_b32_e32 v45, s33
	s_add_i32 s33, s34, s12
	v_fma_f32 v18, -v11, v56, v18
	s_waitcnt lgkmcnt(5)
	v_fma_f32 v19, -v9, v61, v19
	s_lshl_b32 s33, s33, 2
	v_fma_f32 v18, -v10, v58, v18
	s_waitcnt lgkmcnt(4)
	v_fma_f32 v19, -v8, v63, v19
	ds_read2_b32 v[72:73], v41 offset1:1
	v_mov_b32_e32 v41, s33
	v_fma_f32 v18, -v9, v60, v18
	s_add_i32 s33, s34, s13
	s_waitcnt lgkmcnt(4)
	v_fma_f32 v19, -v15, v65, v19
	v_fma_f32 v18, -v8, v62, v18
	s_lshl_b32 s33, s33, 2
	s_waitcnt lgkmcnt(3)
	v_fma_f32 v19, -v14, v67, v19
	v_fma_f32 v18, -v15, v64, v18
	v_mov_b32_e32 v40, s33
	s_add_i32 s33, s34, s15
	s_waitcnt lgkmcnt(2)
	v_fma_f32 v19, -v13, v69, v19
	v_fma_f32 v18, -v14, v66, v18
	s_lshl_b32 s33, s33, 2
	s_waitcnt lgkmcnt(1)
	v_fma_f32 v19, -v12, v71, v19
	ds_read_b32 v43, v43
	ds_read2_b32 v[74:75], v45 offset1:1
	ds_read2_b32 v[76:77], v41 offset1:1
	v_fma_f32 v18, -v13, v68, v18
	v_mov_b32_e32 v42, s33
	s_add_i32 s33, s34, s14
	s_waitcnt lgkmcnt(3)
	v_mul_f32_e32 v19, v73, v19
	v_fma_f32 v18, -v12, v70, v18
	s_lshl_b32 s33, s33, 2
	v_fma_f32 v18, -v19, v72, v18
	v_mov_b32_e32 v44, s33
	s_add_i32 s33, s34, s18
	s_waitcnt lgkmcnt(2)
	v_mul_f32_e32 v18, v43, v18
	s_lshl_b32 s33, s33, 2
	ds_read2_b32 v[40:41], v40 offset1:1
	ds_read2_b32 v[42:43], v42 offset1:1
	;; [unrolled: 1-line block ×3, first 2 shown]
	s_waitcnt lgkmcnt(4)
	v_fma_f32 v17, -v3, v75, v17
	v_mov_b32_e32 v46, s33
	s_add_i32 s33, s34, s19
	s_waitcnt lgkmcnt(3)
	v_fma_f32 v17, -v2, v77, v17
	s_lshl_b32 s33, s33, 2
	s_waitcnt lgkmcnt(2)
	v_fma_f32 v17, -v1, v41, v17
	v_mov_b32_e32 v41, s33
	s_add_i32 s33, s34, s20
	s_lshl_b32 s33, s33, 2
	s_waitcnt lgkmcnt(1)
	v_fma_f32 v17, -v0, v43, v17
	v_mov_b32_e32 v43, s33
	s_add_i32 s33, s34, s21
	;; [unrolled: 5-line block ×3, first 2 shown]
	s_lshl_b32 s33, s33, 2
	v_mov_b32_e32 v54, s33
	s_add_i32 s33, s34, s23
	s_lshl_b32 s33, s33, 2
	ds_read2_b32 v[46:47], v46 offset1:1
	ds_read2_b32 v[48:49], v41 offset1:1
	;; [unrolled: 1-line block ×5, first 2 shown]
	v_mov_b32_e32 v41, s33
	s_add_i32 s33, s34, s25
	s_lshl_b32 s33, s33, 2
	v_mov_b32_e32 v43, s33
	s_add_i32 s33, s34, s24
	s_lshl_b32 s33, s33, 2
	;; [unrolled: 3-line block ×3, first 2 shown]
	ds_read2_b32 v[56:57], v41 offset1:1
	ds_read2_b32 v[58:59], v43 offset1:1
	ds_read2_b32 v[60:61], v45 offset1:1
	v_mov_b32_e32 v41, s33
	s_add_i32 s33, s34, s28
	s_lshl_b32 s33, s33, 2
	ds_read2_b32 v[62:63], v41 offset1:1
	v_mov_b32_e32 v41, s33
	s_add_i32 s33, s34, s29
	v_fma_f32 v16, -v3, v74, v16
	s_lshl_b32 s33, s33, 2
	v_fma_f32 v16, -v2, v76, v16
	v_mov_b32_e32 v43, s33
	s_add_i32 s33, s34, s30
	v_fma_f32 v16, -v1, v40, v16
	s_lshl_b32 s33, s33, 2
	s_lshl_b32 s31, s31, 6
	v_fma_f32 v16, -v0, v42, v16
	s_waitcnt lgkmcnt(8)
	v_fma_f32 v17, -v6, v47, v17
	v_mov_b32_e32 v45, s33
	s_add_i32 s33, s34, s31
	v_fma_f32 v16, -v7, v44, v16
	s_waitcnt lgkmcnt(7)
	v_fma_f32 v17, -v5, v49, v17
	s_lshl_b32 s33, s33, 2
	v_fma_f32 v16, -v6, v46, v16
	s_waitcnt lgkmcnt(6)
	v_fma_f32 v17, -v4, v51, v17
	v_mov_b32_e32 v47, s33
	s_add_i32 s33, s11, 0xfffffb80
	v_fma_f32 v16, -v5, v48, v16
	s_waitcnt lgkmcnt(5)
	v_fma_f32 v17, -v11, v53, v17
	s_add_i32 s35, s34, s33
	v_fma_f32 v16, -v4, v50, v16
	s_waitcnt lgkmcnt(4)
	v_fma_f32 v17, -v10, v55, v17
	s_lshl_b32 s35, s35, 2
	v_fma_f32 v16, -v11, v52, v16
	s_waitcnt lgkmcnt(3)
	v_fma_f32 v17, -v9, v57, v17
	ds_read2_b32 v[64:65], v41 offset1:1
	ds_read2_b32 v[66:67], v43 offset1:1
	;; [unrolled: 1-line block ×4, first 2 shown]
	v_mov_b32_e32 v41, s35
	s_add_i32 s35, s9, 0xffffecb4
	s_sub_i32 s36, s8, 21
	v_fma_f32 v16, -v10, v54, v16
	s_waitcnt lgkmcnt(6)
	v_fma_f32 v17, -v8, v59, v17
	v_mov_b32_e32 v43, s35
	s_add_i32 s35, s36, s11
	v_fma_f32 v16, -v9, v56, v16
	s_waitcnt lgkmcnt(5)
	v_fma_f32 v17, -v15, v61, v17
	s_lshl_b32 s35, s35, 2
	v_fma_f32 v16, -v8, v58, v16
	s_waitcnt lgkmcnt(4)
	v_fma_f32 v17, -v14, v63, v17
	v_mov_b32_e32 v45, s35
	s_add_i32 s35, s36, s12
	ds_read2_b32 v[72:73], v41 offset1:1
	v_fma_f32 v16, -v15, v60, v16
	s_waitcnt lgkmcnt(4)
	v_fma_f32 v17, -v13, v65, v17
	s_lshl_b32 s35, s35, 2
	v_fma_f32 v16, -v14, v62, v16
	s_waitcnt lgkmcnt(3)
	v_fma_f32 v17, -v12, v67, v17
	v_mov_b32_e32 v41, s35
	v_fma_f32 v16, -v13, v64, v16
	s_add_i32 s35, s36, s13
	s_waitcnt lgkmcnt(2)
	v_fma_f32 v17, -v19, v69, v17
	v_fma_f32 v16, -v12, v66, v16
	s_lshl_b32 s35, s35, 2
	s_waitcnt lgkmcnt(1)
	v_fma_f32 v17, -v18, v71, v17
	ds_read_b32 v43, v43
	ds_read2_b32 v[78:79], v45 offset1:1
	ds_read2_b32 v[80:81], v41 offset1:1
	v_fma_f32 v16, -v19, v68, v16
	v_mov_b32_e32 v40, s35
	s_add_i32 s35, s36, s15
	s_waitcnt lgkmcnt(3)
	v_mul_f32_e32 v17, v73, v17
	v_fma_f32 v16, -v18, v70, v16
	s_lshl_b32 s35, s35, 2
	v_fma_f32 v16, -v17, v72, v16
	v_mov_b32_e32 v42, s35
	s_add_i32 s35, s36, s14
	s_waitcnt lgkmcnt(2)
	v_mul_f32_e32 v16, v43, v16
	s_lshl_b32 s35, s35, 2
	global_store_dwordx4 v[38:39], v[16:19], off offset:-76
	v_mov_b32_e32 v44, s35
	s_add_i32 s35, s36, s18
	s_lshl_b32 s35, s35, 2
	ds_read2_b32 v[40:41], v40 offset1:1
	ds_read2_b32 v[42:43], v42 offset1:1
	;; [unrolled: 1-line block ×3, first 2 shown]
	s_waitcnt lgkmcnt(4)
	v_fma_f32 v23, -v3, v79, v23
	v_mov_b32_e32 v46, s35
	s_add_i32 s35, s36, s19
	s_waitcnt lgkmcnt(3)
	v_fma_f32 v23, -v2, v81, v23
	s_lshl_b32 s35, s35, 2
	s_waitcnt lgkmcnt(2)
	v_fma_f32 v23, -v1, v41, v23
	v_mov_b32_e32 v41, s35
	s_add_i32 s35, s36, s20
	s_lshl_b32 s35, s35, 2
	s_waitcnt lgkmcnt(1)
	v_fma_f32 v23, -v0, v43, v23
	v_mov_b32_e32 v43, s35
	s_add_i32 s35, s36, s21
	;; [unrolled: 5-line block ×3, first 2 shown]
	s_lshl_b32 s35, s35, 2
	v_mov_b32_e32 v54, s35
	s_add_i32 s35, s36, s23
	s_lshl_b32 s35, s35, 2
	ds_read2_b32 v[46:47], v46 offset1:1
	ds_read2_b32 v[48:49], v41 offset1:1
	;; [unrolled: 1-line block ×5, first 2 shown]
	v_mov_b32_e32 v41, s35
	s_add_i32 s35, s36, s25
	s_lshl_b32 s35, s35, 2
	v_mov_b32_e32 v43, s35
	s_add_i32 s35, s36, s24
	s_lshl_b32 s35, s35, 2
	;; [unrolled: 3-line block ×3, first 2 shown]
	ds_read2_b32 v[56:57], v41 offset1:1
	ds_read2_b32 v[58:59], v43 offset1:1
	;; [unrolled: 1-line block ×3, first 2 shown]
	v_mov_b32_e32 v41, s35
	s_add_i32 s35, s36, s28
	s_lshl_b32 s35, s35, 2
	ds_read2_b32 v[62:63], v41 offset1:1
	v_mov_b32_e32 v41, s35
	s_add_i32 s35, s36, s29
	s_lshl_b32 s35, s35, 2
	v_mov_b32_e32 v43, s35
	s_add_i32 s35, s36, s30
	s_lshl_b32 s35, s35, 2
	v_mov_b32_e32 v45, s35
	s_add_i32 s35, s36, s31
	s_lshl_b32 s35, s35, 2
	s_waitcnt lgkmcnt(8)
	v_fma_f32 v23, -v6, v47, v23
	v_mov_b32_e32 v47, s35
	s_add_i32 s35, s36, s33
	s_lshl_b32 s35, s35, 2
	ds_read2_b32 v[64:65], v41 offset1:1
	ds_read2_b32 v[66:67], v43 offset1:1
	;; [unrolled: 1-line block ×4, first 2 shown]
	v_mov_b32_e32 v41, s35
	s_lshl_b32 s35, s34, 6
	s_add_i32 s34, s36, s35
	s_lshl_b32 s34, s34, 2
	v_mov_b32_e32 v43, s34
	s_add_i32 s34, s11, 0xfffffb00
	v_fma_f32 v22, -v3, v78, v22
	s_add_i32 s37, s36, s34
	v_fma_f32 v22, -v2, v80, v22
	s_lshl_b32 s37, s37, 2
	v_fma_f32 v22, -v1, v40, v22
	v_mov_b32_e32 v45, s37
	s_add_i32 s37, s9, 0xffffeaac
	v_fma_f32 v22, -v0, v42, v22
	s_sub_i32 s38, s8, 23
	ds_read2_b32 v[72:73], v41 offset1:1
	ds_read2_b32 v[74:75], v43 offset1:1
	;; [unrolled: 1-line block ×3, first 2 shown]
	v_mov_b32_e32 v41, s37
	v_fma_f32 v22, -v7, v44, v22
	s_add_i32 s37, s38, s11
	s_waitcnt lgkmcnt(14)
	v_fma_f32 v23, -v5, v49, v23
	v_fma_f32 v22, -v6, v46, v22
	s_lshl_b32 s37, s37, 2
	s_waitcnt lgkmcnt(13)
	v_fma_f32 v23, -v4, v51, v23
	v_fma_f32 v22, -v5, v48, v22
	v_mov_b32_e32 v40, s37
	s_add_i32 s37, s38, s12
	s_waitcnt lgkmcnt(12)
	v_fma_f32 v23, -v11, v53, v23
	v_fma_f32 v22, -v4, v50, v22
	s_lshl_b32 s37, s37, 2
	s_waitcnt lgkmcnt(11)
	v_fma_f32 v23, -v10, v55, v23
	v_fma_f32 v22, -v11, v52, v22
	v_mov_b32_e32 v42, s37
	;; [unrolled: 9-line block ×4, first 2 shown]
	s_waitcnt lgkmcnt(6)
	v_fma_f32 v23, -v13, v65, v23
	ds_read_b32 v49, v41
	v_fma_f32 v22, -v14, v62, v22
	ds_read2_b32 v[40:41], v40 offset1:1
	ds_read2_b32 v[42:43], v42 offset1:1
	ds_read2_b32 v[44:45], v44 offset1:1
	ds_read2_b32 v[46:47], v46 offset1:1
	s_add_i32 s37, s38, s14
	s_waitcnt lgkmcnt(10)
	v_fma_f32 v23, -v12, v67, v23
	v_fma_f32 v22, -v13, v64, v22
	s_lshl_b32 s37, s37, 2
	s_waitcnt lgkmcnt(9)
	v_fma_f32 v23, -v19, v69, v23
	v_fma_f32 v22, -v12, v66, v22
	s_waitcnt lgkmcnt(3)
	v_fma_f32 v21, -v3, v41, v21
	v_mov_b32_e32 v41, s37
	s_add_i32 s37, s38, s18
	v_fma_f32 v23, -v18, v71, v23
	v_fma_f32 v22, -v19, v68, v22
	s_lshl_b32 s37, s37, 2
	v_fma_f32 v23, -v17, v73, v23
	v_fma_f32 v22, -v18, v70, v22
	s_waitcnt lgkmcnt(2)
	v_fma_f32 v21, -v2, v43, v21
	v_mov_b32_e32 v43, s37
	s_add_i32 s37, s38, s19
	v_fma_f32 v23, -v16, v75, v23
	v_fma_f32 v22, -v17, v72, v22
	s_lshl_b32 s37, s37, 2
	v_mul_f32_e32 v23, v77, v23
	v_fma_f32 v22, -v16, v74, v22
	s_waitcnt lgkmcnt(1)
	v_fma_f32 v21, -v1, v45, v21
	v_mov_b32_e32 v45, s37
	s_add_i32 s37, s38, s20
	v_fma_f32 v22, -v23, v76, v22
	s_lshl_b32 s37, s37, 2
	v_mul_f32_e32 v22, v49, v22
	ds_read2_b32 v[48:49], v41 offset1:1
	ds_read2_b32 v[50:51], v43 offset1:1
	;; [unrolled: 1-line block ×3, first 2 shown]
	v_mov_b32_e32 v41, s37
	s_add_i32 s37, s38, s21
	s_lshl_b32 s37, s37, 2
	ds_read2_b32 v[54:55], v41 offset1:1
	v_mov_b32_e32 v41, s37
	s_add_i32 s37, s38, s22
	s_lshl_b32 s37, s37, 2
	v_mov_b32_e32 v43, s37
	s_add_i32 s37, s38, s23
	s_lshl_b32 s37, s37, 2
	;; [unrolled: 3-line block ×3, first 2 shown]
	s_waitcnt lgkmcnt(4)
	v_fma_f32 v21, -v0, v47, v21
	v_mov_b32_e32 v47, s37
	s_add_i32 s37, s38, s24
	s_lshl_b32 s37, s37, 2
	ds_read2_b32 v[56:57], v41 offset1:1
	ds_read2_b32 v[58:59], v43 offset1:1
	;; [unrolled: 1-line block ×4, first 2 shown]
	v_mov_b32_e32 v41, s37
	s_add_i32 s37, s38, s27
	s_lshl_b32 s37, s37, 2
	v_mov_b32_e32 v43, s37
	s_add_i32 s37, s38, s28
	s_lshl_b32 s37, s37, 2
	;; [unrolled: 3-line block ×3, first 2 shown]
	v_fma_f32 v20, -v3, v40, v20
	ds_read2_b32 v[64:65], v41 offset1:1
	ds_read2_b32 v[66:67], v43 offset1:1
	;; [unrolled: 1-line block ×3, first 2 shown]
	v_mov_b32_e32 v41, s37
	s_add_i32 s37, s38, s30
	v_fma_f32 v20, -v2, v42, v20
	s_lshl_b32 s37, s37, 2
	v_fma_f32 v20, -v1, v44, v20
	s_waitcnt lgkmcnt(10)
	v_fma_f32 v21, -v7, v49, v21
	ds_read2_b32 v[70:71], v41 offset1:1
	v_mov_b32_e32 v41, s37
	s_add_i32 s37, s38, s31
	v_fma_f32 v20, -v0, v46, v20
	s_waitcnt lgkmcnt(10)
	v_fma_f32 v21, -v6, v51, v21
	s_lshl_b32 s37, s37, 2
	v_fma_f32 v20, -v7, v48, v20
	s_waitcnt lgkmcnt(9)
	v_fma_f32 v21, -v5, v53, v21
	v_mov_b32_e32 v43, s37
	s_add_i32 s37, s38, s33
	v_fma_f32 v20, -v6, v50, v20
	s_waitcnt lgkmcnt(8)
	v_fma_f32 v21, -v4, v55, v21
	s_lshl_b32 s37, s37, 2
	v_fma_f32 v20, -v5, v52, v20
	s_waitcnt lgkmcnt(7)
	v_fma_f32 v21, -v11, v57, v21
	;; [unrolled: 9-line block ×3, first 2 shown]
	v_mov_b32_e32 v47, s37
	s_add_i32 s37, s38, s34
	v_fma_f32 v20, -v10, v58, v20
	s_waitcnt lgkmcnt(4)
	v_fma_f32 v21, -v8, v63, v21
	s_lshl_b32 s37, s37, 2
	s_lshl_b32 s36, s36, 6
	v_fma_f32 v20, -v9, v60, v20
	s_waitcnt lgkmcnt(3)
	v_fma_f32 v21, -v15, v65, v21
	ds_read2_b32 v[72:73], v41 offset1:1
	ds_read2_b32 v[74:75], v43 offset1:1
	;; [unrolled: 1-line block ×4, first 2 shown]
	v_mov_b32_e32 v41, s37
	s_add_i32 s37, s38, s36
	v_fma_f32 v20, -v8, v62, v20
	s_waitcnt lgkmcnt(6)
	v_fma_f32 v21, -v14, v67, v21
	s_lshl_b32 s37, s37, 2
	v_fma_f32 v20, -v15, v64, v20
	s_waitcnt lgkmcnt(5)
	v_fma_f32 v21, -v13, v69, v21
	v_mov_b32_e32 v43, s37
	s_add_i32 s37, s11, 0xfffffa80
	v_fma_f32 v20, -v14, v66, v20
	s_waitcnt lgkmcnt(4)
	v_fma_f32 v21, -v12, v71, v21
	s_add_i32 s39, s38, s37
	v_fma_f32 v20, -v13, v68, v20
	s_waitcnt lgkmcnt(3)
	v_fma_f32 v21, -v19, v73, v21
	s_lshl_b32 s39, s39, 2
	v_fma_f32 v20, -v12, v70, v20
	s_waitcnt lgkmcnt(2)
	v_fma_f32 v21, -v18, v75, v21
	v_mov_b32_e32 v45, s39
	s_add_i32 s39, s9, 0xffffe8a4
	ds_read2_b32 v[80:81], v41 offset1:1
	ds_read2_b32 v[82:83], v43 offset1:1
	ds_read2_b32 v[84:85], v45 offset1:1
	v_fma_f32 v20, -v19, v72, v20
	s_waitcnt lgkmcnt(4)
	v_fma_f32 v21, -v17, v77, v21
	v_mov_b32_e32 v41, s39
	v_fma_f32 v20, -v18, v74, v20
	s_sub_i32 s40, s8, 25
	s_waitcnt lgkmcnt(3)
	v_fma_f32 v21, -v16, v79, v21
	ds_read_b32 v41, v41
	v_fma_f32 v20, -v17, v76, v20
	s_add_i32 s39, s40, s11
	s_waitcnt lgkmcnt(3)
	v_fma_f32 v21, -v23, v81, v21
	v_fma_f32 v20, -v16, v78, v20
	s_lshl_b32 s39, s39, 2
	s_waitcnt lgkmcnt(2)
	v_fma_f32 v21, -v22, v83, v21
	v_fma_f32 v20, -v23, v80, v20
	v_mov_b32_e32 v40, s39
	s_add_i32 s39, s40, s12
	s_waitcnt lgkmcnt(1)
	v_mul_f32_e32 v21, v85, v21
	v_fma_f32 v20, -v22, v82, v20
	s_lshl_b32 s39, s39, 2
	v_fma_f32 v20, -v21, v84, v20
	v_mov_b32_e32 v42, s39
	s_add_i32 s39, s40, s13
	s_waitcnt lgkmcnt(0)
	v_mul_f32_e32 v20, v41, v20
	s_lshl_b32 s39, s39, 2
	global_store_dwordx4 v[38:39], v[20:23], off offset:-92
	v_mov_b32_e32 v44, s39
	s_add_i32 s39, s40, s15
	s_lshl_b32 s39, s39, 2
	ds_read2_b32 v[40:41], v40 offset1:1
	ds_read2_b32 v[42:43], v42 offset1:1
	;; [unrolled: 1-line block ×3, first 2 shown]
	v_mov_b32_e32 v46, s39
	s_add_i32 s39, s40, s14
	s_lshl_b32 s39, s39, 2
	s_waitcnt lgkmcnt(2)
	v_fma_f32 v27, -v3, v41, v27
	v_mov_b32_e32 v41, s39
	s_add_i32 s39, s40, s18
	s_lshl_b32 s39, s39, 2
	s_waitcnt lgkmcnt(1)
	v_fma_f32 v27, -v2, v43, v27
	;; [unrolled: 5-line block ×3, first 2 shown]
	v_mov_b32_e32 v45, s39
	s_add_i32 s39, s40, s20
	s_lshl_b32 s39, s39, 2
	v_mov_b32_e32 v54, s39
	s_add_i32 s39, s40, s21
	s_lshl_b32 s39, s39, 2
	ds_read2_b32 v[46:47], v46 offset1:1
	ds_read2_b32 v[48:49], v41 offset1:1
	;; [unrolled: 1-line block ×5, first 2 shown]
	v_mov_b32_e32 v41, s39
	s_add_i32 s39, s40, s22
	s_lshl_b32 s39, s39, 2
	v_mov_b32_e32 v43, s39
	s_add_i32 s39, s40, s23
	s_lshl_b32 s39, s39, 2
	;; [unrolled: 3-line block ×3, first 2 shown]
	ds_read2_b32 v[56:57], v41 offset1:1
	ds_read2_b32 v[58:59], v43 offset1:1
	;; [unrolled: 1-line block ×3, first 2 shown]
	v_mov_b32_e32 v41, s39
	s_add_i32 s39, s40, s24
	s_lshl_b32 s39, s39, 2
	ds_read2_b32 v[62:63], v41 offset1:1
	v_mov_b32_e32 v41, s39
	s_add_i32 s39, s40, s27
	s_lshl_b32 s39, s39, 2
	v_mov_b32_e32 v43, s39
	s_add_i32 s39, s40, s28
	s_lshl_b32 s39, s39, 2
	;; [unrolled: 3-line block ×3, first 2 shown]
	s_waitcnt lgkmcnt(8)
	v_fma_f32 v27, -v0, v47, v27
	v_mov_b32_e32 v47, s39
	s_add_i32 s39, s40, s30
	s_lshl_b32 s39, s39, 2
	ds_read2_b32 v[64:65], v41 offset1:1
	ds_read2_b32 v[66:67], v43 offset1:1
	;; [unrolled: 1-line block ×4, first 2 shown]
	v_mov_b32_e32 v41, s39
	s_add_i32 s39, s40, s31
	s_lshl_b32 s39, s39, 2
	v_mov_b32_e32 v43, s39
	s_add_i32 s39, s40, s33
	s_lshl_b32 s39, s39, 2
	v_mov_b32_e32 v45, s39
	s_add_i32 s39, s40, s35
	v_fma_f32 v26, -v3, v40, v26
	s_lshl_b32 s39, s39, 2
	v_fma_f32 v26, -v2, v42, v26
	ds_read2_b32 v[72:73], v41 offset1:1
	ds_read2_b32 v[74:75], v43 offset1:1
	;; [unrolled: 1-line block ×3, first 2 shown]
	v_mov_b32_e32 v41, s39
	s_add_i32 s39, s40, s34
	v_fma_f32 v26, -v1, v44, v26
	s_waitcnt lgkmcnt(14)
	v_fma_f32 v27, -v7, v49, v27
	s_lshl_b32 s39, s39, 2
	v_fma_f32 v26, -v0, v46, v26
	s_waitcnt lgkmcnt(13)
	v_fma_f32 v27, -v6, v51, v27
	ds_read2_b32 v[78:79], v41 offset1:1
	v_mov_b32_e32 v41, s39
	s_add_i32 s39, s40, s36
	v_fma_f32 v26, -v7, v48, v26
	s_waitcnt lgkmcnt(13)
	v_fma_f32 v27, -v5, v53, v27
	s_lshl_b32 s39, s39, 2
	v_fma_f32 v26, -v6, v50, v26
	s_waitcnt lgkmcnt(12)
	v_fma_f32 v27, -v4, v55, v27
	v_mov_b32_e32 v43, s39
	s_add_i32 s39, s40, s37
	v_fma_f32 v26, -v5, v52, v26
	s_waitcnt lgkmcnt(11)
	v_fma_f32 v27, -v11, v57, v27
	s_lshl_b32 s39, s39, 2
	s_lshl_b32 s38, s38, 6
	v_fma_f32 v26, -v4, v54, v26
	s_waitcnt lgkmcnt(10)
	v_fma_f32 v27, -v10, v59, v27
	v_mov_b32_e32 v45, s39
	s_add_i32 s39, s40, s38
	v_fma_f32 v26, -v11, v56, v26
	s_waitcnt lgkmcnt(9)
	v_fma_f32 v27, -v9, v61, v27
	s_lshl_b32 s39, s39, 2
	v_fma_f32 v26, -v10, v58, v26
	s_waitcnt lgkmcnt(8)
	v_fma_f32 v27, -v8, v63, v27
	v_mov_b32_e32 v47, s39
	s_add_i32 s39, s11, 0xfffffa00
	v_fma_f32 v26, -v9, v60, v26
	s_waitcnt lgkmcnt(7)
	v_fma_f32 v27, -v15, v65, v27
	s_add_i32 s41, s40, s39
	v_fma_f32 v26, -v8, v62, v26
	s_waitcnt lgkmcnt(6)
	v_fma_f32 v27, -v14, v67, v27
	s_lshl_b32 s41, s41, 2
	v_fma_f32 v26, -v15, v64, v26
	s_waitcnt lgkmcnt(5)
	v_fma_f32 v27, -v13, v69, v27
	ds_read2_b32 v[80:81], v41 offset1:1
	ds_read2_b32 v[82:83], v43 offset1:1
	;; [unrolled: 1-line block ×4, first 2 shown]
	v_mov_b32_e32 v41, s41
	s_add_i32 s41, s9, 0xffffe69c
	s_sub_i32 s43, s8, 27
	v_fma_f32 v26, -v14, v66, v26
	s_waitcnt lgkmcnt(8)
	v_fma_f32 v27, -v12, v71, v27
	v_mov_b32_e32 v43, s41
	s_add_i32 s41, s43, s11
	v_fma_f32 v26, -v13, v68, v26
	s_waitcnt lgkmcnt(7)
	v_fma_f32 v27, -v19, v73, v27
	s_lshl_b32 s41, s41, 2
	v_fma_f32 v26, -v12, v70, v26
	s_waitcnt lgkmcnt(6)
	v_fma_f32 v27, -v18, v75, v27
	v_mov_b32_e32 v45, s41
	s_add_i32 s41, s43, s12
	v_fma_f32 v26, -v19, v72, v26
	s_waitcnt lgkmcnt(5)
	v_fma_f32 v27, -v17, v77, v27
	s_lshl_b32 s41, s41, 2
	v_fma_f32 v26, -v18, v74, v26
	s_waitcnt lgkmcnt(4)
	v_fma_f32 v27, -v16, v79, v27
	ds_read2_b32 v[88:89], v41 offset1:1
	v_mov_b32_e32 v41, s41
	v_fma_f32 v26, -v17, v76, v26
	s_add_i32 s41, s43, s13
	s_waitcnt lgkmcnt(4)
	v_fma_f32 v27, -v23, v81, v27
	v_fma_f32 v26, -v16, v78, v26
	s_lshl_b32 s41, s41, 2
	s_waitcnt lgkmcnt(3)
	v_fma_f32 v27, -v22, v83, v27
	v_fma_f32 v26, -v23, v80, v26
	v_mov_b32_e32 v40, s41
	s_add_i32 s41, s43, s15
	s_waitcnt lgkmcnt(2)
	v_fma_f32 v27, -v21, v85, v27
	v_fma_f32 v26, -v22, v82, v26
	s_lshl_b32 s41, s41, 2
	s_waitcnt lgkmcnt(1)
	v_fma_f32 v27, -v20, v87, v27
	ds_read_b32 v43, v43
	ds_read2_b32 v[90:91], v45 offset1:1
	ds_read2_b32 v[92:93], v41 offset1:1
	v_fma_f32 v26, -v21, v84, v26
	v_mov_b32_e32 v42, s41
	s_add_i32 s41, s43, s14
	s_waitcnt lgkmcnt(3)
	v_mul_f32_e32 v27, v89, v27
	v_fma_f32 v26, -v20, v86, v26
	s_lshl_b32 s41, s41, 2
	v_fma_f32 v26, -v27, v88, v26
	v_mov_b32_e32 v44, s41
	s_add_i32 s41, s43, s18
	s_waitcnt lgkmcnt(2)
	v_mul_f32_e32 v26, v43, v26
	s_lshl_b32 s41, s41, 2
	ds_read2_b32 v[40:41], v40 offset1:1
	ds_read2_b32 v[42:43], v42 offset1:1
	;; [unrolled: 1-line block ×3, first 2 shown]
	s_waitcnt lgkmcnt(4)
	v_fma_f32 v25, -v3, v91, v25
	v_mov_b32_e32 v46, s41
	s_add_i32 s41, s43, s19
	s_waitcnt lgkmcnt(3)
	v_fma_f32 v25, -v2, v93, v25
	s_lshl_b32 s41, s41, 2
	s_waitcnt lgkmcnt(2)
	v_fma_f32 v25, -v1, v41, v25
	v_mov_b32_e32 v41, s41
	s_add_i32 s41, s43, s20
	s_lshl_b32 s41, s41, 2
	s_waitcnt lgkmcnt(1)
	v_fma_f32 v25, -v0, v43, v25
	v_mov_b32_e32 v43, s41
	s_add_i32 s41, s43, s21
	;; [unrolled: 5-line block ×3, first 2 shown]
	s_lshl_b32 s41, s41, 2
	v_mov_b32_e32 v54, s41
	s_add_i32 s41, s43, s23
	s_lshl_b32 s41, s41, 2
	ds_read2_b32 v[46:47], v46 offset1:1
	ds_read2_b32 v[48:49], v41 offset1:1
	;; [unrolled: 1-line block ×5, first 2 shown]
	v_mov_b32_e32 v41, s41
	s_add_i32 s41, s43, s25
	s_lshl_b32 s41, s41, 2
	v_mov_b32_e32 v43, s41
	s_add_i32 s41, s43, s24
	s_lshl_b32 s41, s41, 2
	;; [unrolled: 3-line block ×3, first 2 shown]
	ds_read2_b32 v[56:57], v41 offset1:1
	ds_read2_b32 v[58:59], v43 offset1:1
	;; [unrolled: 1-line block ×3, first 2 shown]
	v_mov_b32_e32 v41, s41
	s_add_i32 s41, s43, s28
	s_lshl_b32 s41, s41, 2
	ds_read2_b32 v[62:63], v41 offset1:1
	v_mov_b32_e32 v41, s41
	s_add_i32 s41, s43, s29
	s_lshl_b32 s41, s41, 2
	v_mov_b32_e32 v43, s41
	s_add_i32 s41, s43, s30
	s_lshl_b32 s41, s41, 2
	;; [unrolled: 3-line block ×3, first 2 shown]
	s_waitcnt lgkmcnt(8)
	v_fma_f32 v25, -v6, v47, v25
	v_mov_b32_e32 v47, s41
	s_add_i32 s41, s43, s33
	s_lshl_b32 s41, s41, 2
	ds_read2_b32 v[64:65], v41 offset1:1
	ds_read2_b32 v[66:67], v43 offset1:1
	;; [unrolled: 1-line block ×4, first 2 shown]
	v_mov_b32_e32 v41, s41
	s_add_i32 s41, s43, s35
	s_lshl_b32 s41, s41, 2
	v_fma_f32 v24, -v3, v90, v24
	v_mov_b32_e32 v43, s41
	s_add_i32 s41, s43, s34
	v_fma_f32 v24, -v2, v92, v24
	s_lshl_b32 s41, s41, 2
	v_fma_f32 v24, -v1, v40, v24
	v_mov_b32_e32 v45, s41
	s_add_i32 s41, s43, s36
	v_fma_f32 v24, -v0, v42, v24
	s_lshl_b32 s41, s41, 2
	v_fma_f32 v24, -v7, v44, v24
	s_waitcnt lgkmcnt(11)
	v_fma_f32 v25, -v5, v49, v25
	ds_read2_b32 v[72:73], v41 offset1:1
	ds_read2_b32 v[74:75], v43 offset1:1
	;; [unrolled: 1-line block ×3, first 2 shown]
	v_mov_b32_e32 v41, s41
	s_add_i32 s41, s43, s37
	v_fma_f32 v24, -v6, v46, v24
	s_waitcnt lgkmcnt(13)
	v_fma_f32 v25, -v4, v51, v25
	s_lshl_b32 s41, s41, 2
	v_fma_f32 v24, -v5, v48, v24
	s_waitcnt lgkmcnt(12)
	v_fma_f32 v25, -v11, v53, v25
	ds_read2_b32 v[78:79], v41 offset1:1
	v_mov_b32_e32 v41, s41
	s_add_i32 s41, s43, s38
	v_fma_f32 v24, -v4, v50, v24
	s_waitcnt lgkmcnt(12)
	v_fma_f32 v25, -v10, v55, v25
	s_lshl_b32 s41, s41, 2
	v_fma_f32 v24, -v11, v52, v24
	s_waitcnt lgkmcnt(11)
	v_fma_f32 v25, -v9, v57, v25
	v_mov_b32_e32 v43, s41
	s_add_i32 s41, s43, s39
	v_fma_f32 v24, -v10, v54, v24
	s_waitcnt lgkmcnt(10)
	v_fma_f32 v25, -v8, v59, v25
	s_lshl_b32 s41, s41, 2
	s_lshl_b32 s40, s40, 6
	v_fma_f32 v24, -v9, v56, v24
	s_waitcnt lgkmcnt(9)
	v_fma_f32 v25, -v15, v61, v25
	v_mov_b32_e32 v45, s41
	s_add_i32 s41, s43, s40
	v_fma_f32 v24, -v8, v58, v24
	s_waitcnt lgkmcnt(8)
	v_fma_f32 v25, -v14, v63, v25
	s_lshl_b32 s41, s41, 2
	v_fma_f32 v24, -v15, v60, v24
	s_waitcnt lgkmcnt(7)
	v_fma_f32 v25, -v13, v65, v25
	v_mov_b32_e32 v47, s41
	s_add_i32 s41, s11, 0xfffff980
	v_fma_f32 v24, -v14, v62, v24
	s_waitcnt lgkmcnt(6)
	v_fma_f32 v25, -v12, v67, v25
	s_add_i32 s42, s43, s41
	v_fma_f32 v24, -v13, v64, v24
	s_waitcnt lgkmcnt(5)
	v_fma_f32 v25, -v19, v69, v25
	s_lshl_b32 s42, s42, 2
	v_fma_f32 v24, -v12, v66, v24
	s_waitcnt lgkmcnt(4)
	v_fma_f32 v25, -v18, v71, v25
	ds_read2_b32 v[80:81], v41 offset1:1
	ds_read2_b32 v[82:83], v43 offset1:1
	;; [unrolled: 1-line block ×4, first 2 shown]
	v_mov_b32_e32 v41, s42
	s_add_i32 s42, s9, 0xffffe494
	v_fma_f32 v24, -v19, v68, v24
	s_waitcnt lgkmcnt(7)
	v_fma_f32 v25, -v17, v73, v25
	v_mov_b32_e32 v43, s42
	s_sub_i32 s42, s8, 29
	v_fma_f32 v24, -v18, v70, v24
	s_waitcnt lgkmcnt(6)
	v_fma_f32 v25, -v16, v75, v25
	s_add_i32 s44, s42, s11
	v_fma_f32 v24, -v17, v72, v24
	s_waitcnt lgkmcnt(5)
	v_fma_f32 v25, -v23, v77, v25
	s_lshl_b32 s44, s44, 2
	v_fma_f32 v24, -v16, v74, v24
	s_waitcnt lgkmcnt(4)
	v_fma_f32 v25, -v22, v79, v25
	v_mov_b32_e32 v45, s44
	s_add_i32 s44, s42, s12
	ds_read2_b32 v[88:89], v41 offset1:1
	v_fma_f32 v24, -v23, v76, v24
	s_waitcnt lgkmcnt(4)
	v_fma_f32 v25, -v21, v81, v25
	s_lshl_b32 s44, s44, 2
	v_fma_f32 v24, -v22, v78, v24
	s_waitcnt lgkmcnt(3)
	v_fma_f32 v25, -v20, v83, v25
	v_mov_b32_e32 v41, s44
	v_fma_f32 v24, -v21, v80, v24
	s_add_i32 s44, s42, s13
	s_waitcnt lgkmcnt(2)
	v_fma_f32 v25, -v27, v85, v25
	v_fma_f32 v24, -v20, v82, v24
	s_lshl_b32 s44, s44, 2
	s_waitcnt lgkmcnt(1)
	v_fma_f32 v25, -v26, v87, v25
	ds_read_b32 v43, v43
	ds_read2_b32 v[94:95], v45 offset1:1
	ds_read2_b32 v[96:97], v41 offset1:1
	v_fma_f32 v24, -v27, v84, v24
	v_mov_b32_e32 v40, s44
	s_add_i32 s44, s42, s15
	s_waitcnt lgkmcnt(3)
	v_mul_f32_e32 v25, v89, v25
	v_fma_f32 v24, -v26, v86, v24
	s_lshl_b32 s44, s44, 2
	v_fma_f32 v24, -v25, v88, v24
	v_mov_b32_e32 v42, s44
	s_add_i32 s44, s42, s14
	s_waitcnt lgkmcnt(2)
	v_mul_f32_e32 v24, v43, v24
	s_lshl_b32 s44, s44, 2
	global_store_dwordx4 v[38:39], v[24:27], off offset:-108
	v_mov_b32_e32 v44, s44
	s_add_i32 s44, s42, s18
	s_lshl_b32 s44, s44, 2
	ds_read2_b32 v[40:41], v40 offset1:1
	ds_read2_b32 v[42:43], v42 offset1:1
	;; [unrolled: 1-line block ×3, first 2 shown]
	s_waitcnt lgkmcnt(4)
	v_fma_f32 v31, -v3, v95, v31
	v_mov_b32_e32 v46, s44
	s_add_i32 s44, s42, s19
	s_waitcnt lgkmcnt(3)
	v_fma_f32 v31, -v2, v97, v31
	s_lshl_b32 s44, s44, 2
	s_waitcnt lgkmcnt(2)
	v_fma_f32 v31, -v1, v41, v31
	v_mov_b32_e32 v41, s44
	s_add_i32 s44, s42, s20
	s_lshl_b32 s44, s44, 2
	s_waitcnt lgkmcnt(1)
	v_fma_f32 v31, -v0, v43, v31
	v_mov_b32_e32 v43, s44
	s_add_i32 s44, s42, s21
	;; [unrolled: 5-line block ×3, first 2 shown]
	s_lshl_b32 s44, s44, 2
	v_mov_b32_e32 v54, s44
	s_add_i32 s44, s42, s23
	s_lshl_b32 s44, s44, 2
	ds_read2_b32 v[46:47], v46 offset1:1
	ds_read2_b32 v[48:49], v41 offset1:1
	;; [unrolled: 1-line block ×5, first 2 shown]
	v_mov_b32_e32 v41, s44
	s_add_i32 s44, s42, s25
	s_lshl_b32 s44, s44, 2
	v_mov_b32_e32 v43, s44
	s_add_i32 s44, s42, s24
	s_lshl_b32 s44, s44, 2
	;; [unrolled: 3-line block ×3, first 2 shown]
	ds_read2_b32 v[56:57], v41 offset1:1
	ds_read2_b32 v[58:59], v43 offset1:1
	;; [unrolled: 1-line block ×3, first 2 shown]
	v_mov_b32_e32 v41, s44
	s_add_i32 s44, s42, s28
	s_lshl_b32 s44, s44, 2
	ds_read2_b32 v[62:63], v41 offset1:1
	v_mov_b32_e32 v41, s44
	s_add_i32 s44, s42, s29
	s_lshl_b32 s44, s44, 2
	v_mov_b32_e32 v43, s44
	s_add_i32 s44, s42, s30
	s_lshl_b32 s44, s44, 2
	;; [unrolled: 3-line block ×3, first 2 shown]
	s_waitcnt lgkmcnt(8)
	v_fma_f32 v31, -v6, v47, v31
	v_mov_b32_e32 v47, s44
	s_add_i32 s44, s42, s33
	s_lshl_b32 s44, s44, 2
	ds_read2_b32 v[64:65], v41 offset1:1
	ds_read2_b32 v[66:67], v43 offset1:1
	;; [unrolled: 1-line block ×4, first 2 shown]
	v_mov_b32_e32 v41, s44
	s_add_i32 s44, s42, s35
	s_lshl_b32 s44, s44, 2
	v_mov_b32_e32 v43, s44
	s_add_i32 s44, s42, s34
	s_lshl_b32 s44, s44, 2
	;; [unrolled: 3-line block ×3, first 2 shown]
	ds_read2_b32 v[72:73], v41 offset1:1
	ds_read2_b32 v[74:75], v43 offset1:1
	;; [unrolled: 1-line block ×3, first 2 shown]
	v_mov_b32_e32 v41, s44
	s_add_i32 s44, s42, s37
	s_lshl_b32 s44, s44, 2
	ds_read2_b32 v[78:79], v41 offset1:1
	v_mov_b32_e32 v41, s44
	s_add_i32 s44, s42, s38
	s_lshl_b32 s44, s44, 2
	v_mov_b32_e32 v43, s44
	s_add_i32 s44, s42, s39
	v_fma_f32 v30, -v3, v94, v30
	s_lshl_b32 s44, s44, 2
	v_fma_f32 v30, -v2, v96, v30
	v_mov_b32_e32 v45, s44
	s_add_i32 s44, s42, s40
	v_fma_f32 v30, -v1, v40, v30
	s_lshl_b32 s44, s44, 2
	v_fma_f32 v30, -v0, v42, v30
	v_mov_b32_e32 v47, s44
	s_add_i32 s44, s42, s41
	v_fma_f32 v30, -v7, v44, v30
	s_waitcnt lgkmcnt(14)
	v_fma_f32 v31, -v5, v49, v31
	s_lshl_b32 s44, s44, 2
	v_fma_f32 v30, -v6, v46, v30
	v_fma_f32 v31, -v4, v51, v31
	ds_read2_b32 v[80:81], v41 offset1:1
	ds_read2_b32 v[82:83], v43 offset1:1
	;; [unrolled: 1-line block ×4, first 2 shown]
	v_mov_b32_e32 v41, s44
	s_lshl_b32 s44, s43, 6
	v_fma_f32 v30, -v5, v48, v30
	s_waitcnt lgkmcnt(14)
	v_fma_f32 v31, -v11, v53, v31
	s_add_i32 s43, s42, s44
	v_fma_f32 v30, -v4, v50, v30
	v_fma_f32 v31, -v10, v55, v31
	s_lshl_b32 s43, s43, 2
	v_fma_f32 v30, -v11, v52, v30
	v_fma_f32 v31, -v9, v57, v31
	v_mov_b32_e32 v43, s43
	s_add_i32 s43, s11, 0xfffff900
	v_fma_f32 v30, -v10, v54, v30
	v_fma_f32 v31, -v8, v59, v31
	s_add_i32 s45, s42, s43
	v_fma_f32 v30, -v9, v56, v30
	s_waitcnt lgkmcnt(13)
	v_fma_f32 v31, -v15, v61, v31
	s_lshl_b32 s45, s45, 2
	v_fma_f32 v30, -v8, v58, v30
	s_waitcnt lgkmcnt(12)
	v_fma_f32 v31, -v14, v63, v31
	v_mov_b32_e32 v45, s45
	s_add_i32 s45, s9, 0xffffe28c
	v_fma_f32 v30, -v15, v60, v30
	s_waitcnt lgkmcnt(11)
	v_fma_f32 v31, -v13, v65, v31
	ds_read2_b32 v[88:89], v41 offset1:1
	ds_read2_b32 v[90:91], v43 offset1:1
	;; [unrolled: 1-line block ×3, first 2 shown]
	v_mov_b32_e32 v41, s45
	v_fma_f32 v30, -v14, v62, v30
	s_sub_i32 s45, s8, 31
	s_waitcnt lgkmcnt(13)
	v_fma_f32 v31, -v12, v67, v31
	v_fma_f32 v30, -v13, v64, v30
	s_add_i32 s12, s45, s12
	s_waitcnt lgkmcnt(12)
	v_fma_f32 v31, -v19, v69, v31
	v_fma_f32 v30, -v12, v66, v30
	s_lshl_b32 s12, s12, 2
	s_waitcnt lgkmcnt(11)
	v_fma_f32 v31, -v18, v71, v31
	v_fma_f32 v30, -v19, v68, v30
	v_mov_b32_e32 v42, s12
	s_add_i32 s12, s45, s13
	s_waitcnt lgkmcnt(10)
	v_fma_f32 v31, -v17, v73, v31
	v_fma_f32 v30, -v18, v70, v30
	s_lshl_b32 s12, s12, 2
	s_waitcnt lgkmcnt(9)
	v_fma_f32 v31, -v16, v75, v31
	v_fma_f32 v30, -v17, v72, v30
	s_add_i32 s11, s45, s11
	v_mov_b32_e32 v44, s12
	s_add_i32 s12, s45, s15
	s_waitcnt lgkmcnt(8)
	v_fma_f32 v31, -v23, v77, v31
	v_fma_f32 v30, -v16, v74, v30
	s_lshl_b32 s11, s11, 2
	s_lshl_b32 s12, s12, 2
	s_waitcnt lgkmcnt(7)
	v_fma_f32 v31, -v22, v79, v31
	v_fma_f32 v30, -v23, v76, v30
	v_mov_b32_e32 v40, s11
	v_mov_b32_e32 v46, s12
	s_waitcnt lgkmcnt(6)
	v_fma_f32 v31, -v21, v81, v31
	ds_read_b32 v49, v41
	v_fma_f32 v30, -v22, v78, v30
	ds_read2_b32 v[40:41], v40 offset1:1
	ds_read2_b32 v[42:43], v42 offset1:1
	ds_read2_b32 v[44:45], v44 offset1:1
	ds_read2_b32 v[46:47], v46 offset1:1
	s_add_i32 s12, s45, s14
	s_waitcnt lgkmcnt(10)
	v_fma_f32 v31, -v20, v83, v31
	v_fma_f32 v30, -v21, v80, v30
	s_lshl_b32 s12, s12, 2
	s_waitcnt lgkmcnt(9)
	v_fma_f32 v31, -v27, v85, v31
	v_fma_f32 v30, -v20, v82, v30
	s_waitcnt lgkmcnt(3)
	v_fma_f32 v29, -v3, v41, v29
	v_mov_b32_e32 v41, s12
	s_add_i32 s12, s45, s18
	v_fma_f32 v31, -v26, v87, v31
	v_fma_f32 v30, -v27, v84, v30
	s_lshl_b32 s12, s12, 2
	v_fma_f32 v31, -v25, v89, v31
	v_fma_f32 v30, -v26, v86, v30
	s_waitcnt lgkmcnt(2)
	v_fma_f32 v29, -v2, v43, v29
	v_mov_b32_e32 v43, s12
	s_add_i32 s12, s45, s19
	v_fma_f32 v31, -v24, v91, v31
	v_fma_f32 v30, -v25, v88, v30
	s_lshl_b32 s12, s12, 2
	v_mul_f32_e32 v31, v93, v31
	v_fma_f32 v30, -v24, v90, v30
	s_waitcnt lgkmcnt(1)
	v_fma_f32 v29, -v1, v45, v29
	v_mov_b32_e32 v45, s12
	s_add_i32 s12, s45, s20
	v_fma_f32 v30, -v31, v92, v30
	s_lshl_b32 s12, s12, 2
	v_mul_f32_e32 v30, v49, v30
	ds_read2_b32 v[48:49], v41 offset1:1
	ds_read2_b32 v[50:51], v43 offset1:1
	ds_read2_b32 v[52:53], v45 offset1:1
	v_mov_b32_e32 v41, s12
	s_add_i32 s12, s45, s21
	s_lshl_b32 s12, s12, 2
	ds_read2_b32 v[54:55], v41 offset1:1
	v_mov_b32_e32 v41, s12
	s_add_i32 s12, s45, s22
	s_lshl_b32 s12, s12, 2
	v_mov_b32_e32 v43, s12
	s_add_i32 s12, s45, s23
	s_lshl_b32 s12, s12, 2
	;; [unrolled: 3-line block ×3, first 2 shown]
	s_waitcnt lgkmcnt(4)
	v_fma_f32 v29, -v0, v47, v29
	v_mov_b32_e32 v47, s12
	s_add_i32 s12, s45, s24
	s_lshl_b32 s12, s12, 2
	ds_read2_b32 v[56:57], v41 offset1:1
	ds_read2_b32 v[58:59], v43 offset1:1
	;; [unrolled: 1-line block ×4, first 2 shown]
	v_mov_b32_e32 v41, s12
	s_add_i32 s12, s45, s27
	s_lshl_b32 s12, s12, 2
	v_mov_b32_e32 v43, s12
	s_add_i32 s12, s45, s28
	s_lshl_b32 s12, s12, 2
	v_mov_b32_e32 v45, s12
	s_add_i32 s12, s45, s29
	s_lshl_b32 s12, s12, 2
	ds_read2_b32 v[64:65], v41 offset1:1
	ds_read2_b32 v[66:67], v43 offset1:1
	;; [unrolled: 1-line block ×3, first 2 shown]
	v_mov_b32_e32 v41, s12
	s_add_i32 s12, s45, s30
	s_lshl_b32 s12, s12, 2
	ds_read2_b32 v[70:71], v41 offset1:1
	v_mov_b32_e32 v41, s12
	s_add_i32 s12, s45, s31
	s_lshl_b32 s12, s12, 2
	v_mov_b32_e32 v43, s12
	s_add_i32 s12, s45, s33
	s_lshl_b32 s12, s12, 2
	v_fma_f32 v3, -v3, v40, v28
	v_mov_b32_e32 v45, s12
	s_add_i32 s12, s45, s35
	v_fma_f32 v2, -v2, v42, v3
	s_lshl_b32 s12, s12, 2
	v_fma_f32 v1, -v1, v44, v2
	s_waitcnt lgkmcnt(11)
	v_fma_f32 v29, -v7, v49, v29
	v_mov_b32_e32 v47, s12
	s_add_i32 s12, s45, s34
	v_fma_f32 v0, -v0, v46, v1
	s_waitcnt lgkmcnt(10)
	v_fma_f32 v29, -v6, v51, v29
	s_lshl_b32 s12, s12, 2
	v_fma_f32 v0, -v7, v48, v0
	s_waitcnt lgkmcnt(9)
	v_fma_f32 v29, -v5, v53, v29
	ds_read2_b32 v[72:73], v41 offset1:1
	ds_read2_b32 v[74:75], v43 offset1:1
	;; [unrolled: 1-line block ×4, first 2 shown]
	v_mov_b32_e32 v41, s12
	s_add_i32 s12, s45, s36
	v_fma_f32 v0, -v6, v50, v0
	s_waitcnt lgkmcnt(12)
	v_fma_f32 v29, -v4, v55, v29
	s_lshl_b32 s12, s12, 2
	v_fma_f32 v0, -v5, v52, v0
	s_waitcnt lgkmcnt(11)
	v_fma_f32 v29, -v11, v57, v29
	v_mov_b32_e32 v43, s12
	s_add_i32 s12, s45, s37
	v_fma_f32 v0, -v4, v54, v0
	s_waitcnt lgkmcnt(10)
	v_fma_f32 v29, -v10, v59, v29
	s_lshl_b32 s12, s12, 2
	v_fma_f32 v0, -v11, v56, v0
	s_waitcnt lgkmcnt(9)
	v_fma_f32 v29, -v9, v61, v29
	;; [unrolled: 9-line block ×3, first 2 shown]
	ds_read2_b32 v[80:81], v41 offset1:1
	ds_read2_b32 v[82:83], v43 offset1:1
	;; [unrolled: 1-line block ×3, first 2 shown]
	v_mov_b32_e32 v41, s12
	s_add_i32 s12, s45, s39
	v_fma_f32 v0, -v8, v62, v0
	s_waitcnt lgkmcnt(9)
	v_fma_f32 v29, -v14, v67, v29
	s_lshl_b32 s12, s12, 2
	v_fma_f32 v0, -v15, v64, v0
	s_waitcnt lgkmcnt(8)
	v_fma_f32 v29, -v13, v69, v29
	ds_read2_b32 v[86:87], v41 offset1:1
	v_mov_b32_e32 v41, s12
	s_add_i32 s12, s45, s40
	v_fma_f32 v0, -v14, v66, v0
	s_waitcnt lgkmcnt(8)
	v_fma_f32 v29, -v12, v71, v29
	s_lshl_b32 s12, s12, 2
	v_fma_f32 v0, -v13, v68, v0
	s_waitcnt lgkmcnt(7)
	v_fma_f32 v29, -v19, v73, v29
	v_mov_b32_e32 v43, s12
	s_add_i32 s12, s45, s41
	v_fma_f32 v0, -v12, v70, v0
	s_waitcnt lgkmcnt(6)
	v_fma_f32 v29, -v18, v75, v29
	s_lshl_b32 s12, s12, 2
	v_fma_f32 v0, -v19, v72, v0
	s_waitcnt lgkmcnt(5)
	v_fma_f32 v29, -v17, v77, v29
	;; [unrolled: 9-line block ×4, first 2 shown]
	ds_read2_b32 v[88:89], v41 offset1:1
	ds_read2_b32 v[90:91], v43 offset1:1
	;; [unrolled: 1-line block ×4, first 2 shown]
	v_mov_b32_e32 v41, s12
	s_lshl_b32 s12, s42, 6
	v_fma_f32 v0, -v22, v82, v0
	s_waitcnt lgkmcnt(4)
	v_fma_f32 v29, -v20, v87, v29
	s_add_i32 s45, s45, s12
	v_fma_f32 v0, -v21, v84, v0
	s_waitcnt lgkmcnt(3)
	v_fma_f32 v29, -v27, v89, v29
	s_lshl_b32 s12, s45, 2
	s_addk_i32 s11, 0xe200
	v_fma_f32 v0, -v20, v86, v0
	s_waitcnt lgkmcnt(2)
	v_fma_f32 v29, -v26, v91, v29
	v_mov_b32_e32 v43, s12
	v_mov_b32_e32 v45, s11
	s_addk_i32 s9, 0xe084
	ds_read2_b32 v[96:97], v41 offset1:1
	ds_read2_b32 v[98:99], v43 offset1:1
	;; [unrolled: 1-line block ×3, first 2 shown]
	v_fma_f32 v0, -v27, v88, v0
	s_waitcnt lgkmcnt(4)
	v_fma_f32 v29, -v25, v93, v29
	v_mov_b32_e32 v41, s9
	v_fma_f32 v0, -v26, v90, v0
	s_waitcnt lgkmcnt(3)
	v_fma_f32 v29, -v24, v95, v29
	ds_read_b32 v41, v41
	v_fma_f32 v0, -v25, v92, v0
	s_waitcnt lgkmcnt(3)
	v_fma_f32 v29, -v31, v97, v29
	v_fma_f32 v0, -v24, v94, v0
	s_waitcnt lgkmcnt(2)
	v_fma_f32 v29, -v30, v99, v29
	v_fma_f32 v0, -v31, v96, v0
	s_waitcnt lgkmcnt(1)
	v_mul_f32_e32 v29, v101, v29
	v_fma_f32 v0, -v30, v98, v0
	v_fma_f32 v0, -v29, v100, v0
	s_sub_i32 s12, s8, 32
	s_addk_i32 s7, 0xff80
	s_waitcnt lgkmcnt(0)
	v_mul_f32_e32 v28, v41, v0
	s_cmp_gt_i32 s8, 62
	global_store_dwordx4 v[38:39], v[28:31], off offset:-124
	s_cbranch_scc0 .LBB42_57
; %bb.56:                               ;   in Loop: Header=BB42_53 Depth=1
	s_mov_b32 s8, s12
	s_branch .LBB42_53
.LBB42_57:
	s_cmp_gt_i32 s12, -1
	s_cbranch_scc0 .LBB42_82
; %bb.58:
	s_cmp_lt_u32 s12, 3
	s_cbranch_scc1 .LBB42_64
; %bb.59:
	s_lshl_b32 s7, s26, 8
	s_lshl_b32 s8, s12, 2
	s_add_i32 s7, s7, s8
	s_add_i32 s8, s7, 0xfffffef4
	s_ashr_i32 s7, s6, 31
	s_lshl_b64 s[14:15], s[6:7], 2
	s_add_u32 s7, s2, s14
	s_addc_u32 s9, s3, s15
	s_add_u32 s7, s7, s4
	s_addc_u32 s9, s9, s5
	;; [unrolled: 2-line block ×3, first 2 shown]
	v_mov_b32_e32 v1, s9
	v_add_co_u32_e32 v0, vcc, s7, v36
	s_mov_b32 s17, s16
	v_addc_co_u32_e32 v1, vcc, v1, v37, vcc
	s_mov_b32 s13, 0
.LBB42_60:                              ; =>This Loop Header: Depth=1
                                        ;     Child Loop BB42_61 Depth 2
	s_lshl_b64 s[14:15], s[12:13], 2
	v_mov_b32_e32 v3, s15
	v_add_co_u32_e32 v2, vcc, s14, v34
	v_addc_co_u32_e32 v3, vcc, v35, v3, vcc
	global_load_dwordx4 v[2:5], v[2:3], off offset:-12
	v_pk_mov_b32 v[6:7], v[0:1], v[0:1] op_sel:[0,1]
	s_mov_b32 s7, s8
	s_cmp_le_i32 s6, s12
	s_mov_b32 s9, s6
	s_waitcnt vmcnt(0)
	v_pk_mul_f32 v[4:5], v[4:5], s[16:17]
	v_pk_mul_f32 v[2:3], v[2:3], s[16:17]
	s_cbranch_scc1 .LBB42_62
.LBB42_61:                              ;   Parent Loop BB42_60 Depth=1
                                        ; =>  This Inner Loop Header: Depth=2
	global_load_dword v8, v[6:7], off
	v_mov_b32_e32 v9, s7
	ds_read2_b32 v[10:11], v9 offset0:2 offset1:3
	ds_read2_b32 v[12:13], v9 offset1:1
	s_add_i32 s9, s9, -1
	s_addk_i32 s7, 0xff00
	v_add_co_u32_e32 v6, vcc, -4, v6
	v_addc_co_u32_e32 v7, vcc, -1, v7, vcc
	s_cmp_gt_i32 s9, s12
	s_waitcnt vmcnt(0) lgkmcnt(1)
	v_pk_fma_f32 v[4:5], v[8:9], v[10:11], v[4:5] op_sel_hi:[0,1,1] neg_lo:[1,0,0] neg_hi:[1,0,0]
	s_waitcnt lgkmcnt(0)
	v_pk_fma_f32 v[2:3], v[8:9], v[12:13], v[2:3] op_sel_hi:[0,1,1] neg_lo:[1,0,0] neg_hi:[1,0,0]
	s_cbranch_scc1 .LBB42_61
.LBB42_62:                              ;   in Loop: Header=BB42_60 Depth=1
	s_add_i32 s9, s12, -1
	s_lshl_b32 s11, s12, 6
	s_add_i32 s14, s9, s11
	s_mul_i32 s7, s12, 0x104
	s_lshl_b32 s14, s14, 2
	v_mov_b32_e32 v6, s14
	s_add_i32 s14, s7, 0xfffffefc
	v_mov_b32_e32 v8, s14
	s_add_i32 s14, s12, -3
	s_lshl_b32 s9, s9, 6
	ds_read2_b32 v[6:7], v6 offset1:1
	s_add_i32 s11, s14, s11
	s_add_i32 s14, s14, s9
	s_lshl_b32 s11, s11, 2
	s_lshl_b32 s9, s14, 2
	v_mov_b32_e32 v9, s11
	v_mov_b32_e32 v10, s9
	ds_read_b32 v14, v8
	ds_read2_b32 v[8:9], v9 offset1:1
	ds_read2_b32 v[10:11], v10 offset1:1
	s_ashr_i32 s15, s12, 31
	s_mov_b32 s14, s12
	s_waitcnt lgkmcnt(3)
	v_mul_f32_e32 v5, v7, v5
	s_lshl_b64 s[14:15], s[14:15], 2
	s_add_i32 s9, s11, 0xfffffe00
	v_mov_b32_e32 v7, s15
	v_add_co_u32_e32 v12, vcc, s14, v34
	v_fma_f32 v4, -v5, v6, v4
	v_mov_b32_e32 v6, s9
	v_addc_co_u32_e32 v13, vcc, v35, v7, vcc
	ds_read2_b32 v[6:7], v6 offset1:1
	s_addk_i32 s7, 0xfcf4
	s_waitcnt lgkmcnt(2)
	v_fma_f32 v3, -v5, v9, v3
	v_mov_b32_e32 v9, s7
	ds_read_b32 v9, v9
	v_mul_f32_e32 v4, v14, v4
	s_waitcnt lgkmcnt(2)
	v_fma_f32 v3, -v4, v11, v3
	v_fma_f32 v2, -v5, v8, v2
	s_waitcnt lgkmcnt(1)
	v_mul_f32_e32 v3, v7, v3
	v_fma_f32 v2, -v4, v10, v2
	v_fma_f32 v2, -v3, v6, v2
	s_add_i32 s11, s12, -4
	s_add_i32 s8, s8, -16
	s_waitcnt lgkmcnt(0)
	v_mul_f32_e32 v2, v9, v2
	s_cmp_gt_i32 s12, 6
	global_store_dwordx4 v[12:13], v[2:5], off offset:-12
	s_cbranch_scc0 .LBB42_65
; %bb.63:                               ;   in Loop: Header=BB42_60 Depth=1
	s_mov_b32 s12, s11
	s_branch .LBB42_60
.LBB42_64:
	s_mov_b32 s11, s12
.LBB42_65:
	s_cmp_lt_i32 s11, 0
	s_cbranch_scc1 .LBB42_82
; %bb.66:
	s_add_i32 s7, s11, 1
	s_and_b32 s12, s7, 3
	s_cmp_eq_u32 s12, 0
	s_mov_b32 s8, s11
	s_cbranch_scc1 .LBB42_71
; %bb.67:
	s_lshl_b32 s7, s26, 8
	s_lshl_b32 s8, s11, 2
	s_add_i32 s7, s7, s8
	s_add_i32 s13, s7, 0xffffff00
	s_ashr_i32 s7, s6, 31
	s_lshl_b64 s[8:9], s[6:7], 2
	s_add_u32 s7, s2, s8
	s_addc_u32 s8, s3, s9
	s_add_u32 s7, s7, s4
	s_addc_u32 s8, s8, s5
	;; [unrolled: 2-line block ×3, first 2 shown]
	v_mov_b32_e32 v1, s8
	v_add_co_u32_e32 v0, vcc, s7, v36
	s_mov_b32 s9, 0
	v_addc_co_u32_e32 v1, vcc, v1, v37, vcc
	s_mov_b32 s8, s11
	s_mov_b32 s7, s9
	s_branch .LBB42_69
.LBB42_68:                              ;   in Loop: Header=BB42_69 Depth=1
	s_mul_i32 s14, s8, 0x104
	v_mov_b32_e32 v2, s14
	ds_read_b32 v2, v2
	s_ashr_i32 s15, s8, 31
	s_mov_b32 s14, s8
	s_lshl_b64 s[14:15], s[14:15], 2
	v_mov_b32_e32 v3, s15
	s_waitcnt lgkmcnt(0)
	v_mul_f32_e32 v4, v2, v4
	v_add_co_u32_e32 v2, vcc, s14, v34
	s_add_i32 s8, s8, -1
	s_add_i32 s7, s7, 1
	s_add_i32 s13, s13, -4
	v_addc_co_u32_e32 v3, vcc, v35, v3, vcc
	s_cmp_lg_u32 s7, s12
	global_store_dword v[2:3], v4, off
	s_cbranch_scc0 .LBB42_71
.LBB42_69:                              ; =>This Loop Header: Depth=1
                                        ;     Child Loop BB42_70 Depth 2
	s_lshl_b64 s[14:15], s[8:9], 2
	v_mov_b32_e32 v3, s15
	v_add_co_u32_e32 v2, vcc, s14, v34
	v_addc_co_u32_e32 v3, vcc, v35, v3, vcc
	global_load_dword v4, v[2:3], off
	v_pk_mov_b32 v[2:3], v[0:1], v[0:1] op_sel:[0,1]
	s_mov_b32 s14, s13
	s_cmp_le_i32 s6, s8
	s_mov_b32 s15, s6
	s_waitcnt vmcnt(0)
	v_mul_f32_e32 v4, s16, v4
	s_cbranch_scc1 .LBB42_68
.LBB42_70:                              ;   Parent Loop BB42_69 Depth=1
                                        ; =>  This Inner Loop Header: Depth=2
	global_load_dword v5, v[2:3], off
	v_mov_b32_e32 v6, s14
	ds_read_b32 v6, v6
	s_add_i32 s15, s15, -1
	s_addk_i32 s14, 0xff00
	v_add_co_u32_e32 v2, vcc, -4, v2
	v_addc_co_u32_e32 v3, vcc, -1, v3, vcc
	s_cmp_gt_i32 s15, s8
	s_waitcnt vmcnt(0) lgkmcnt(0)
	v_fma_f32 v4, -v5, v6, v4
	s_cbranch_scc1 .LBB42_70
	s_branch .LBB42_68
.LBB42_71:
	s_cmp_lt_u32 s11, 3
	s_cbranch_scc1 .LBB42_82
; %bb.72:
	s_lshl_b32 s7, s26, 8
	s_lshl_b32 s9, s8, 2
	s_add_i32 s13, s7, s9
	s_add_i32 s12, s13, 0xffffff00
	s_add_u32 s0, s4, s0
	s_addc_u32 s1, s5, s1
	s_ashr_i32 s7, s6, 31
	v_mov_b32_e32 v0, s1
	v_add_co_u32_e32 v2, vcc, s0, v36
	s_lshl_b64 s[0:1], s[6:7], 2
	s_add_u32 s0, s2, s0
	v_addc_co_u32_e32 v3, vcc, v0, v37, vcc
	s_addc_u32 s1, s3, s1
	s_ashr_i32 s11, s10, 31
	v_mov_b32_e32 v1, s1
	v_add_co_u32_e32 v0, vcc, s0, v2
	s_add_i32 s4, s13, 0xfffffefc
	v_cmp_lt_i64_e64 s[0:1], s[10:11], 64
	s_and_b64 s[0:1], s[0:1], exec
	s_cselect_b32 s1, s11, 0
	s_cselect_b32 s0, s10, 64
	s_lshl_b64 s[0:1], s[0:1], 2
	s_add_u32 s0, s2, s0
	v_addc_co_u32_e32 v1, vcc, v1, v3, vcc
	s_addc_u32 s1, s3, s1
	v_mov_b32_e32 v4, s1
	v_add_co_u32_e32 v2, vcc, s0, v2
	v_addc_co_u32_e32 v3, vcc, v4, v3, vcc
	v_add_co_u32_e32 v2, vcc, -4, v2
	s_mov_b32 s9, 0
	v_addc_co_u32_e32 v3, vcc, -1, v3, vcc
	s_add_i32 s2, s13, 0xfffffef8
	s_add_i32 s3, s13, 0xfffffef4
	s_branch .LBB42_74
.LBB42_73:                              ;   in Loop: Header=BB42_74 Depth=1
	s_add_i32 s0, s1, 0xfffffefc
	v_mov_b32_e32 v6, s0
	ds_read_b32 v6, v6
	s_add_i32 s0, s8, -4
	s_add_i32 s12, s12, -16
	;; [unrolled: 1-line block ×5, first 2 shown]
	s_waitcnt lgkmcnt(0)
	v_mul_f32_e32 v6, v6, v8
	s_cmp_lt_i32 s8, 4
	s_mov_b32 s8, s0
	global_store_dword v[4:5], v6, off offset:-12
	s_cbranch_scc1 .LBB42_82
.LBB42_74:                              ; =>This Loop Header: Depth=1
                                        ;     Child Loop BB42_75 Depth 2
                                        ;     Child Loop BB42_77 Depth 2
	;; [unrolled: 1-line block ×4, first 2 shown]
	s_lshl_b64 s[0:1], s[8:9], 2
	v_mov_b32_e32 v5, s1
	v_add_co_u32_e32 v4, vcc, s0, v34
	v_addc_co_u32_e32 v5, vcc, v35, v5, vcc
	global_load_dword v6, v[4:5], off
	v_pk_mov_b32 v[4:5], v[0:1], v[0:1] op_sel:[0,1]
	s_mov_b32 s0, s12
	s_cmp_le_i32 s6, s8
	s_mov_b32 s1, s6
	s_waitcnt vmcnt(0)
	v_mul_f32_e32 v8, s16, v6
	s_cbranch_scc1 .LBB42_76
.LBB42_75:                              ;   Parent Loop BB42_74 Depth=1
                                        ; =>  This Inner Loop Header: Depth=2
	global_load_dword v6, v[4:5], off
	v_mov_b32_e32 v7, s0
	ds_read_b32 v7, v7
	s_add_i32 s1, s1, -1
	s_addk_i32 s0, 0xff00
	v_add_co_u32_e32 v4, vcc, -4, v4
	v_addc_co_u32_e32 v5, vcc, -1, v5, vcc
	s_cmp_gt_i32 s1, s8
	s_waitcnt vmcnt(0) lgkmcnt(0)
	v_fma_f32 v8, -v6, v7, v8
	s_cbranch_scc1 .LBB42_75
.LBB42_76:                              ;   in Loop: Header=BB42_74 Depth=1
	s_add_i32 s0, s8, -1
	s_mov_b32 s1, s9
	s_lshl_b64 s[0:1], s[0:1], 2
	v_mov_b32_e32 v5, s1
	v_add_co_u32_e32 v4, vcc, s0, v34
	v_addc_co_u32_e32 v5, vcc, v35, v5, vcc
	global_load_dword v9, v[4:5], off
	s_mul_i32 s5, s8, 0x104
	v_mov_b32_e32 v4, s5
	ds_read_b32 v10, v4
	s_ashr_i32 s11, s8, 31
	s_mov_b32 s10, s8
	s_lshl_b64 s[10:11], s[10:11], 2
	v_mov_b32_e32 v5, s11
	v_add_co_u32_e32 v4, vcc, s10, v34
	v_addc_co_u32_e32 v5, vcc, v35, v5, vcc
	s_waitcnt lgkmcnt(0)
	v_mul_f32_e32 v8, v10, v8
	v_pk_mov_b32 v[6:7], v[2:3], v[2:3] op_sel:[0,1]
	s_mov_b32 s0, s4
	s_cmp_le_i32 s26, s8
	global_store_dword v[4:5], v8, off
	s_mov_b32 s1, s26
	s_waitcnt vmcnt(1)
	v_mul_f32_e32 v8, s16, v9
	s_cbranch_scc1 .LBB42_78
.LBB42_77:                              ;   Parent Loop BB42_74 Depth=1
                                        ; =>  This Inner Loop Header: Depth=2
	global_load_dword v9, v[6:7], off
	v_mov_b32_e32 v10, s0
	ds_read_b32 v10, v10
	s_add_i32 s1, s1, -1
	s_addk_i32 s0, 0xff00
	v_add_co_u32_e32 v6, vcc, -4, v6
	v_addc_co_u32_e32 v7, vcc, -1, v7, vcc
	s_cmp_gt_i32 s1, s8
	s_waitcnt vmcnt(0) lgkmcnt(0)
	v_fma_f32 v8, -v9, v10, v8
	s_cbranch_scc1 .LBB42_77
.LBB42_78:                              ;   in Loop: Header=BB42_74 Depth=1
	s_add_i32 s0, s8, -2
	s_mov_b32 s1, s9
	s_lshl_b64 s[10:11], s[0:1], 2
	v_mov_b32_e32 v7, s11
	v_add_co_u32_e32 v6, vcc, s10, v34
	v_addc_co_u32_e32 v7, vcc, v35, v7, vcc
	global_load_dword v9, v[6:7], off
	s_addk_i32 s5, 0xfefc
	v_mov_b32_e32 v6, s5
	ds_read_b32 v10, v6
	v_pk_mov_b32 v[6:7], v[0:1], v[0:1] op_sel:[0,1]
	s_mov_b32 s1, s2
	s_cmp_le_i32 s6, s0
	s_mov_b32 s7, s6
	s_waitcnt lgkmcnt(0)
	v_mul_f32_e32 v8, v10, v8
	global_store_dword v[4:5], v8, off offset:-4
	s_waitcnt vmcnt(1)
	v_mul_f32_e32 v8, s16, v9
	s_cbranch_scc1 .LBB42_80
.LBB42_79:                              ;   Parent Loop BB42_74 Depth=1
                                        ; =>  This Inner Loop Header: Depth=2
	global_load_dword v9, v[6:7], off
	v_mov_b32_e32 v10, s1
	ds_read_b32 v10, v10
	s_add_i32 s7, s7, -1
	s_addk_i32 s1, 0xff00
	v_add_co_u32_e32 v6, vcc, -4, v6
	v_addc_co_u32_e32 v7, vcc, -1, v7, vcc
	s_cmp_gt_i32 s7, s0
	s_waitcnt vmcnt(0) lgkmcnt(0)
	v_fma_f32 v8, -v9, v10, v8
	s_cbranch_scc1 .LBB42_79
.LBB42_80:                              ;   in Loop: Header=BB42_74 Depth=1
	s_add_i32 s0, s8, -3
	s_mov_b32 s1, s9
	s_lshl_b64 s[10:11], s[0:1], 2
	v_mov_b32_e32 v7, s11
	v_add_co_u32_e32 v6, vcc, s10, v34
	v_addc_co_u32_e32 v7, vcc, v35, v7, vcc
	global_load_dword v9, v[6:7], off
	s_add_i32 s1, s5, 0xfffffefc
	v_mov_b32_e32 v6, s1
	ds_read_b32 v10, v6
	v_pk_mov_b32 v[6:7], v[0:1], v[0:1] op_sel:[0,1]
	s_mov_b32 s5, s3
	s_cmp_le_i32 s6, s0
	s_mov_b32 s7, s6
	s_waitcnt lgkmcnt(0)
	v_mul_f32_e32 v8, v10, v8
	global_store_dword v[4:5], v8, off offset:-8
	s_waitcnt vmcnt(1)
	v_mul_f32_e32 v8, s16, v9
	s_cbranch_scc1 .LBB42_73
.LBB42_81:                              ;   Parent Loop BB42_74 Depth=1
                                        ; =>  This Inner Loop Header: Depth=2
	global_load_dword v9, v[6:7], off
	v_mov_b32_e32 v10, s5
	ds_read_b32 v10, v10
	s_add_i32 s7, s7, -1
	s_addk_i32 s5, 0xff00
	v_add_co_u32_e32 v6, vcc, -4, v6
	v_addc_co_u32_e32 v7, vcc, -1, v7, vcc
	s_cmp_gt_i32 s7, s0
	s_waitcnt vmcnt(0) lgkmcnt(0)
	v_fma_f32 v8, -v9, v10, v8
	s_cbranch_scc1 .LBB42_81
	s_branch .LBB42_73
.LBB42_82:
	s_endpgm
	.section	.rodata,"a",@progbits
	.p2align	6, 0x0
	.amdhsa_kernel _ZL30rocblas_trsm_small_left_deviceILi64ELi32ELb0EffPKfPfEv13rocblas_fill_18rocblas_operation_17rocblas_diagonal_iiT3_T4_lilT5_lili
		.amdhsa_group_segment_fixed_size 16384
		.amdhsa_private_segment_fixed_size 0
		.amdhsa_kernarg_size 352
		.amdhsa_user_sgpr_count 6
		.amdhsa_user_sgpr_private_segment_buffer 1
		.amdhsa_user_sgpr_dispatch_ptr 0
		.amdhsa_user_sgpr_queue_ptr 0
		.amdhsa_user_sgpr_kernarg_segment_ptr 1
		.amdhsa_user_sgpr_dispatch_id 0
		.amdhsa_user_sgpr_flat_scratch_init 0
		.amdhsa_user_sgpr_kernarg_preload_length 0
		.amdhsa_user_sgpr_kernarg_preload_offset 0
		.amdhsa_user_sgpr_private_segment_size 0
		.amdhsa_uses_dynamic_stack 0
		.amdhsa_system_sgpr_private_segment_wavefront_offset 0
		.amdhsa_system_sgpr_workgroup_id_x 1
		.amdhsa_system_sgpr_workgroup_id_y 0
		.amdhsa_system_sgpr_workgroup_id_z 1
		.amdhsa_system_sgpr_workgroup_info 0
		.amdhsa_system_vgpr_workitem_id 0
		.amdhsa_next_free_vgpr 108
		.amdhsa_next_free_sgpr 46
		.amdhsa_accum_offset 108
		.amdhsa_reserve_vcc 1
		.amdhsa_reserve_flat_scratch 0
		.amdhsa_float_round_mode_32 0
		.amdhsa_float_round_mode_16_64 0
		.amdhsa_float_denorm_mode_32 3
		.amdhsa_float_denorm_mode_16_64 3
		.amdhsa_dx10_clamp 1
		.amdhsa_ieee_mode 1
		.amdhsa_fp16_overflow 0
		.amdhsa_tg_split 0
		.amdhsa_exception_fp_ieee_invalid_op 0
		.amdhsa_exception_fp_denorm_src 0
		.amdhsa_exception_fp_ieee_div_zero 0
		.amdhsa_exception_fp_ieee_overflow 0
		.amdhsa_exception_fp_ieee_underflow 0
		.amdhsa_exception_fp_ieee_inexact 0
		.amdhsa_exception_int_div_zero 0
	.end_amdhsa_kernel
	.section	.text._ZL30rocblas_trsm_small_left_deviceILi64ELi32ELb0EffPKfPfEv13rocblas_fill_18rocblas_operation_17rocblas_diagonal_iiT3_T4_lilT5_lili,"axG",@progbits,_ZL30rocblas_trsm_small_left_deviceILi64ELi32ELb0EffPKfPfEv13rocblas_fill_18rocblas_operation_17rocblas_diagonal_iiT3_T4_lilT5_lili,comdat
.Lfunc_end42:
	.size	_ZL30rocblas_trsm_small_left_deviceILi64ELi32ELb0EffPKfPfEv13rocblas_fill_18rocblas_operation_17rocblas_diagonal_iiT3_T4_lilT5_lili, .Lfunc_end42-_ZL30rocblas_trsm_small_left_deviceILi64ELi32ELb0EffPKfPfEv13rocblas_fill_18rocblas_operation_17rocblas_diagonal_iiT3_T4_lilT5_lili
                                        ; -- End function
	.section	.AMDGPU.csdata,"",@progbits
; Kernel info:
; codeLenInByte = 22876
; NumSgprs: 50
; NumVgprs: 108
; NumAgprs: 0
; TotalNumVgprs: 108
; ScratchSize: 0
; MemoryBound: 1
; FloatMode: 240
; IeeeMode: 1
; LDSByteSize: 16384 bytes/workgroup (compile time only)
; SGPRBlocks: 6
; VGPRBlocks: 13
; NumSGPRsForWavesPerEU: 50
; NumVGPRsForWavesPerEU: 108
; AccumOffset: 108
; Occupancy: 1
; WaveLimiterHint : 0
; COMPUTE_PGM_RSRC2:SCRATCH_EN: 0
; COMPUTE_PGM_RSRC2:USER_SGPR: 6
; COMPUTE_PGM_RSRC2:TRAP_HANDLER: 0
; COMPUTE_PGM_RSRC2:TGID_X_EN: 1
; COMPUTE_PGM_RSRC2:TGID_Y_EN: 0
; COMPUTE_PGM_RSRC2:TGID_Z_EN: 1
; COMPUTE_PGM_RSRC2:TIDIG_COMP_CNT: 0
; COMPUTE_PGM_RSRC3_GFX90A:ACCUM_OFFSET: 26
; COMPUTE_PGM_RSRC3_GFX90A:TG_SPLIT: 0
	.section	.text._ZL38rocblas_trsm_small_left_device_sharedBILi64ELi32ELb1EffPKfPfEv13rocblas_fill_18rocblas_operation_17rocblas_diagonal_iiT3_T4_lilT5_lili,"axG",@progbits,_ZL38rocblas_trsm_small_left_device_sharedBILi64ELi32ELb1EffPKfPfEv13rocblas_fill_18rocblas_operation_17rocblas_diagonal_iiT3_T4_lilT5_lili,comdat
	.globl	_ZL38rocblas_trsm_small_left_device_sharedBILi64ELi32ELb1EffPKfPfEv13rocblas_fill_18rocblas_operation_17rocblas_diagonal_iiT3_T4_lilT5_lili ; -- Begin function _ZL38rocblas_trsm_small_left_device_sharedBILi64ELi32ELb1EffPKfPfEv13rocblas_fill_18rocblas_operation_17rocblas_diagonal_iiT3_T4_lilT5_lili
	.p2align	8
	.type	_ZL38rocblas_trsm_small_left_device_sharedBILi64ELi32ELb1EffPKfPfEv13rocblas_fill_18rocblas_operation_17rocblas_diagonal_iiT3_T4_lilT5_lili,@function
_ZL38rocblas_trsm_small_left_device_sharedBILi64ELi32ELb1EffPKfPfEv13rocblas_fill_18rocblas_operation_17rocblas_diagonal_iiT3_T4_lilT5_lili: ; @_ZL38rocblas_trsm_small_left_device_sharedBILi64ELi32ELb1EffPKfPfEv13rocblas_fill_18rocblas_operation_17rocblas_diagonal_iiT3_T4_lilT5_lili
; %bb.0:
	s_load_dwordx4 s[8:11], s[4:5], 0x4
	s_load_dword s18, s[4:5], 0x14
	s_load_dwordx4 s[0:3], s[4:5], 0x30
	s_load_dwordx2 s[16:17], s[4:5], 0x40
	s_mov_b32 s27, 0
	s_waitcnt lgkmcnt(0)
	s_min_i32 s26, s10, 64
	v_cmp_gt_i32_e32 vcc, s26, v0
	s_and_saveexec_b64 s[20:21], vcc
	s_cbranch_execz .LBB43_15
; %bb.1:
	s_load_dword s22, s[4:5], 0x28
	s_load_dwordx4 s[12:15], s[4:5], 0x18
	s_cmp_gt_u32 s26, 1
	s_cselect_b64 s[24:25], -1, 0
	s_mov_b32 s19, 1
	s_waitcnt lgkmcnt(0)
	s_cmp_eq_u32 s22, 1
	s_cselect_b64 s[28:29], -1, 0
	s_and_b64 s[28:29], s[24:25], s[28:29]
	s_mov_b64 s[24:25], -1
	s_and_b64 vcc, exec, s[28:29]
	s_cbranch_vccz .LBB43_9
; %bb.2:
	s_add_i32 s24, s26, -2
	s_lshr_b32 s25, s24, 1
	s_add_i32 s25, s25, 1
	s_mov_b32 s23, 0
	s_cmp_lt_u32 s24, 14
	s_mov_b32 s24, s23
	s_cbranch_scc1 .LBB43_5
; %bb.3:
	s_mul_i32 s19, s1, s7
	s_mul_hi_u32 s23, s0, s7
	s_add_i32 s29, s23, s19
	s_mul_i32 s28, s0, s7
	s_and_b32 s27, s25, -8
	s_lshl_b64 s[28:29], s[28:29], 2
	s_lshl_b64 s[30:31], s[14:15], 2
	s_add_u32 s19, s28, s30
	s_addc_u32 s23, s29, s31
	s_add_u32 s19, s12, s19
	v_lshlrev_b32_e32 v1, 2, v0
	s_addc_u32 s23, s13, s23
	v_mov_b32_e32 v2, s23
	v_add_co_u32_e32 v1, vcc, s19, v1
	v_addc_co_u32_e32 v3, vcc, 0, v2, vcc
	v_add_co_u32_e32 v2, vcc, 56, v1
	v_addc_co_u32_e32 v3, vcc, 0, v3, vcc
	s_mov_b32 s19, 1
	s_mov_b32 s24, 0
	s_mov_b32 s23, 0
.LBB43_4:                               ; =>This Inner Loop Header: Depth=1
	global_load_dwordx4 v[4:7], v[2:3], off offset:-56
	global_load_dwordx4 v[8:11], v[2:3], off offset:-40
	global_load_dwordx4 v[12:15], v[2:3], off offset:-24
	global_load_dwordx4 v[16:19], v[2:3], off offset:-8
	s_lshl_b32 s28, s23, 6
	s_lshl_b32 s29, s19, 6
	s_add_i32 s24, s24, 16
	s_add_i32 s19, s19, 16
	;; [unrolled: 1-line block ×3, first 2 shown]
	s_add_i32 s27, s27, -8
	v_add_co_u32_e32 v2, vcc, 64, v2
	v_or_b32_e32 v1, s29, v0
	v_or_b32_e32 v20, s28, v0
	s_add_i32 s30, s28, 0x80
	s_add_i32 s31, s29, 0x80
	;; [unrolled: 1-line block ×12, first 2 shown]
	s_addk_i32 s28, 0x380
	s_addk_i32 s29, 0x380
	v_addc_co_u32_e32 v3, vcc, 0, v3, vcc
	v_lshlrev_b32_e32 v20, 2, v20
	v_or_b32_e32 v21, s31, v0
	v_or_b32_e32 v22, s30, v0
	;; [unrolled: 1-line block ×14, first 2 shown]
	s_cmp_lg_u32 s27, 0
	v_lshlrev_b32_e32 v1, 2, v1
	v_lshlrev_b32_e32 v22, 2, v22
	;; [unrolled: 1-line block ×15, first 2 shown]
	s_waitcnt vmcnt(3)
	ds_write_b32 v20, v4
	ds_write_b32 v1, v5
	ds_write_b32 v22, v6
	ds_write_b32 v21, v7
	s_waitcnt vmcnt(2)
	ds_write_b32 v24, v8
	ds_write_b32 v23, v9
	ds_write_b32 v26, v10
	ds_write_b32 v25, v11
	;; [unrolled: 5-line block ×4, first 2 shown]
	s_cbranch_scc1 .LBB43_4
.LBB43_5:
	s_and_b32 s27, s25, 7
	s_cmp_eq_u32 s27, 0
	s_mov_b32 s25, 0
	s_cbranch_scc1 .LBB43_8
; %bb.6:
	s_mul_i32 s28, s1, s7
	s_mul_hi_u32 s29, s0, s7
	s_add_i32 s29, s29, s28
	s_mul_i32 s28, s0, s7
	s_lshl_b64 s[28:29], s[28:29], 2
	s_lshl_b64 s[30:31], s[14:15], 2
	s_add_u32 s28, s28, s30
	s_addc_u32 s29, s29, s31
	s_lshl_b64 s[24:25], s[24:25], 2
	s_add_u32 s24, s12, s24
	s_addc_u32 s25, s13, s25
	s_add_u32 s24, s24, s28
	v_lshlrev_b32_e32 v1, 2, v0
	s_addc_u32 s25, s25, s29
	v_mov_b32_e32 v3, s25
	v_add_co_u32_e32 v2, vcc, s24, v1
	v_addc_co_u32_e32 v3, vcc, 0, v3, vcc
	s_lshl_b32 s24, s27, 3
.LBB43_7:                               ; =>This Inner Loop Header: Depth=1
	global_load_dwordx2 v[4:5], v[2:3], off
	v_lshl_or_b32 v6, s23, 8, v1
	v_lshl_or_b32 v7, s19, 8, v1
	s_add_i32 s19, s19, 2
	s_add_i32 s23, s23, 2
	v_add_co_u32_e32 v2, vcc, 8, v2
	s_add_i32 s24, s24, -8
	v_addc_co_u32_e32 v3, vcc, 0, v3, vcc
	s_cmp_lg_u32 s24, 0
	s_waitcnt vmcnt(0)
	ds_write_b32 v6, v4
	ds_write_b32 v7, v5
	s_cbranch_scc1 .LBB43_7
.LBB43_8:
	s_and_b32 s27, s26, -2
	s_cmp_lg_u32 s26, s27
	s_cselect_b64 s[24:25], -1, 0
.LBB43_9:
	s_and_b64 vcc, exec, s[24:25]
	s_cbranch_vccz .LBB43_12
; %bb.10:
	s_ashr_i32 s23, s22, 31
	s_mul_i32 s1, s1, s7
	s_mul_hi_u32 s19, s0, s7
	s_add_i32 s1, s19, s1
	s_mul_hi_u32 s19, s22, s27
	s_mul_i32 s24, s23, s27
	s_mul_i32 s0, s0, s7
	s_add_i32 s25, s19, s24
	s_mul_i32 s24, s22, s27
	s_lshl_b64 s[0:1], s[0:1], 2
	s_lshl_b64 s[24:25], s[24:25], 2
	s_add_u32 s19, s0, s24
	s_addc_u32 s24, s1, s25
	s_lshl_b64 s[0:1], s[14:15], 2
	s_add_u32 s0, s19, s0
	s_addc_u32 s1, s24, s1
	s_add_u32 s0, s12, s0
	v_lshlrev_b32_e32 v1, 2, v0
	s_addc_u32 s1, s13, s1
	v_mov_b32_e32 v3, s1
	v_add_co_u32_e32 v2, vcc, s0, v1
	s_lshl_b64 s[0:1], s[22:23], 2
	v_addc_co_u32_e32 v3, vcc, 0, v3, vcc
	v_lshl_or_b32 v1, s27, 8, v1
	s_sub_i32 s12, s26, s27
	v_mov_b32_e32 v4, s1
.LBB43_11:                              ; =>This Inner Loop Header: Depth=1
	global_load_dword v5, v[2:3], off
	v_add_co_u32_e32 v2, vcc, s0, v2
	s_add_i32 s12, s12, -1
	v_addc_co_u32_e32 v3, vcc, v3, v4, vcc
	s_cmp_eq_u32 s12, 0
	s_waitcnt vmcnt(0)
	ds_write_b32 v1, v5
	v_add_u32_e32 v1, 0x100, v1
	s_cbranch_scc0 .LBB43_11
.LBB43_12:
	v_mul_u32_u24_e32 v1, 0x41, v0
	s_cmpk_lg_i32 s9, 0x84
	v_lshlrev_b32_e32 v1, 2, v1
	v_mov_b32_e32 v2, 1.0
	s_cbranch_scc0 .LBB43_14
; %bb.13:
	ds_read_b32 v2, v1
	s_waitcnt lgkmcnt(0)
	v_div_scale_f32 v3, s[0:1], v2, v2, 1.0
	v_rcp_f32_e32 v4, v3
	v_div_scale_f32 v5, vcc, 1.0, v2, 1.0
	v_fma_f32 v6, -v3, v4, 1.0
	v_fmac_f32_e32 v4, v6, v4
	v_mul_f32_e32 v6, v5, v4
	v_fma_f32 v7, -v3, v6, v5
	v_fmac_f32_e32 v6, v7, v4
	v_fma_f32 v3, -v3, v6, v5
	v_div_fmas_f32 v3, v3, v4, v6
	v_div_fixup_f32 v2, v3, v2, 1.0
.LBB43_14:
	ds_write_b32 v1, v2
.LBB43_15:
	s_or_b64 exec, exec, s[20:21]
	s_load_dword s9, s[4:5], 0x60
	s_load_dword s22, s[4:5], 0x48
	s_load_dwordx2 s[0:1], s[4:5], 0x50
	s_lshl_b32 s4, s6, 6
	s_sub_i32 s5, s11, s4
	s_waitcnt lgkmcnt(0)
	s_add_i32 s9, s9, -1
	s_ashr_i32 s11, s22, 31
	s_cmp_ge_u32 s6, s9
	s_cselect_b32 s6, s5, 64
	s_ashr_i32 s5, s4, 31
	s_cmp_gt_i32 s10, 0
	v_cmp_gt_i32_e32 vcc, s6, v0
	s_cselect_b64 s[12:13], -1, 0
	s_mov_b32 s9, 0
	s_and_b64 s[12:13], vcc, s[12:13]
	s_and_saveexec_b64 s[14:15], s[12:13]
	s_cbranch_execz .LBB43_27
; %bb.16:
	s_cmp_lt_i32 s10, 2
	s_mov_b64 s[20:21], -1
	s_cbranch_scc1 .LBB43_24
; %bb.17:
	s_add_i32 s20, s26, -2
	s_lshr_b32 s21, s20, 1
	s_add_i32 s21, s21, 1
	s_mov_b32 s19, s18
	s_mov_b32 s6, 1
	s_cmp_lt_u32 s20, 14
	s_mov_b32 s20, s9
	s_cbranch_scc1 .LBB43_20
; %bb.18:
	s_mul_i32 s9, s1, s7
	s_mul_hi_u32 s20, s0, s7
	s_add_i32 s25, s20, s9
	s_mul_i32 s24, s0, s7
	s_lshl_b64 s[28:29], s[4:5], 2
	v_lshlrev_b32_e32 v1, 2, v0
	s_and_b32 s23, s21, -8
	s_lshl_b64 s[24:25], s[24:25], 2
	v_mov_b32_e32 v2, s29
	v_add_co_u32_e32 v1, vcc, s28, v1
	s_lshl_b64 s[28:29], s[16:17], 2
	s_add_u32 s9, s2, s28
	s_addc_u32 s20, s3, s29
	s_add_u32 s24, s9, s24
	s_addc_u32 s25, s20, s25
	v_addc_co_u32_e32 v4, vcc, 0, v2, vcc
	v_pk_mov_b32 v[2:3], s[24:25], s[24:25] op_sel:[0,1]
	v_mad_u64_u32 v[2:3], s[24:25], v1, s22, v[2:3]
	v_mul_lo_u32 v1, v1, s11
	v_mul_lo_u32 v4, v4, s22
	v_add3_u32 v1, v4, v3, v1
	v_add_co_u32_e32 v2, vcc, 56, v2
	v_addc_co_u32_e32 v3, vcc, 0, v1, vcc
	s_mov_b32 s20, 0
	s_mov_b32 s9, 0
.LBB43_19:                              ; =>This Inner Loop Header: Depth=1
	global_load_dwordx4 v[4:7], v[2:3], off offset:-56
	global_load_dwordx4 v[8:11], v[2:3], off offset:-40
	;; [unrolled: 1-line block ×4, first 2 shown]
	s_lshl_b32 s24, s9, 6
	s_lshl_b32 s25, s6, 6
	s_add_i32 s20, s20, 16
	s_add_i32 s6, s6, 16
	;; [unrolled: 1-line block ×3, first 2 shown]
	s_add_i32 s23, s23, -8
	v_add_co_u32_e32 v2, vcc, 64, v2
	v_or_b32_e32 v1, s25, v0
	v_or_b32_e32 v20, s24, v0
	s_add_i32 s27, s24, 0x80
	s_add_i32 s28, s25, 0x80
	;; [unrolled: 1-line block ×12, first 2 shown]
	s_addk_i32 s24, 0x380
	s_addk_i32 s25, 0x380
	v_addc_co_u32_e32 v3, vcc, 0, v3, vcc
	v_lshlrev_b32_e32 v20, 2, v20
	v_or_b32_e32 v21, s28, v0
	v_or_b32_e32 v22, s27, v0
	;; [unrolled: 1-line block ×14, first 2 shown]
	s_cmp_lg_u32 s23, 0
	v_lshlrev_b32_e32 v1, 2, v1
	v_lshlrev_b32_e32 v22, 2, v22
	;; [unrolled: 1-line block ×15, first 2 shown]
	s_waitcnt vmcnt(3)
	v_pk_mul_f32 v[4:5], v[4:5], s[18:19]
	v_pk_mul_f32 v[6:7], v[6:7], s[18:19]
	s_waitcnt vmcnt(2)
	v_pk_mul_f32 v[8:9], v[8:9], s[18:19]
	v_pk_mul_f32 v[10:11], v[10:11], s[18:19]
	;; [unrolled: 3-line block ×4, first 2 shown]
	ds_write_b32 v20, v4 offset:16384
	ds_write_b32 v1, v5 offset:16384
	;; [unrolled: 1-line block ×16, first 2 shown]
	s_cbranch_scc1 .LBB43_19
.LBB43_20:
	s_and_b32 s23, s21, 7
	s_cmp_eq_u32 s23, 0
	s_mov_b32 s21, 0
	s_cbranch_scc1 .LBB43_23
; %bb.21:
	s_mul_i32 s24, s1, s7
	s_mul_hi_u32 s25, s0, s7
	s_add_i32 s25, s25, s24
	s_mul_i32 s24, s0, s7
	s_lshl_b64 s[28:29], s[4:5], 2
	v_lshlrev_b32_e32 v1, 2, v0
	s_lshl_b64 s[24:25], s[24:25], 2
	v_mov_b32_e32 v2, s29
	v_add_co_u32_e32 v4, vcc, s28, v1
	s_lshl_b64 s[28:29], s[16:17], 2
	s_lshl_b64 s[20:21], s[20:21], 2
	s_add_u32 s20, s2, s20
	s_addc_u32 s21, s3, s21
	s_add_u32 s20, s20, s28
	s_addc_u32 s21, s21, s29
	;; [unrolled: 2-line block ×3, first 2 shown]
	v_addc_co_u32_e32 v5, vcc, 0, v2, vcc
	v_pk_mov_b32 v[2:3], s[20:21], s[20:21] op_sel:[0,1]
	v_mad_u64_u32 v[2:3], s[20:21], v4, s22, v[2:3]
	v_mul_lo_u32 v4, v4, s11
	v_mul_lo_u32 v5, v5, s22
	v_add3_u32 v3, v5, v3, v4
	s_lshl_b32 s20, s23, 3
.LBB43_22:                              ; =>This Inner Loop Header: Depth=1
	global_load_dwordx2 v[4:5], v[2:3], off
	v_lshl_or_b32 v6, s9, 8, v1
	v_lshl_or_b32 v7, s6, 8, v1
	s_add_i32 s6, s6, 2
	s_add_i32 s9, s9, 2
	v_add_co_u32_e32 v2, vcc, 8, v2
	s_add_i32 s20, s20, -8
	v_addc_co_u32_e32 v3, vcc, 0, v3, vcc
	s_cmp_lg_u32 s20, 0
	s_waitcnt vmcnt(0)
	v_pk_mul_f32 v[4:5], v[4:5], s[18:19]
	ds_write_b32 v6, v4 offset:16384
	ds_write_b32 v7, v5 offset:16384
	s_cbranch_scc1 .LBB43_22
.LBB43_23:
	s_and_b32 s9, s26, 0x7e
	s_cmp_lg_u32 s26, s9
	s_cselect_b64 s[20:21], -1, 0
.LBB43_24:
	s_and_b64 vcc, exec, s[20:21]
	s_cbranch_vccz .LBB43_27
; %bb.25:
	s_mul_i32 s19, s1, s7
	s_mul_hi_u32 s20, s0, s7
	v_lshlrev_b32_e32 v2, 2, v0
	s_add_i32 s21, s20, s19
	s_mul_i32 s20, s0, s7
	s_lshl_b64 s[24:25], s[4:5], 2
	v_lshl_or_b32 v1, s9, 8, v2
	s_sub_i32 s6, s26, s9
	s_lshl_b64 s[20:21], s[20:21], 2
	v_mov_b32_e32 v3, s25
	v_add_co_u32_e32 v4, vcc, s24, v2
	s_lshl_b64 s[24:25], s[16:17], 2
	s_lshl_b32 s9, s9, 2
	s_add_u32 s9, s2, s9
	s_addc_u32 s19, s3, 0
	s_add_u32 s9, s9, s24
	s_addc_u32 s19, s19, s25
	;; [unrolled: 2-line block ×3, first 2 shown]
	v_addc_co_u32_e32 v5, vcc, 0, v3, vcc
	v_pk_mov_b32 v[2:3], s[20:21], s[20:21] op_sel:[0,1]
	v_mad_u64_u32 v[2:3], s[20:21], v4, s22, v[2:3]
	v_mul_lo_u32 v4, v4, s11
	v_mul_lo_u32 v5, v5, s22
	v_add_u32_e32 v1, 0x4000, v1
	v_add3_u32 v3, v5, v3, v4
.LBB43_26:                              ; =>This Inner Loop Header: Depth=1
	global_load_dword v4, v[2:3], off
	s_add_i32 s6, s6, -1
	v_add_co_u32_e32 v2, vcc, 4, v2
	v_addc_co_u32_e32 v3, vcc, 0, v3, vcc
	s_cmp_lg_u32 s6, 0
	s_waitcnt vmcnt(0)
	v_mul_f32_e32 v4, s18, v4
	ds_write_b32 v1, v4
	v_add_u32_e32 v1, 0x100, v1
	s_cbranch_scc1 .LBB43_26
.LBB43_27:
	s_or_b64 exec, exec, s[14:15]
	s_cmpk_eq_i32 s8, 0x6f
	s_mov_b64 s[8:9], -1
	s_waitcnt lgkmcnt(0)
	; wave barrier
	s_waitcnt lgkmcnt(0)
	s_cbranch_scc1 .LBB43_56
; %bb.28:
	s_add_i32 s6, s26, -1
	s_cmp_lt_i32 s10, 32
	s_mov_b32 s14, s6
	s_cbranch_scc1 .LBB43_34
; %bb.29:
	v_lshlrev_b32_e32 v1, 2, v0
	s_mul_i32 s8, s26, 0x104
	v_lshl_or_b32 v1, s26, 8, v1
	s_addk_i32 s8, 0xdffc
	v_add_u32_e32 v1, 0x3f00, v1
	s_mov_b32 s9, s6
.LBB43_30:                              ; =>This Loop Header: Depth=1
                                        ;     Child Loop BB43_31 Depth 2
	s_lshl_b32 s15, s9, 6
	s_add_i32 s48, s15, 0xffffff80
	v_or_b32_e32 v3, s48, v0
	s_add_i32 s47, s15, 0xffffff40
	v_lshlrev_b32_e32 v62, 2, v3
	v_or_b32_e32 v3, s47, v0
	s_add_i32 s46, s15, 0xffffff00
	v_lshlrev_b32_e32 v14, 2, v3
	v_or_b32_e32 v3, s46, v0
	s_add_i32 s45, s15, 0xfffffec0
	v_or_b32_e32 v2, s15, v0
	s_sub_i32 s14, s15, 64
	v_lshlrev_b32_e32 v15, 2, v3
	v_or_b32_e32 v3, s45, v0
	s_add_i32 s44, s15, 0xfffffe80
	v_lshlrev_b32_e32 v10, 2, v2
	v_or_b32_e32 v2, s14, v0
	v_lshlrev_b32_e32 v59, 2, v3
	v_or_b32_e32 v3, s44, v0
	s_add_i32 s43, s15, 0xfffffe40
	v_lshlrev_b32_e32 v2, 2, v2
	v_lshlrev_b32_e32 v58, 2, v3
	v_or_b32_e32 v3, s43, v0
	s_add_i32 s42, s15, 0xfffffe00
	v_lshlrev_b32_e32 v20, 2, v3
	ds_read_b32 v63, v10 offset:16384
	ds_read_b32 v11, v2 offset:16384
	;; [unrolled: 1-line block ×8, first 2 shown]
	v_or_b32_e32 v2, s42, v0
	s_add_i32 s41, s15, 0xfffffdc0
	v_lshlrev_b32_e32 v22, 2, v2
	v_or_b32_e32 v2, s41, v0
	s_add_i32 s40, s15, 0xfffffd80
	v_lshlrev_b32_e32 v24, 2, v2
	;; [unrolled: 3-line block ×20, first 2 shown]
	v_or_b32_e32 v2, s19, v0
	s_add_i32 s18, s15, 0xfffff8c0
	s_add_i32 s14, s15, 0xfffff880
	s_addk_i32 s15, 0xf840
	v_lshlrev_b32_e32 v6, 2, v2
	v_or_b32_e32 v2, s18, v0
	v_or_b32_e32 v3, s15, v0
	v_lshlrev_b32_e32 v4, 2, v2
	v_or_b32_e32 v2, s14, v0
	v_lshlrev_b32_e32 v3, 2, v3
	ds_read_b32 v57, v22 offset:16384
	ds_read_b32 v56, v24 offset:16384
	;; [unrolled: 1-line block ×16, first 2 shown]
	v_lshlrev_b32_e32 v2, 2, v2
	ds_read_b32 v31, v25 offset:16384
	ds_read_b32 v27, v21 offset:16384
	ds_read_b32 v23, v16 offset:16384
	ds_read_b32 v18, v9 offset:16384
	ds_read_b32 v8, v6 offset:16384
	ds_read_b32 v7, v4 offset:16384
	ds_read_b32 v5, v2 offset:16384
	ds_read_b32 v3, v3 offset:16384
	s_cmp_le_i32 s6, s9
	v_mov_b32_e32 v64, v1
	s_mov_b32 s15, s8
	s_mov_b32 s49, s6
	s_cbranch_scc1 .LBB43_32
.LBB43_31:                              ;   Parent Loop BB43_30 Depth=1
                                        ; =>  This Inner Loop Header: Depth=2
	v_mov_b32_e32 v96, s15
	ds_read_b32 v65, v64
	ds_read2st64_b32 v[66:67], v96 offset0:30 offset1:31
	ds_read2st64_b32 v[68:69], v96 offset0:28 offset1:29
	;; [unrolled: 1-line block ×15, first 2 shown]
	ds_read2st64_b32 v[96:97], v96 offset1:1
	s_add_i32 s49, s49, -1
	s_add_i32 s15, s15, -4
	v_add_u32_e32 v64, 0xffffff00, v64
	s_cmp_gt_i32 s49, s9
	s_waitcnt lgkmcnt(14)
	v_fma_f32 v63, -v65, v67, v63
	v_fma_f32 v11, -v65, v66, v11
	;; [unrolled: 1-line block ×4, first 2 shown]
	s_waitcnt lgkmcnt(13)
	v_fma_f32 v61, -v65, v71, v61
	v_fma_f32 v60, -v65, v70, v60
	s_waitcnt lgkmcnt(12)
	v_fma_f32 v17, -v65, v73, v17
	v_fma_f32 v19, -v65, v72, v19
	;; [unrolled: 3-line block ×14, first 2 shown]
	s_cbranch_scc1 .LBB43_31
.LBB43_32:                              ;   in Loop: Header=BB43_30 Depth=1
	s_mul_i32 s15, s9, 0x104
	v_add_u32_e32 v64, 0x4000, v10
	v_mov_b32_e32 v10, s15
	s_add_i32 s48, s48, s9
	s_lshl_b32 s48, s48, 2
	ds_read_b32 v10, v10
	s_add_i32 s49, s15, 0xfffffefc
	v_mov_b32_e32 v68, s48
	s_add_i32 s48, s15, 0xfffffdf8
	v_mov_b32_e32 v65, s49
	v_mov_b32_e32 v69, s48
	ds_read2_b32 v[66:67], v65 offset1:1
	ds_read_b32 v65, v68
	ds_read2_b32 v[68:69], v69 offset1:1
	s_waitcnt lgkmcnt(3)
	v_mul_f32_e32 v10, v10, v63
	s_add_i32 s47, s47, s9
	s_waitcnt lgkmcnt(2)
	v_fma_f32 v11, -v10, v67, v11
	v_mul_f32_e32 v11, v66, v11
	s_waitcnt lgkmcnt(1)
	v_fma_f32 v12, -v10, v65, v12
	s_lshl_b32 s48, s9, 8
	s_waitcnt lgkmcnt(0)
	v_fma_f32 v12, -v11, v69, v12
	s_lshl_b32 s47, s47, 2
	s_addk_i32 s48, 0xff00
	v_mul_f32_e32 v12, v68, v12
	s_add_i32 s47, s47, -4
	ds_write_b32 v64, v10
	v_lshl_or_b32 v63, v0, 2, s48
	ds_write_b32 v62, v12 offset:16384
	v_mov_b32_e32 v62, s47
	ds_write_b32 v63, v11 offset:16384
	s_add_i32 s46, s46, s9
	ds_read2_b32 v[62:63], v62 offset1:1
	s_lshl_b32 s46, s46, 2
	s_add_i32 s47, s15, 0xfffffcf4
	v_mov_b32_e32 v66, s46
	s_add_i32 s46, s46, -8
	v_mov_b32_e32 v64, s47
	v_mov_b32_e32 v67, s46
	ds_read2_b32 v[64:65], v64 offset1:1
	ds_read_b32 v68, v66
	ds_read2_b32 v[66:67], v67 offset1:1
	s_waitcnt lgkmcnt(3)
	v_fma_f32 v13, -v10, v63, v13
	v_fma_f32 v13, -v11, v62, v13
	s_waitcnt lgkmcnt(2)
	v_fma_f32 v13, -v12, v65, v13
	v_mul_f32_e32 v13, v64, v13
	s_add_i32 s46, s15, 0xfffffbf0
	ds_write_b32 v14, v13 offset:16384
	s_waitcnt lgkmcnt(2)
	v_fma_f32 v14, -v10, v68, v61
	v_mov_b32_e32 v61, s46
	s_add_i32 s45, s45, s9
	ds_read2_b32 v[62:63], v61 offset1:1
	s_lshl_b32 s45, s45, 2
	s_waitcnt lgkmcnt(2)
	v_fma_f32 v14, -v11, v67, v14
	s_add_i32 s46, s45, -4
	s_add_i32 s45, s45, -12
	v_fma_f32 v14, -v12, v66, v14
	v_mov_b32_e32 v64, s46
	v_mov_b32_e32 v66, s45
	s_add_i32 s45, s15, 0xfffffaec
	v_mov_b32_e32 v61, s45
	ds_read2_b32 v[64:65], v64 offset1:1
	ds_read2_b32 v[66:67], v66 offset1:1
	;; [unrolled: 1-line block ×3, first 2 shown]
	s_waitcnt lgkmcnt(3)
	v_fma_f32 v14, -v13, v63, v14
	v_mul_f32_e32 v14, v62, v14
	ds_write_b32 v15, v14 offset:16384
	s_waitcnt lgkmcnt(3)
	v_fma_f32 v15, -v10, v65, v60
	v_fma_f32 v15, -v11, v64, v15
	s_waitcnt lgkmcnt(2)
	v_fma_f32 v15, -v12, v67, v15
	v_fma_f32 v15, -v13, v66, v15
	s_add_i32 s44, s44, s9
	s_waitcnt lgkmcnt(1)
	v_fma_f32 v15, -v14, v69, v15
	s_lshl_b32 s44, s44, 2
	v_mul_f32_e32 v15, v68, v15
	s_add_i32 s45, s44, -4
	ds_write_b32 v59, v15 offset:16384
	v_mov_b32_e32 v59, s45
	ds_read2_b32 v[60:61], v59 offset1:1
	s_add_i32 s45, s44, -12
	v_mov_b32_e32 v62, s45
	s_sub_i32 s44, s44, 20
	v_mov_b32_e32 v59, s44
	ds_read2_b32 v[62:63], v62 offset1:1
	ds_read2_b32 v[64:65], v59 offset1:1
	s_add_i32 s44, s15, 0xfffff9e8
	s_waitcnt lgkmcnt(2)
	v_fma_f32 v17, -v10, v61, v17
	v_mov_b32_e32 v59, s44
	v_fma_f32 v17, -v11, v60, v17
	ds_read_b32 v59, v59
	s_waitcnt lgkmcnt(2)
	v_fma_f32 v17, -v12, v63, v17
	v_fma_f32 v17, -v13, v62, v17
	s_waitcnt lgkmcnt(1)
	v_fma_f32 v17, -v14, v65, v17
	s_add_i32 s43, s43, s9
	v_fma_f32 v17, -v15, v64, v17
	s_lshl_b32 s43, s43, 2
	s_waitcnt lgkmcnt(0)
	v_mul_f32_e32 v17, v59, v17
	s_add_i32 s44, s43, -8
	ds_write_b32 v58, v17 offset:16384
	v_mov_b32_e32 v58, s43
	v_mov_b32_e32 v59, s44
	ds_read_b32 v64, v58
	ds_read2_b32 v[58:59], v59 offset1:1
	s_add_i32 s44, s43, -16
	s_sub_i32 s43, s43, 24
	v_mov_b32_e32 v60, s44
	v_mov_b32_e32 v62, s43
	ds_read2_b32 v[60:61], v60 offset1:1
	ds_read2_b32 v[62:63], v62 offset1:1
	s_waitcnt lgkmcnt(3)
	v_fma_f32 v19, -v10, v64, v19
	s_waitcnt lgkmcnt(2)
	v_fma_f32 v19, -v11, v59, v19
	s_add_i32 s43, s15, 0xfffff8e4
	v_fma_f32 v19, -v12, v58, v19
	v_mov_b32_e32 v58, s43
	ds_read_b32 v58, v58
	s_waitcnt lgkmcnt(2)
	v_fma_f32 v19, -v13, v61, v19
	v_fma_f32 v19, -v14, v60, v19
	s_waitcnt lgkmcnt(1)
	v_fma_f32 v19, -v15, v63, v19
	s_add_i32 s42, s42, s9
	v_fma_f32 v19, -v17, v62, v19
	s_lshl_b32 s42, s42, 2
	s_waitcnt lgkmcnt(0)
	v_mul_f32_e32 v19, v58, v19
	s_add_i32 s43, s42, -4
	ds_write_b32 v20, v19 offset:16384
	v_mov_b32_e32 v20, s43
	ds_read2_b32 v[58:59], v20 offset1:1
	s_add_i32 s43, s42, -12
	v_mov_b32_e32 v60, s43
	s_sub_i32 s43, s42, 20
	v_mov_b32_e32 v62, s43
	s_sub_i32 s42, s42, 28
	v_mov_b32_e32 v20, s42
	ds_read2_b32 v[60:61], v60 offset1:1
	ds_read2_b32 v[62:63], v62 offset1:1
	;; [unrolled: 1-line block ×3, first 2 shown]
	s_waitcnt lgkmcnt(3)
	v_fma_f32 v20, -v10, v59, v57
	v_fma_f32 v20, -v11, v58, v20
	s_add_i32 s42, s15, 0xfffff7e0
	s_waitcnt lgkmcnt(2)
	v_fma_f32 v20, -v12, v61, v20
	v_mov_b32_e32 v57, s42
	v_fma_f32 v20, -v13, v60, v20
	ds_read_b32 v57, v57
	s_waitcnt lgkmcnt(2)
	v_fma_f32 v20, -v14, v63, v20
	v_fma_f32 v20, -v15, v62, v20
	s_waitcnt lgkmcnt(1)
	v_fma_f32 v20, -v17, v65, v20
	v_fma_f32 v20, -v19, v64, v20
	s_add_i32 s41, s41, s9
	s_waitcnt lgkmcnt(0)
	v_mul_f32_e32 v20, v57, v20
	s_lshl_b32 s41, s41, 2
	ds_write_b32 v22, v20 offset:16384
	v_mov_b32_e32 v22, s41
	s_add_i32 s42, s41, -8
	v_mov_b32_e32 v57, s42
	ds_read_b32 v22, v22
	ds_read2_b32 v[58:59], v57 offset1:1
	s_add_i32 s42, s41, -16
	v_mov_b32_e32 v60, s42
	s_sub_i32 s42, s41, 24
	v_mov_b32_e32 v57, s42
	ds_read2_b32 v[60:61], v60 offset1:1
	ds_read2_b32 v[62:63], v57 offset1:1
	s_waitcnt lgkmcnt(3)
	v_fma_f32 v22, -v10, v22, v56
	s_sub_i32 s41, s41, 32
	s_waitcnt lgkmcnt(2)
	v_fma_f32 v22, -v11, v59, v22
	v_mov_b32_e32 v56, s41
	v_fma_f32 v22, -v12, v58, v22
	ds_read2_b32 v[56:57], v56 offset1:1
	s_add_i32 s41, s15, 0xfffff6dc
	s_waitcnt lgkmcnt(2)
	v_fma_f32 v22, -v13, v61, v22
	v_mov_b32_e32 v58, s41
	v_fma_f32 v22, -v14, v60, v22
	ds_read_b32 v58, v58
	s_waitcnt lgkmcnt(2)
	v_fma_f32 v22, -v15, v63, v22
	v_fma_f32 v22, -v17, v62, v22
	s_waitcnt lgkmcnt(1)
	v_fma_f32 v22, -v19, v57, v22
	s_add_i32 s40, s40, s9
	v_fma_f32 v22, -v20, v56, v22
	s_lshl_b32 s40, s40, 2
	s_waitcnt lgkmcnt(0)
	v_mul_f32_e32 v22, v58, v22
	s_add_i32 s41, s40, -8
	ds_write_b32 v24, v22 offset:16384
	v_mov_b32_e32 v24, s40
	v_mov_b32_e32 v56, s41
	s_add_i32 s41, s40, -16
	ds_read_b32 v24, v24
	ds_read2_b32 v[56:57], v56 offset1:1
	v_mov_b32_e32 v58, s41
	s_sub_i32 s41, s40, 24
	v_mov_b32_e32 v60, s41
	ds_read2_b32 v[58:59], v58 offset1:1
	ds_read2_b32 v[60:61], v60 offset1:1
	s_waitcnt lgkmcnt(3)
	v_fma_f32 v24, -v10, v24, v55
	s_waitcnt lgkmcnt(2)
	v_fma_f32 v24, -v11, v57, v24
	s_sub_i32 s40, s40, 32
	v_fma_f32 v24, -v12, v56, v24
	v_mov_b32_e32 v55, s40
	s_waitcnt lgkmcnt(1)
	v_fma_f32 v24, -v13, v59, v24
	s_add_i32 s39, s39, s9
	ds_read2_b32 v[56:57], v55 offset1:1
	v_fma_f32 v24, -v14, v58, v24
	s_add_i32 s40, s15, 0xfffff5d8
	s_lshl_b32 s39, s39, 2
	s_waitcnt lgkmcnt(1)
	v_fma_f32 v24, -v15, v61, v24
	v_mov_b32_e32 v58, s40
	s_add_i32 s40, s39, -4
	v_fma_f32 v24, -v17, v60, v24
	v_mov_b32_e32 v60, s40
	s_add_i32 s40, s39, -12
	v_mov_b32_e32 v55, s40
	ds_read2_b32 v[58:59], v58 offset1:1
	ds_read2_b32 v[60:61], v60 offset1:1
	;; [unrolled: 1-line block ×3, first 2 shown]
	s_waitcnt lgkmcnt(3)
	v_fma_f32 v24, -v19, v57, v24
	v_fma_f32 v24, -v20, v56, v24
	s_waitcnt lgkmcnt(2)
	v_fma_f32 v24, -v22, v59, v24
	v_mul_f32_e32 v24, v58, v24
	s_sub_i32 s40, s39, 20
	ds_write_b32 v26, v24 offset:16384
	s_waitcnt lgkmcnt(2)
	v_fma_f32 v26, -v10, v61, v54
	v_mov_b32_e32 v54, s40
	ds_read2_b32 v[54:55], v54 offset1:1
	s_sub_i32 s40, s39, 28
	s_sub_i32 s39, s39, 36
	v_fma_f32 v26, -v11, v60, v26
	v_mov_b32_e32 v58, s39
	s_add_i32 s39, s15, 0xfffff4d4
	s_waitcnt lgkmcnt(2)
	v_fma_f32 v26, -v12, v63, v26
	v_mov_b32_e32 v56, s40
	v_mov_b32_e32 v60, s39
	v_fma_f32 v26, -v13, v62, v26
	ds_read2_b32 v[56:57], v56 offset1:1
	ds_read2_b32 v[58:59], v58 offset1:1
	;; [unrolled: 1-line block ×3, first 2 shown]
	s_waitcnt lgkmcnt(3)
	v_fma_f32 v26, -v14, v55, v26
	v_fma_f32 v26, -v15, v54, v26
	s_waitcnt lgkmcnt(2)
	v_fma_f32 v26, -v17, v57, v26
	v_fma_f32 v26, -v19, v56, v26
	s_waitcnt lgkmcnt(1)
	v_fma_f32 v26, -v20, v59, v26
	v_fma_f32 v26, -v22, v58, v26
	s_add_i32 s38, s38, s9
	s_waitcnt lgkmcnt(0)
	v_fma_f32 v26, -v24, v61, v26
	s_lshl_b32 s38, s38, 2
	v_mul_f32_e32 v26, v60, v26
	s_add_i32 s39, s38, -8
	ds_write_b32 v53, v26 offset:16384
	v_mov_b32_e32 v53, s38
	v_mov_b32_e32 v54, s39
	s_add_i32 s39, s38, -16
	ds_read_b32 v53, v53
	ds_read2_b32 v[54:55], v54 offset1:1
	v_mov_b32_e32 v56, s39
	s_sub_i32 s39, s38, 24
	v_mov_b32_e32 v58, s39
	ds_read2_b32 v[56:57], v56 offset1:1
	ds_read2_b32 v[58:59], v58 offset1:1
	s_waitcnt lgkmcnt(3)
	v_fma_f32 v28, -v10, v53, v28
	s_waitcnt lgkmcnt(2)
	v_fma_f32 v28, -v11, v55, v28
	s_sub_i32 s39, s38, 32
	v_fma_f32 v28, -v12, v54, v28
	v_mov_b32_e32 v53, s39
	s_waitcnt lgkmcnt(1)
	v_fma_f32 v28, -v13, v57, v28
	ds_read2_b32 v[54:55], v53 offset1:1
	v_fma_f32 v28, -v14, v56, v28
	s_sub_i32 s38, s38, 40
	s_add_i32 s37, s37, s9
	s_waitcnt lgkmcnt(1)
	v_fma_f32 v28, -v15, v59, v28
	v_mov_b32_e32 v56, s38
	s_add_i32 s38, s15, 0xfffff3d0
	s_lshl_b32 s37, s37, 2
	v_fma_f32 v28, -v17, v58, v28
	v_mov_b32_e32 v58, s38
	s_add_i32 s38, s37, -4
	v_mov_b32_e32 v53, s38
	ds_read2_b32 v[56:57], v56 offset1:1
	ds_read2_b32 v[58:59], v58 offset1:1
	;; [unrolled: 1-line block ×3, first 2 shown]
	s_waitcnt lgkmcnt(3)
	v_fma_f32 v28, -v19, v55, v28
	v_fma_f32 v28, -v20, v54, v28
	s_waitcnt lgkmcnt(2)
	v_fma_f32 v28, -v22, v57, v28
	v_fma_f32 v28, -v24, v56, v28
	s_waitcnt lgkmcnt(1)
	v_fma_f32 v28, -v26, v59, v28
	v_mul_f32_e32 v28, v58, v28
	s_add_i32 s38, s37, -12
	ds_write_b32 v30, v28 offset:16384
	s_waitcnt lgkmcnt(1)
	v_fma_f32 v30, -v10, v61, v52
	v_mov_b32_e32 v52, s38
	s_sub_i32 s38, s37, 20
	ds_read2_b32 v[52:53], v52 offset1:1
	v_mov_b32_e32 v54, s38
	s_sub_i32 s38, s37, 28
	v_mov_b32_e32 v56, s38
	s_sub_i32 s38, s37, 36
	v_mov_b32_e32 v58, s38
	v_fma_f32 v30, -v11, v60, v30
	ds_read2_b32 v[54:55], v54 offset1:1
	ds_read2_b32 v[56:57], v56 offset1:1
	;; [unrolled: 1-line block ×3, first 2 shown]
	s_waitcnt lgkmcnt(3)
	v_fma_f32 v30, -v12, v53, v30
	v_fma_f32 v30, -v13, v52, v30
	s_sub_i32 s37, s37, 44
	s_waitcnt lgkmcnt(2)
	v_fma_f32 v30, -v14, v55, v30
	v_mov_b32_e32 v52, s37
	v_fma_f32 v30, -v15, v54, v30
	s_add_i32 s36, s36, s9
	ds_read2_b32 v[52:53], v52 offset1:1
	s_waitcnt lgkmcnt(2)
	v_fma_f32 v30, -v17, v57, v30
	s_add_i32 s37, s15, 0xfffff2cc
	s_lshl_b32 s36, s36, 2
	v_fma_f32 v30, -v19, v56, v30
	v_mov_b32_e32 v54, s37
	s_add_i32 s37, s36, -8
	s_waitcnt lgkmcnt(1)
	v_fma_f32 v30, -v20, v59, v30
	v_mov_b32_e32 v56, s36
	v_mov_b32_e32 v57, s37
	v_fma_f32 v30, -v22, v58, v30
	ds_read2_b32 v[54:55], v54 offset1:1
	ds_read_b32 v58, v56
	ds_read2_b32 v[56:57], v57 offset1:1
	s_waitcnt lgkmcnt(3)
	v_fma_f32 v30, -v24, v53, v30
	v_fma_f32 v30, -v26, v52, v30
	s_waitcnt lgkmcnt(2)
	v_fma_f32 v30, -v28, v55, v30
	v_mul_f32_e32 v30, v54, v30
	s_add_i32 s37, s36, -16
	ds_write_b32 v32, v30 offset:16384
	s_waitcnt lgkmcnt(2)
	v_fma_f32 v32, -v10, v58, v51
	v_mov_b32_e32 v51, s37
	ds_read2_b32 v[52:53], v51 offset1:1
	s_sub_i32 s37, s36, 24
	s_waitcnt lgkmcnt(2)
	v_fma_f32 v32, -v11, v57, v32
	v_mov_b32_e32 v54, s37
	s_sub_i32 s37, s36, 32
	v_fma_f32 v32, -v12, v56, v32
	v_mov_b32_e32 v56, s37
	s_sub_i32 s37, s36, 40
	v_mov_b32_e32 v51, s37
	ds_read2_b32 v[54:55], v54 offset1:1
	ds_read2_b32 v[56:57], v56 offset1:1
	;; [unrolled: 1-line block ×3, first 2 shown]
	s_waitcnt lgkmcnt(3)
	v_fma_f32 v32, -v13, v53, v32
	v_fma_f32 v32, -v14, v52, v32
	s_sub_i32 s36, s36, 48
	s_waitcnt lgkmcnt(2)
	v_fma_f32 v32, -v15, v55, v32
	v_mov_b32_e32 v51, s36
	v_fma_f32 v32, -v17, v54, v32
	s_add_i32 s35, s35, s9
	ds_read2_b32 v[52:53], v51 offset1:1
	s_waitcnt lgkmcnt(2)
	v_fma_f32 v32, -v19, v57, v32
	s_add_i32 s36, s15, 0xfffff1c8
	s_lshl_b32 s35, s35, 2
	v_fma_f32 v32, -v20, v56, v32
	v_mov_b32_e32 v54, s36
	s_add_i32 s36, s35, -4
	s_waitcnt lgkmcnt(1)
	v_fma_f32 v32, -v22, v59, v32
	v_mov_b32_e32 v56, s36
	s_add_i32 s36, s35, -12
	v_fma_f32 v32, -v24, v58, v32
	v_mov_b32_e32 v51, s36
	ds_read2_b32 v[54:55], v54 offset1:1
	ds_read2_b32 v[56:57], v56 offset1:1
	;; [unrolled: 1-line block ×3, first 2 shown]
	s_waitcnt lgkmcnt(3)
	v_fma_f32 v32, -v26, v53, v32
	v_fma_f32 v32, -v28, v52, v32
	s_waitcnt lgkmcnt(2)
	v_fma_f32 v32, -v30, v55, v32
	v_mul_f32_e32 v32, v54, v32
	s_sub_i32 s36, s35, 20
	ds_write_b32 v35, v32 offset:16384
	s_waitcnt lgkmcnt(2)
	v_fma_f32 v35, -v10, v57, v50
	v_mov_b32_e32 v50, s36
	s_sub_i32 s36, s35, 28
	ds_read2_b32 v[50:51], v50 offset1:1
	v_mov_b32_e32 v52, s36
	s_sub_i32 s36, s35, 36
	v_fma_f32 v35, -v11, v56, v35
	v_mov_b32_e32 v54, s36
	s_sub_i32 s36, s35, 44
	s_waitcnt lgkmcnt(2)
	v_fma_f32 v35, -v12, v59, v35
	v_mov_b32_e32 v56, s36
	v_fma_f32 v35, -v13, v58, v35
	ds_read2_b32 v[52:53], v52 offset1:1
	ds_read2_b32 v[54:55], v54 offset1:1
	;; [unrolled: 1-line block ×3, first 2 shown]
	s_waitcnt lgkmcnt(3)
	v_fma_f32 v35, -v14, v51, v35
	v_fma_f32 v35, -v15, v50, v35
	s_sub_i32 s35, s35, 52
	s_waitcnt lgkmcnt(2)
	v_fma_f32 v35, -v17, v53, v35
	v_mov_b32_e32 v50, s35
	v_fma_f32 v35, -v19, v52, v35
	s_add_i32 s34, s34, s9
	ds_read2_b32 v[50:51], v50 offset1:1
	s_waitcnt lgkmcnt(2)
	v_fma_f32 v35, -v20, v55, v35
	s_add_i32 s35, s15, 0xfffff0c4
	s_lshl_b32 s34, s34, 2
	v_fma_f32 v35, -v22, v54, v35
	v_mov_b32_e32 v52, s35
	s_add_i32 s35, s34, -8
	s_waitcnt lgkmcnt(1)
	v_fma_f32 v35, -v24, v57, v35
	v_mov_b32_e32 v54, s34
	v_mov_b32_e32 v55, s35
	v_fma_f32 v35, -v26, v56, v35
	ds_read2_b32 v[52:53], v52 offset1:1
	ds_read_b32 v56, v54
	ds_read2_b32 v[54:55], v55 offset1:1
	s_waitcnt lgkmcnt(3)
	v_fma_f32 v35, -v28, v51, v35
	v_fma_f32 v35, -v30, v50, v35
	s_waitcnt lgkmcnt(2)
	v_fma_f32 v35, -v32, v53, v35
	v_mul_f32_e32 v35, v52, v35
	s_add_i32 s35, s34, -16
	ds_write_b32 v38, v35 offset:16384
	s_waitcnt lgkmcnt(2)
	v_fma_f32 v38, -v10, v56, v49
	v_mov_b32_e32 v49, s35
	ds_read2_b32 v[50:51], v49 offset1:1
	s_sub_i32 s35, s34, 24
	s_waitcnt lgkmcnt(2)
	v_fma_f32 v38, -v11, v55, v38
	v_mov_b32_e32 v52, s35
	s_sub_i32 s35, s34, 32
	v_fma_f32 v38, -v12, v54, v38
	v_mov_b32_e32 v54, s35
	s_sub_i32 s35, s34, 40
	v_mov_b32_e32 v49, s35
	ds_read2_b32 v[52:53], v52 offset1:1
	ds_read2_b32 v[54:55], v54 offset1:1
	;; [unrolled: 1-line block ×3, first 2 shown]
	s_waitcnt lgkmcnt(3)
	v_fma_f32 v38, -v13, v51, v38
	v_fma_f32 v38, -v14, v50, v38
	s_sub_i32 s35, s34, 48
	s_waitcnt lgkmcnt(2)
	v_fma_f32 v38, -v15, v53, v38
	v_mov_b32_e32 v49, s35
	v_fma_f32 v38, -v17, v52, v38
	ds_read2_b32 v[50:51], v49 offset1:1
	s_waitcnt lgkmcnt(2)
	v_fma_f32 v38, -v19, v55, v38
	s_sub_i32 s34, s34, 56
	s_add_i32 s33, s33, s9
	v_fma_f32 v38, -v20, v54, v38
	v_mov_b32_e32 v52, s34
	s_add_i32 s34, s15, 0xffffefc0
	s_lshl_b32 s33, s33, 2
	s_waitcnt lgkmcnt(1)
	v_fma_f32 v38, -v22, v57, v38
	v_mov_b32_e32 v54, s34
	s_add_i32 s34, s33, -4
	v_fma_f32 v38, -v24, v56, v38
	v_mov_b32_e32 v49, s34
	ds_read2_b32 v[52:53], v52 offset1:1
	ds_read2_b32 v[54:55], v54 offset1:1
	;; [unrolled: 1-line block ×3, first 2 shown]
	s_waitcnt lgkmcnt(3)
	v_fma_f32 v38, -v26, v51, v38
	v_fma_f32 v38, -v28, v50, v38
	s_waitcnt lgkmcnt(2)
	v_fma_f32 v38, -v30, v53, v38
	v_fma_f32 v38, -v32, v52, v38
	s_waitcnt lgkmcnt(1)
	v_fma_f32 v38, -v35, v55, v38
	v_mul_f32_e32 v38, v54, v38
	s_add_i32 s34, s33, -12
	ds_write_b32 v40, v38 offset:16384
	s_waitcnt lgkmcnt(1)
	v_fma_f32 v40, -v10, v57, v48
	v_mov_b32_e32 v48, s34
	s_sub_i32 s34, s33, 20
	ds_read2_b32 v[48:49], v48 offset1:1
	v_mov_b32_e32 v50, s34
	s_sub_i32 s34, s33, 28
	v_mov_b32_e32 v52, s34
	s_sub_i32 s34, s33, 36
	v_mov_b32_e32 v54, s34
	v_fma_f32 v40, -v11, v56, v40
	ds_read2_b32 v[50:51], v50 offset1:1
	ds_read2_b32 v[52:53], v52 offset1:1
	;; [unrolled: 1-line block ×3, first 2 shown]
	s_waitcnt lgkmcnt(3)
	v_fma_f32 v40, -v12, v49, v40
	v_fma_f32 v40, -v13, v48, v40
	s_waitcnt lgkmcnt(2)
	v_fma_f32 v40, -v14, v51, v40
	s_sub_i32 s34, s33, 44
	v_fma_f32 v40, -v15, v50, v40
	v_mov_b32_e32 v48, s34
	s_waitcnt lgkmcnt(1)
	v_fma_f32 v40, -v17, v53, v40
	ds_read2_b32 v[48:49], v48 offset1:1
	v_fma_f32 v40, -v19, v52, v40
	s_sub_i32 s34, s33, 52
	s_sub_i32 s33, s33, 60
	s_waitcnt lgkmcnt(1)
	v_fma_f32 v40, -v20, v55, v40
	v_mov_b32_e32 v52, s33
	s_add_i32 s33, s15, 0xffffeebc
	v_fma_f32 v40, -v22, v54, v40
	v_mov_b32_e32 v50, s34
	v_mov_b32_e32 v54, s33
	ds_read2_b32 v[50:51], v50 offset1:1
	ds_read2_b32 v[52:53], v52 offset1:1
	;; [unrolled: 1-line block ×3, first 2 shown]
	s_waitcnt lgkmcnt(3)
	v_fma_f32 v40, -v24, v49, v40
	v_fma_f32 v40, -v26, v48, v40
	s_waitcnt lgkmcnt(2)
	v_fma_f32 v40, -v28, v51, v40
	v_fma_f32 v40, -v30, v50, v40
	;; [unrolled: 3-line block ×3, first 2 shown]
	s_add_i32 s31, s31, s9
	s_waitcnt lgkmcnt(0)
	v_fma_f32 v40, -v38, v55, v40
	s_lshl_b32 s31, s31, 2
	v_mul_f32_e32 v40, v54, v40
	s_add_i32 s33, s31, -8
	ds_write_b32 v44, v40 offset:16384
	v_mov_b32_e32 v44, s31
	v_mov_b32_e32 v48, s33
	s_add_i32 s33, s31, -16
	ds_read_b32 v44, v44
	ds_read2_b32 v[48:49], v48 offset1:1
	v_mov_b32_e32 v50, s33
	s_sub_i32 s33, s31, 24
	v_mov_b32_e32 v52, s33
	ds_read2_b32 v[50:51], v50 offset1:1
	ds_read2_b32 v[52:53], v52 offset1:1
	s_waitcnt lgkmcnt(3)
	v_fma_f32 v44, -v10, v44, v47
	s_waitcnt lgkmcnt(2)
	v_fma_f32 v44, -v11, v49, v44
	s_sub_i32 s33, s31, 32
	v_fma_f32 v44, -v12, v48, v44
	v_mov_b32_e32 v47, s33
	s_waitcnt lgkmcnt(1)
	v_fma_f32 v44, -v13, v51, v44
	ds_read2_b32 v[48:49], v47 offset1:1
	v_fma_f32 v44, -v14, v50, v44
	s_sub_i32 s33, s31, 40
	s_waitcnt lgkmcnt(1)
	v_fma_f32 v44, -v15, v53, v44
	v_mov_b32_e32 v50, s33
	s_sub_i32 s33, s31, 48
	v_fma_f32 v44, -v17, v52, v44
	v_mov_b32_e32 v52, s33
	s_sub_i32 s33, s31, 56
	v_mov_b32_e32 v47, s33
	ds_read2_b32 v[50:51], v50 offset1:1
	ds_read2_b32 v[52:53], v52 offset1:1
	;; [unrolled: 1-line block ×3, first 2 shown]
	s_waitcnt lgkmcnt(3)
	v_fma_f32 v44, -v19, v49, v44
	v_fma_f32 v44, -v20, v48, v44
	s_sub_i32 s31, s31, 64
	s_waitcnt lgkmcnt(2)
	v_fma_f32 v44, -v22, v51, v44
	v_mov_b32_e32 v47, s31
	v_fma_f32 v44, -v24, v50, v44
	s_add_i32 s30, s30, s9
	ds_read2_b32 v[48:49], v47 offset1:1
	s_waitcnt lgkmcnt(2)
	v_fma_f32 v44, -v26, v53, v44
	s_add_i32 s31, s15, 0xffffedb8
	s_lshl_b32 s30, s30, 2
	v_fma_f32 v44, -v28, v52, v44
	v_mov_b32_e32 v50, s31
	s_add_i32 s31, s30, -4
	s_waitcnt lgkmcnt(1)
	v_fma_f32 v44, -v30, v55, v44
	v_mov_b32_e32 v52, s31
	s_add_i32 s31, s30, -12
	v_fma_f32 v44, -v32, v54, v44
	v_mov_b32_e32 v47, s31
	ds_read2_b32 v[50:51], v50 offset1:1
	ds_read2_b32 v[52:53], v52 offset1:1
	;; [unrolled: 1-line block ×3, first 2 shown]
	s_waitcnt lgkmcnt(3)
	v_fma_f32 v44, -v35, v49, v44
	v_fma_f32 v44, -v38, v48, v44
	s_waitcnt lgkmcnt(2)
	v_fma_f32 v44, -v40, v51, v44
	v_mul_f32_e32 v44, v50, v44
	s_sub_i32 s31, s30, 20
	ds_write_b32 v45, v44 offset:16384
	s_waitcnt lgkmcnt(2)
	v_fma_f32 v45, -v10, v53, v46
	v_mov_b32_e32 v46, s31
	s_sub_i32 s31, s30, 28
	ds_read2_b32 v[46:47], v46 offset1:1
	v_mov_b32_e32 v48, s31
	s_sub_i32 s31, s30, 36
	v_fma_f32 v45, -v11, v52, v45
	v_mov_b32_e32 v50, s31
	s_sub_i32 s31, s30, 44
	s_waitcnt lgkmcnt(2)
	v_fma_f32 v45, -v12, v55, v45
	v_mov_b32_e32 v52, s31
	v_fma_f32 v45, -v13, v54, v45
	ds_read2_b32 v[48:49], v48 offset1:1
	ds_read2_b32 v[50:51], v50 offset1:1
	;; [unrolled: 1-line block ×3, first 2 shown]
	s_waitcnt lgkmcnt(3)
	v_fma_f32 v45, -v14, v47, v45
	v_fma_f32 v45, -v15, v46, v45
	s_waitcnt lgkmcnt(2)
	v_fma_f32 v45, -v17, v49, v45
	s_sub_i32 s31, s30, 52
	v_fma_f32 v45, -v19, v48, v45
	v_mov_b32_e32 v46, s31
	s_waitcnt lgkmcnt(1)
	v_fma_f32 v45, -v20, v51, v45
	ds_read2_b32 v[46:47], v46 offset1:1
	v_fma_f32 v45, -v22, v50, v45
	s_sub_i32 s31, s30, 60
	s_addk_i32 s30, 0xffbc
	s_waitcnt lgkmcnt(1)
	v_fma_f32 v45, -v24, v53, v45
	v_mov_b32_e32 v50, s30
	s_add_i32 s30, s15, 0xffffecb4
	v_fma_f32 v45, -v26, v52, v45
	v_mov_b32_e32 v48, s31
	v_mov_b32_e32 v52, s30
	ds_read2_b32 v[48:49], v48 offset1:1
	ds_read2_b32 v[50:51], v50 offset1:1
	;; [unrolled: 1-line block ×3, first 2 shown]
	s_waitcnt lgkmcnt(3)
	v_fma_f32 v45, -v28, v47, v45
	v_fma_f32 v45, -v30, v46, v45
	s_waitcnt lgkmcnt(2)
	v_fma_f32 v45, -v32, v49, v45
	v_fma_f32 v45, -v35, v48, v45
	;; [unrolled: 3-line block ×3, first 2 shown]
	s_add_i32 s29, s29, s9
	s_waitcnt lgkmcnt(0)
	v_fma_f32 v45, -v44, v53, v45
	s_lshl_b32 s29, s29, 2
	v_mul_f32_e32 v45, v52, v45
	s_add_i32 s30, s29, -8
	ds_write_b32 v43, v45 offset:16384
	v_mov_b32_e32 v43, s29
	v_mov_b32_e32 v46, s30
	s_add_i32 s30, s29, -16
	ds_read_b32 v43, v43
	ds_read2_b32 v[46:47], v46 offset1:1
	v_mov_b32_e32 v48, s30
	s_sub_i32 s30, s29, 24
	v_mov_b32_e32 v50, s30
	ds_read2_b32 v[48:49], v48 offset1:1
	ds_read2_b32 v[50:51], v50 offset1:1
	s_waitcnt lgkmcnt(3)
	v_fma_f32 v42, -v10, v43, v42
	s_waitcnt lgkmcnt(2)
	v_fma_f32 v42, -v11, v47, v42
	v_fma_f32 v42, -v12, v46, v42
	s_waitcnt lgkmcnt(1)
	v_fma_f32 v42, -v13, v49, v42
	;; [unrolled: 3-line block ×3, first 2 shown]
	s_sub_i32 s30, s29, 32
	v_fma_f32 v52, -v17, v50, v42
	v_mov_b32_e32 v42, s30
	s_sub_i32 s30, s29, 40
	ds_read2_b32 v[42:43], v42 offset1:1
	v_mov_b32_e32 v46, s30
	s_sub_i32 s30, s29, 48
	v_mov_b32_e32 v48, s30
	s_sub_i32 s30, s29, 56
	v_mov_b32_e32 v50, s30
	ds_read2_b32 v[46:47], v46 offset1:1
	ds_read2_b32 v[48:49], v48 offset1:1
	;; [unrolled: 1-line block ×3, first 2 shown]
	s_waitcnt lgkmcnt(3)
	v_fma_f32 v43, -v19, v43, v52
	v_fma_f32 v42, -v20, v42, v43
	s_waitcnt lgkmcnt(2)
	v_fma_f32 v42, -v22, v47, v42
	v_fma_f32 v42, -v24, v46, v42
	;; [unrolled: 3-line block ×3, first 2 shown]
	s_waitcnt lgkmcnt(0)
	v_fma_f32 v42, -v30, v51, v42
	s_sub_i32 s30, s29, 64
	v_fma_f32 v52, -v32, v50, v42
	v_mov_b32_e32 v42, s30
	s_addk_i32 s29, 0xffb8
	s_add_i32 s28, s28, s9
	ds_read2_b32 v[42:43], v42 offset1:1
	v_mov_b32_e32 v46, s29
	s_add_i32 s29, s15, 0xffffebb0
	s_lshl_b32 s28, s28, 2
	v_mov_b32_e32 v48, s29
	s_add_i32 s29, s28, -4
	v_mov_b32_e32 v50, s29
	ds_read2_b32 v[46:47], v46 offset1:1
	ds_read2_b32 v[48:49], v48 offset1:1
	;; [unrolled: 1-line block ×3, first 2 shown]
	s_waitcnt lgkmcnt(3)
	v_fma_f32 v43, -v35, v43, v52
	v_fma_f32 v42, -v38, v42, v43
	s_waitcnt lgkmcnt(2)
	v_fma_f32 v42, -v40, v47, v42
	v_fma_f32 v42, -v44, v46, v42
	s_waitcnt lgkmcnt(1)
	v_fma_f32 v42, -v45, v49, v42
	v_mul_f32_e32 v42, v48, v42
	s_add_i32 s29, s28, -12
	ds_write_b32 v39, v42 offset:16384
	s_waitcnt lgkmcnt(1)
	v_fma_f32 v39, -v10, v51, v41
	v_mov_b32_e32 v41, s29
	ds_read2_b32 v[46:47], v41 offset1:1
	s_sub_i32 s29, s28, 20
	v_mov_b32_e32 v43, s29
	s_sub_i32 s29, s28, 28
	v_fma_f32 v39, -v11, v50, v39
	v_mov_b32_e32 v50, s29
	s_sub_i32 s29, s28, 36
	v_mov_b32_e32 v41, s29
	ds_read2_b32 v[48:49], v43 offset1:1
	ds_read2_b32 v[50:51], v50 offset1:1
	;; [unrolled: 1-line block ×3, first 2 shown]
	s_waitcnt lgkmcnt(3)
	v_fma_f32 v39, -v12, v47, v39
	v_fma_f32 v39, -v13, v46, v39
	s_sub_i32 s29, s28, 44
	s_waitcnt lgkmcnt(2)
	v_fma_f32 v39, -v14, v49, v39
	v_mov_b32_e32 v41, s29
	v_fma_f32 v39, -v15, v48, v39
	ds_read2_b32 v[46:47], v41 offset1:1
	s_waitcnt lgkmcnt(2)
	v_fma_f32 v39, -v17, v51, v39
	s_sub_i32 s29, s28, 52
	v_fma_f32 v39, -v19, v50, v39
	v_mov_b32_e32 v43, s29
	s_sub_i32 s29, s28, 60
	s_waitcnt lgkmcnt(1)
	v_fma_f32 v39, -v20, v53, v39
	v_mov_b32_e32 v50, s29
	s_add_i32 s29, s28, 0xffffffbc
	v_fma_f32 v39, -v22, v52, v39
	v_mov_b32_e32 v41, s29
	ds_read2_b32 v[48:49], v43 offset1:1
	ds_read2_b32 v[50:51], v50 offset1:1
	;; [unrolled: 1-line block ×3, first 2 shown]
	s_waitcnt lgkmcnt(3)
	v_fma_f32 v39, -v24, v47, v39
	v_fma_f32 v39, -v26, v46, v39
	s_addk_i32 s28, 0xffb4
	s_waitcnt lgkmcnt(2)
	v_fma_f32 v39, -v28, v49, v39
	v_mov_b32_e32 v41, s28
	v_fma_f32 v39, -v30, v48, v39
	ds_read2_b32 v[46:47], v41 offset1:1
	s_waitcnt lgkmcnt(2)
	v_fma_f32 v39, -v32, v51, v39
	s_add_i32 s27, s27, s9
	v_fma_f32 v39, -v35, v50, v39
	s_add_i32 s28, s15, 0xffffeaac
	s_lshl_b32 s27, s27, 2
	s_waitcnt lgkmcnt(1)
	v_fma_f32 v39, -v38, v53, v39
	v_mov_b32_e32 v43, s28
	v_mov_b32_e32 v50, s27
	s_add_i32 s28, s27, -8
	v_fma_f32 v39, -v40, v52, v39
	v_mov_b32_e32 v41, s28
	ds_read2_b32 v[48:49], v43 offset1:1
	ds_read_b32 v43, v50
	ds_read2_b32 v[50:51], v41 offset1:1
	s_waitcnt lgkmcnt(3)
	v_fma_f32 v39, -v44, v47, v39
	v_fma_f32 v39, -v45, v46, v39
	s_waitcnt lgkmcnt(2)
	v_fma_f32 v39, -v42, v49, v39
	v_mul_f32_e32 v39, v48, v39
	ds_write_b32 v36, v39 offset:16384
	s_waitcnt lgkmcnt(2)
	v_fma_f32 v36, -v10, v43, v37
	s_waitcnt lgkmcnt(1)
	v_fma_f32 v36, -v11, v51, v36
	s_add_i32 s28, s27, -16
	v_fma_f32 v41, -v12, v50, v36
	v_mov_b32_e32 v36, s28
	s_sub_i32 s28, s27, 24
	ds_read2_b32 v[36:37], v36 offset1:1
	v_mov_b32_e32 v43, s28
	s_sub_i32 s28, s27, 32
	v_mov_b32_e32 v48, s28
	s_sub_i32 s28, s27, 40
	v_mov_b32_e32 v50, s28
	ds_read2_b32 v[46:47], v43 offset1:1
	ds_read2_b32 v[48:49], v48 offset1:1
	;; [unrolled: 1-line block ×3, first 2 shown]
	s_waitcnt lgkmcnt(3)
	v_fma_f32 v37, -v13, v37, v41
	v_fma_f32 v36, -v14, v36, v37
	s_waitcnt lgkmcnt(2)
	v_fma_f32 v36, -v15, v47, v36
	v_fma_f32 v36, -v17, v46, v36
	;; [unrolled: 3-line block ×3, first 2 shown]
	s_waitcnt lgkmcnt(0)
	v_fma_f32 v36, -v22, v51, v36
	s_sub_i32 s28, s27, 48
	v_fma_f32 v41, -v24, v50, v36
	v_mov_b32_e32 v36, s28
	s_sub_i32 s28, s27, 56
	ds_read2_b32 v[36:37], v36 offset1:1
	v_mov_b32_e32 v43, s28
	s_sub_i32 s28, s27, 64
	v_mov_b32_e32 v48, s28
	s_add_i32 s28, s27, 0xffffffb8
	v_mov_b32_e32 v50, s28
	ds_read2_b32 v[46:47], v43 offset1:1
	ds_read2_b32 v[48:49], v48 offset1:1
	;; [unrolled: 1-line block ×3, first 2 shown]
	s_waitcnt lgkmcnt(3)
	v_fma_f32 v37, -v26, v37, v41
	v_fma_f32 v36, -v28, v36, v37
	s_waitcnt lgkmcnt(2)
	v_fma_f32 v36, -v30, v47, v36
	v_fma_f32 v36, -v32, v46, v36
	;; [unrolled: 3-line block ×3, first 2 shown]
	s_waitcnt lgkmcnt(0)
	v_fma_f32 v36, -v40, v51, v36
	s_addk_i32 s27, 0xffb0
	v_fma_f32 v41, -v44, v50, v36
	v_mov_b32_e32 v36, s27
	s_add_i32 s25, s25, s9
	s_add_i32 s27, s15, 0xffffe9a8
	s_lshl_b32 s25, s25, 2
	ds_read2_b32 v[36:37], v36 offset1:1
	v_mov_b32_e32 v43, s27
	s_add_i32 s27, s25, -4
	v_mov_b32_e32 v48, s27
	s_add_i32 s27, s25, -12
	v_mov_b32_e32 v50, s27
	ds_read2_b32 v[46:47], v43 offset1:1
	ds_read2_b32 v[48:49], v48 offset1:1
	;; [unrolled: 1-line block ×3, first 2 shown]
	s_waitcnt lgkmcnt(3)
	v_fma_f32 v37, -v45, v37, v41
	v_fma_f32 v36, -v42, v36, v37
	s_waitcnt lgkmcnt(2)
	v_fma_f32 v36, -v39, v47, v36
	v_mul_f32_e32 v36, v46, v36
	s_sub_i32 s27, s25, 20
	ds_write_b32 v33, v36 offset:16384
	s_waitcnt lgkmcnt(2)
	v_fma_f32 v33, -v10, v49, v34
	v_mov_b32_e32 v34, s27
	ds_read2_b32 v[46:47], v34 offset1:1
	s_sub_i32 s27, s25, 28
	v_fma_f32 v33, -v11, v48, v33
	v_mov_b32_e32 v37, s27
	s_sub_i32 s27, s25, 36
	s_waitcnt lgkmcnt(2)
	v_fma_f32 v33, -v12, v51, v33
	v_mov_b32_e32 v41, s27
	s_sub_i32 s27, s25, 44
	v_fma_f32 v33, -v13, v50, v33
	v_mov_b32_e32 v34, s27
	ds_read2_b32 v[48:49], v37 offset1:1
	ds_read2_b32 v[50:51], v41 offset1:1
	;; [unrolled: 1-line block ×3, first 2 shown]
	s_waitcnt lgkmcnt(3)
	v_fma_f32 v33, -v14, v47, v33
	v_fma_f32 v33, -v15, v46, v33
	s_sub_i32 s27, s25, 52
	s_waitcnt lgkmcnt(2)
	v_fma_f32 v33, -v17, v49, v33
	v_mov_b32_e32 v34, s27
	v_fma_f32 v33, -v19, v48, v33
	ds_read2_b32 v[46:47], v34 offset1:1
	s_waitcnt lgkmcnt(2)
	v_fma_f32 v33, -v20, v51, v33
	s_sub_i32 s27, s25, 60
	v_fma_f32 v33, -v22, v50, v33
	v_mov_b32_e32 v37, s27
	s_add_i32 s27, s25, 0xffffffbc
	s_waitcnt lgkmcnt(1)
	v_fma_f32 v33, -v24, v53, v33
	v_mov_b32_e32 v41, s27
	s_add_i32 s27, s25, 0xffffffb4
	v_fma_f32 v33, -v26, v52, v33
	v_mov_b32_e32 v34, s27
	ds_read2_b32 v[48:49], v37 offset1:1
	ds_read2_b32 v[50:51], v41 offset1:1
	;; [unrolled: 1-line block ×3, first 2 shown]
	s_waitcnt lgkmcnt(3)
	v_fma_f32 v33, -v28, v47, v33
	v_fma_f32 v33, -v30, v46, v33
	s_addk_i32 s25, 0xffac
	s_waitcnt lgkmcnt(2)
	v_fma_f32 v33, -v32, v49, v33
	v_mov_b32_e32 v34, s25
	v_fma_f32 v33, -v35, v48, v33
	ds_read2_b32 v[46:47], v34 offset1:1
	s_waitcnt lgkmcnt(2)
	v_fma_f32 v33, -v38, v51, v33
	s_add_i32 s24, s24, s9
	v_fma_f32 v33, -v40, v50, v33
	s_add_i32 s25, s15, 0xffffe8a4
	s_lshl_b32 s24, s24, 2
	s_waitcnt lgkmcnt(1)
	v_fma_f32 v33, -v44, v53, v33
	v_mov_b32_e32 v37, s25
	s_add_i32 s25, s24, -8
	v_fma_f32 v33, -v45, v52, v33
	v_mov_b32_e32 v41, s24
	v_mov_b32_e32 v34, s25
	ds_read2_b32 v[48:49], v37 offset1:1
	ds_read_b32 v37, v41
	ds_read2_b32 v[50:51], v34 offset1:1
	s_waitcnt lgkmcnt(3)
	v_fma_f32 v33, -v42, v47, v33
	v_fma_f32 v33, -v39, v46, v33
	s_waitcnt lgkmcnt(2)
	v_fma_f32 v33, -v36, v49, v33
	v_mul_f32_e32 v33, v48, v33
	s_add_i32 s25, s24, -16
	ds_write_b32 v29, v33 offset:16384
	s_waitcnt lgkmcnt(2)
	v_fma_f32 v29, -v10, v37, v31
	v_mov_b32_e32 v31, s25
	ds_read2_b32 v[46:47], v31 offset1:1
	s_sub_i32 s25, s24, 24
	v_mov_b32_e32 v34, s25
	s_sub_i32 s25, s24, 32
	s_waitcnt lgkmcnt(2)
	v_fma_f32 v29, -v11, v51, v29
	v_mov_b32_e32 v37, s25
	s_sub_i32 s25, s24, 40
	v_fma_f32 v29, -v12, v50, v29
	v_mov_b32_e32 v31, s25
	ds_read2_b32 v[48:49], v34 offset1:1
	ds_read2_b32 v[50:51], v37 offset1:1
	;; [unrolled: 1-line block ×3, first 2 shown]
	s_waitcnt lgkmcnt(3)
	v_fma_f32 v29, -v13, v47, v29
	v_fma_f32 v29, -v14, v46, v29
	s_sub_i32 s25, s24, 48
	s_waitcnt lgkmcnt(2)
	v_fma_f32 v29, -v15, v49, v29
	v_mov_b32_e32 v31, s25
	v_fma_f32 v29, -v17, v48, v29
	ds_read2_b32 v[46:47], v31 offset1:1
	s_waitcnt lgkmcnt(2)
	v_fma_f32 v29, -v19, v51, v29
	s_sub_i32 s25, s24, 56
	v_fma_f32 v29, -v20, v50, v29
	v_mov_b32_e32 v34, s25
	s_sub_i32 s25, s24, 64
	s_waitcnt lgkmcnt(1)
	v_fma_f32 v29, -v22, v53, v29
	v_mov_b32_e32 v37, s25
	s_add_i32 s25, s24, 0xffffffb8
	v_fma_f32 v29, -v24, v52, v29
	v_mov_b32_e32 v31, s25
	ds_read2_b32 v[48:49], v34 offset1:1
	ds_read2_b32 v[50:51], v37 offset1:1
	;; [unrolled: 1-line block ×3, first 2 shown]
	s_waitcnt lgkmcnt(3)
	v_fma_f32 v29, -v26, v47, v29
	v_fma_f32 v29, -v28, v46, v29
	s_add_i32 s25, s24, 0xffffffb0
	s_waitcnt lgkmcnt(2)
	v_fma_f32 v29, -v30, v49, v29
	v_mov_b32_e32 v31, s25
	v_fma_f32 v29, -v32, v48, v29
	ds_read2_b32 v[46:47], v31 offset1:1
	s_waitcnt lgkmcnt(2)
	v_fma_f32 v29, -v35, v51, v29
	s_addk_i32 s24, 0xffa8
	s_add_i32 s23, s23, s9
	v_fma_f32 v29, -v38, v50, v29
	v_mov_b32_e32 v34, s24
	s_add_i32 s24, s15, 0xffffe7a0
	s_lshl_b32 s23, s23, 2
	s_waitcnt lgkmcnt(1)
	v_fma_f32 v29, -v40, v53, v29
	v_mov_b32_e32 v37, s24
	s_add_i32 s24, s23, -4
	v_fma_f32 v29, -v44, v52, v29
	v_mov_b32_e32 v31, s24
	ds_read2_b32 v[48:49], v34 offset1:1
	ds_read2_b32 v[50:51], v37 offset1:1
	;; [unrolled: 1-line block ×3, first 2 shown]
	s_waitcnt lgkmcnt(3)
	v_fma_f32 v29, -v45, v47, v29
	v_fma_f32 v29, -v42, v46, v29
	s_waitcnt lgkmcnt(2)
	v_fma_f32 v29, -v39, v49, v29
	v_fma_f32 v29, -v36, v48, v29
	s_waitcnt lgkmcnt(1)
	v_fma_f32 v29, -v33, v51, v29
	v_mul_f32_e32 v29, v50, v29
	s_add_i32 s24, s23, -12
	ds_write_b32 v25, v29 offset:16384
	s_waitcnt lgkmcnt(1)
	v_fma_f32 v25, -v10, v53, v27
	v_mov_b32_e32 v27, s24
	ds_read2_b32 v[46:47], v27 offset1:1
	s_sub_i32 s24, s23, 20
	v_mov_b32_e32 v31, s24
	s_sub_i32 s24, s23, 28
	v_mov_b32_e32 v34, s24
	s_sub_i32 s24, s23, 36
	v_fma_f32 v25, -v11, v52, v25
	v_mov_b32_e32 v27, s24
	ds_read2_b32 v[48:49], v31 offset1:1
	ds_read2_b32 v[50:51], v34 offset1:1
	;; [unrolled: 1-line block ×3, first 2 shown]
	s_waitcnt lgkmcnt(3)
	v_fma_f32 v25, -v12, v47, v25
	v_fma_f32 v25, -v13, v46, v25
	s_sub_i32 s24, s23, 44
	s_waitcnt lgkmcnt(2)
	v_fma_f32 v25, -v14, v49, v25
	v_mov_b32_e32 v27, s24
	v_fma_f32 v25, -v15, v48, v25
	ds_read2_b32 v[46:47], v27 offset1:1
	s_waitcnt lgkmcnt(2)
	v_fma_f32 v25, -v17, v51, v25
	s_sub_i32 s24, s23, 52
	v_fma_f32 v25, -v19, v50, v25
	v_mov_b32_e32 v31, s24
	s_sub_i32 s24, s23, 60
	s_waitcnt lgkmcnt(1)
	v_fma_f32 v25, -v20, v53, v25
	v_mov_b32_e32 v34, s24
	s_add_i32 s24, s23, 0xffffffbc
	v_fma_f32 v25, -v22, v52, v25
	v_mov_b32_e32 v27, s24
	ds_read2_b32 v[48:49], v31 offset1:1
	ds_read2_b32 v[50:51], v34 offset1:1
	;; [unrolled: 1-line block ×3, first 2 shown]
	s_waitcnt lgkmcnt(3)
	v_fma_f32 v25, -v24, v47, v25
	v_fma_f32 v25, -v26, v46, v25
	s_add_i32 s24, s23, 0xffffffb4
	s_waitcnt lgkmcnt(2)
	v_fma_f32 v25, -v28, v49, v25
	v_mov_b32_e32 v27, s24
	v_fma_f32 v25, -v30, v48, v25
	ds_read2_b32 v[46:47], v27 offset1:1
	s_waitcnt lgkmcnt(2)
	v_fma_f32 v25, -v32, v51, v25
	v_fma_f32 v25, -v35, v50, v25
	s_add_i32 s24, s23, 0xffffffac
	s_addk_i32 s23, 0xffa4
	s_waitcnt lgkmcnt(1)
	v_fma_f32 v25, -v38, v53, v25
	v_mov_b32_e32 v31, s24
	v_mov_b32_e32 v34, s23
	s_add_i32 s23, s15, 0xffffe69c
	v_fma_f32 v25, -v40, v52, v25
	v_mov_b32_e32 v27, s23
	ds_read2_b32 v[48:49], v31 offset1:1
	ds_read2_b32 v[50:51], v34 offset1:1
	;; [unrolled: 1-line block ×3, first 2 shown]
	s_waitcnt lgkmcnt(3)
	v_fma_f32 v25, -v44, v47, v25
	v_fma_f32 v25, -v45, v46, v25
	s_waitcnt lgkmcnt(2)
	v_fma_f32 v25, -v42, v49, v25
	v_fma_f32 v25, -v39, v48, v25
	;; [unrolled: 3-line block ×3, first 2 shown]
	s_waitcnt lgkmcnt(0)
	v_fma_f32 v25, -v29, v53, v25
	s_add_i32 s21, s21, s9
	v_mul_f32_e32 v25, v52, v25
	s_lshl_b32 s21, s21, 2
	ds_write_b32 v21, v25 offset:16384
	v_mov_b32_e32 v21, s21
	s_add_i32 s23, s21, -8
	v_mov_b32_e32 v27, s23
	ds_read_b32 v21, v21
	ds_read2_b32 v[46:47], v27 offset1:1
	s_add_i32 s23, s21, -16
	v_mov_b32_e32 v31, s23
	s_sub_i32 s23, s21, 24
	v_mov_b32_e32 v27, s23
	ds_read2_b32 v[48:49], v31 offset1:1
	ds_read2_b32 v[50:51], v27 offset1:1
	s_waitcnt lgkmcnt(3)
	v_fma_f32 v21, -v10, v21, v23
	s_sub_i32 s23, s21, 32
	s_waitcnt lgkmcnt(2)
	v_fma_f32 v21, -v11, v47, v21
	v_mov_b32_e32 v23, s23
	v_fma_f32 v21, -v12, v46, v21
	ds_read2_b32 v[46:47], v23 offset1:1
	s_waitcnt lgkmcnt(2)
	v_fma_f32 v21, -v13, v49, v21
	s_sub_i32 s23, s21, 40
	v_fma_f32 v21, -v14, v48, v21
	v_mov_b32_e32 v27, s23
	s_sub_i32 s23, s21, 48
	s_waitcnt lgkmcnt(1)
	v_fma_f32 v21, -v15, v51, v21
	v_mov_b32_e32 v31, s23
	s_sub_i32 s23, s21, 56
	v_fma_f32 v21, -v17, v50, v21
	v_mov_b32_e32 v23, s23
	ds_read2_b32 v[48:49], v27 offset1:1
	ds_read2_b32 v[50:51], v31 offset1:1
	ds_read2_b32 v[52:53], v23 offset1:1
	s_waitcnt lgkmcnt(3)
	v_fma_f32 v21, -v19, v47, v21
	v_fma_f32 v21, -v20, v46, v21
	s_sub_i32 s23, s21, 64
	s_waitcnt lgkmcnt(2)
	v_fma_f32 v21, -v22, v49, v21
	v_mov_b32_e32 v23, s23
	v_fma_f32 v21, -v24, v48, v21
	ds_read2_b32 v[46:47], v23 offset1:1
	s_waitcnt lgkmcnt(2)
	v_fma_f32 v21, -v26, v51, v21
	s_add_i32 s23, s21, 0xffffffb8
	v_fma_f32 v21, -v28, v50, v21
	v_mov_b32_e32 v27, s23
	s_add_i32 s23, s21, 0xffffffb0
	s_waitcnt lgkmcnt(1)
	v_fma_f32 v21, -v30, v53, v21
	v_mov_b32_e32 v31, s23
	s_add_i32 s23, s21, 0xffffffa8
	v_fma_f32 v21, -v32, v52, v21
	v_mov_b32_e32 v23, s23
	ds_read2_b32 v[48:49], v27 offset1:1
	ds_read2_b32 v[50:51], v31 offset1:1
	;; [unrolled: 1-line block ×3, first 2 shown]
	s_waitcnt lgkmcnt(3)
	v_fma_f32 v21, -v35, v47, v21
	v_fma_f32 v21, -v38, v46, v21
	s_addk_i32 s21, 0xffa0
	s_waitcnt lgkmcnt(2)
	v_fma_f32 v21, -v40, v49, v21
	v_mov_b32_e32 v23, s21
	v_fma_f32 v21, -v44, v48, v21
	s_add_i32 s20, s20, s9
	ds_read2_b32 v[46:47], v23 offset1:1
	s_waitcnt lgkmcnt(2)
	v_fma_f32 v21, -v45, v51, v21
	s_add_i32 s21, s15, 0xffffe598
	s_lshl_b32 s20, s20, 2
	v_fma_f32 v21, -v42, v50, v21
	v_mov_b32_e32 v27, s21
	s_add_i32 s21, s20, -4
	s_waitcnt lgkmcnt(1)
	v_fma_f32 v21, -v39, v53, v21
	v_mov_b32_e32 v31, s21
	s_add_i32 s21, s20, -12
	v_fma_f32 v21, -v36, v52, v21
	v_mov_b32_e32 v23, s21
	ds_read2_b32 v[48:49], v27 offset1:1
	ds_read2_b32 v[50:51], v31 offset1:1
	;; [unrolled: 1-line block ×3, first 2 shown]
	s_waitcnt lgkmcnt(3)
	v_fma_f32 v21, -v33, v47, v21
	v_fma_f32 v21, -v29, v46, v21
	s_waitcnt lgkmcnt(2)
	v_fma_f32 v21, -v25, v49, v21
	v_mul_f32_e32 v21, v48, v21
	s_sub_i32 s21, s20, 20
	ds_write_b32 v16, v21 offset:16384
	s_waitcnt lgkmcnt(2)
	v_fma_f32 v16, -v10, v51, v18
	v_mov_b32_e32 v18, s21
	ds_read2_b32 v[46:47], v18 offset1:1
	s_sub_i32 s21, s20, 28
	v_fma_f32 v16, -v11, v50, v16
	v_mov_b32_e32 v23, s21
	s_sub_i32 s21, s20, 36
	s_waitcnt lgkmcnt(2)
	v_fma_f32 v16, -v12, v53, v16
	v_mov_b32_e32 v27, s21
	s_sub_i32 s21, s20, 44
	v_fma_f32 v16, -v13, v52, v16
	v_mov_b32_e32 v18, s21
	ds_read2_b32 v[48:49], v23 offset1:1
	ds_read2_b32 v[50:51], v27 offset1:1
	;; [unrolled: 1-line block ×3, first 2 shown]
	s_waitcnt lgkmcnt(3)
	v_fma_f32 v16, -v14, v47, v16
	v_fma_f32 v16, -v15, v46, v16
	s_sub_i32 s21, s20, 52
	s_waitcnt lgkmcnt(2)
	v_fma_f32 v16, -v17, v49, v16
	v_mov_b32_e32 v18, s21
	v_fma_f32 v16, -v19, v48, v16
	ds_read2_b32 v[46:47], v18 offset1:1
	s_waitcnt lgkmcnt(2)
	v_fma_f32 v16, -v20, v51, v16
	s_sub_i32 s21, s20, 60
	v_fma_f32 v16, -v22, v50, v16
	v_mov_b32_e32 v23, s21
	s_add_i32 s21, s20, 0xffffffbc
	s_waitcnt lgkmcnt(1)
	v_fma_f32 v16, -v24, v53, v16
	v_mov_b32_e32 v27, s21
	s_add_i32 s21, s20, 0xffffffb4
	v_fma_f32 v16, -v26, v52, v16
	v_mov_b32_e32 v18, s21
	ds_read2_b32 v[48:49], v23 offset1:1
	ds_read2_b32 v[50:51], v27 offset1:1
	;; [unrolled: 1-line block ×3, first 2 shown]
	s_waitcnt lgkmcnt(3)
	v_fma_f32 v16, -v28, v47, v16
	v_fma_f32 v16, -v30, v46, v16
	s_add_i32 s21, s20, 0xffffffac
	s_waitcnt lgkmcnt(2)
	v_fma_f32 v16, -v32, v49, v16
	v_mov_b32_e32 v18, s21
	v_fma_f32 v16, -v35, v48, v16
	ds_read2_b32 v[46:47], v18 offset1:1
	s_waitcnt lgkmcnt(2)
	v_fma_f32 v16, -v38, v51, v16
	v_fma_f32 v16, -v40, v50, v16
	s_add_i32 s21, s20, 0xffffffa4
	s_addk_i32 s20, 0xff9c
	s_waitcnt lgkmcnt(1)
	v_fma_f32 v16, -v44, v53, v16
	v_mov_b32_e32 v23, s21
	v_mov_b32_e32 v27, s20
	s_add_i32 s20, s15, 0xffffe494
	v_fma_f32 v16, -v45, v52, v16
	v_mov_b32_e32 v18, s20
	ds_read2_b32 v[48:49], v23 offset1:1
	ds_read2_b32 v[50:51], v27 offset1:1
	;; [unrolled: 1-line block ×3, first 2 shown]
	s_waitcnt lgkmcnt(3)
	v_fma_f32 v16, -v42, v47, v16
	v_fma_f32 v16, -v39, v46, v16
	s_waitcnt lgkmcnt(2)
	v_fma_f32 v16, -v36, v49, v16
	v_fma_f32 v16, -v33, v48, v16
	;; [unrolled: 3-line block ×3, first 2 shown]
	s_waitcnt lgkmcnt(0)
	v_fma_f32 v16, -v21, v53, v16
	s_add_i32 s19, s19, s9
	v_mul_f32_e32 v16, v52, v16
	s_lshl_b32 s19, s19, 2
	ds_write_b32 v9, v16 offset:16384
	v_mov_b32_e32 v9, s19
	s_add_i32 s20, s19, -8
	v_mov_b32_e32 v18, s20
	ds_read_b32 v9, v9
	ds_read2_b32 v[46:47], v18 offset1:1
	s_add_i32 s20, s19, -16
	v_mov_b32_e32 v23, s20
	s_sub_i32 s20, s19, 24
	v_mov_b32_e32 v18, s20
	ds_read2_b32 v[48:49], v23 offset1:1
	ds_read2_b32 v[50:51], v18 offset1:1
	s_waitcnt lgkmcnt(3)
	v_fma_f32 v8, -v10, v9, v8
	s_waitcnt lgkmcnt(2)
	v_fma_f32 v8, -v11, v47, v8
	v_fma_f32 v8, -v12, v46, v8
	s_waitcnt lgkmcnt(1)
	v_fma_f32 v8, -v13, v49, v8
	;; [unrolled: 3-line block ×3, first 2 shown]
	s_sub_i32 s20, s19, 32
	v_fma_f32 v18, -v17, v50, v8
	v_mov_b32_e32 v8, s20
	ds_read2_b32 v[8:9], v8 offset1:1
	s_sub_i32 s20, s19, 40
	v_mov_b32_e32 v23, s20
	s_sub_i32 s20, s19, 48
	v_mov_b32_e32 v27, s20
	;; [unrolled: 2-line block ×3, first 2 shown]
	ds_read2_b32 v[46:47], v23 offset1:1
	ds_read2_b32 v[48:49], v27 offset1:1
	;; [unrolled: 1-line block ×3, first 2 shown]
	s_waitcnt lgkmcnt(3)
	v_fma_f32 v9, -v19, v9, v18
	v_fma_f32 v8, -v20, v8, v9
	s_waitcnt lgkmcnt(2)
	v_fma_f32 v8, -v22, v47, v8
	v_fma_f32 v8, -v24, v46, v8
	;; [unrolled: 3-line block ×3, first 2 shown]
	s_waitcnt lgkmcnt(0)
	v_fma_f32 v8, -v30, v51, v8
	s_sub_i32 s20, s19, 64
	v_fma_f32 v18, -v32, v50, v8
	v_mov_b32_e32 v8, s20
	ds_read2_b32 v[8:9], v8 offset1:1
	s_add_i32 s20, s19, 0xffffffb8
	v_mov_b32_e32 v23, s20
	s_add_i32 s20, s19, 0xffffffb0
	v_mov_b32_e32 v27, s20
	;; [unrolled: 2-line block ×3, first 2 shown]
	ds_read2_b32 v[46:47], v23 offset1:1
	ds_read2_b32 v[48:49], v27 offset1:1
	;; [unrolled: 1-line block ×3, first 2 shown]
	s_waitcnt lgkmcnt(3)
	v_fma_f32 v9, -v35, v9, v18
	v_fma_f32 v8, -v38, v8, v9
	s_waitcnt lgkmcnt(2)
	v_fma_f32 v8, -v40, v47, v8
	v_fma_f32 v8, -v44, v46, v8
	;; [unrolled: 3-line block ×3, first 2 shown]
	s_waitcnt lgkmcnt(0)
	v_fma_f32 v8, -v39, v51, v8
	s_add_i32 s20, s19, 0xffffffa0
	v_fma_f32 v18, -v36, v50, v8
	v_mov_b32_e32 v8, s20
	ds_read2_b32 v[8:9], v8 offset1:1
	s_addk_i32 s19, 0xff98
	s_add_i32 s18, s18, s9
	v_mov_b32_e32 v23, s19
	s_add_i32 s19, s15, 0xffffe390
	s_lshl_b32 s18, s18, 2
	v_mov_b32_e32 v27, s19
	s_add_i32 s19, s18, -4
	v_mov_b32_e32 v31, s19
	ds_read2_b32 v[46:47], v23 offset1:1
	ds_read2_b32 v[48:49], v27 offset1:1
	;; [unrolled: 1-line block ×3, first 2 shown]
	s_waitcnt lgkmcnt(3)
	v_fma_f32 v9, -v33, v9, v18
	v_fma_f32 v8, -v29, v8, v9
	s_waitcnt lgkmcnt(2)
	v_fma_f32 v8, -v25, v47, v8
	v_fma_f32 v8, -v21, v46, v8
	s_waitcnt lgkmcnt(1)
	v_fma_f32 v8, -v16, v49, v8
	v_mul_f32_e32 v18, v48, v8
	ds_write_b32 v6, v18 offset:16384
	s_waitcnt lgkmcnt(1)
	v_fma_f32 v6, -v10, v51, v7
	s_add_i32 s19, s18, -12
	v_fma_f32 v23, -v11, v50, v6
	v_mov_b32_e32 v6, s19
	ds_read2_b32 v[6:7], v6 offset1:1
	s_sub_i32 s19, s18, 20
	v_mov_b32_e32 v8, s19
	s_sub_i32 s19, s18, 28
	v_mov_b32_e32 v27, s19
	;; [unrolled: 2-line block ×3, first 2 shown]
	ds_read2_b32 v[8:9], v8 offset1:1
	ds_read2_b32 v[46:47], v27 offset1:1
	;; [unrolled: 1-line block ×3, first 2 shown]
	s_waitcnt lgkmcnt(3)
	v_fma_f32 v7, -v12, v7, v23
	v_fma_f32 v6, -v13, v6, v7
	s_waitcnt lgkmcnt(2)
	v_fma_f32 v6, -v14, v9, v6
	v_fma_f32 v6, -v15, v8, v6
	;; [unrolled: 3-line block ×3, first 2 shown]
	s_waitcnt lgkmcnt(0)
	v_fma_f32 v6, -v20, v49, v6
	s_sub_i32 s19, s18, 44
	v_fma_f32 v23, -v22, v48, v6
	v_mov_b32_e32 v6, s19
	ds_read2_b32 v[6:7], v6 offset1:1
	s_sub_i32 s19, s18, 52
	v_mov_b32_e32 v8, s19
	s_sub_i32 s19, s18, 60
	v_mov_b32_e32 v27, s19
	s_add_i32 s19, s18, 0xffffffbc
	v_mov_b32_e32 v31, s19
	ds_read2_b32 v[8:9], v8 offset1:1
	ds_read2_b32 v[46:47], v27 offset1:1
	;; [unrolled: 1-line block ×3, first 2 shown]
	s_waitcnt lgkmcnt(3)
	v_fma_f32 v7, -v24, v7, v23
	v_fma_f32 v6, -v26, v6, v7
	s_waitcnt lgkmcnt(2)
	v_fma_f32 v6, -v28, v9, v6
	v_fma_f32 v6, -v30, v8, v6
	s_waitcnt lgkmcnt(1)
	v_fma_f32 v6, -v32, v47, v6
	v_fma_f32 v6, -v35, v46, v6
	s_waitcnt lgkmcnt(0)
	v_fma_f32 v6, -v38, v49, v6
	s_add_i32 s19, s18, 0xffffffb4
	v_fma_f32 v23, -v40, v48, v6
	v_mov_b32_e32 v6, s19
	ds_read2_b32 v[6:7], v6 offset1:1
	s_add_i32 s19, s18, 0xffffffac
	v_mov_b32_e32 v8, s19
	s_add_i32 s19, s18, 0xffffffa4
	v_mov_b32_e32 v27, s19
	;; [unrolled: 2-line block ×3, first 2 shown]
	ds_read2_b32 v[8:9], v8 offset1:1
	ds_read2_b32 v[46:47], v27 offset1:1
	;; [unrolled: 1-line block ×3, first 2 shown]
	s_waitcnt lgkmcnt(3)
	v_fma_f32 v7, -v44, v7, v23
	v_fma_f32 v6, -v45, v6, v7
	s_waitcnt lgkmcnt(2)
	v_fma_f32 v6, -v42, v9, v6
	v_fma_f32 v6, -v39, v8, v6
	;; [unrolled: 3-line block ×3, first 2 shown]
	s_waitcnt lgkmcnt(0)
	v_fma_f32 v6, -v29, v49, v6
	s_addk_i32 s18, 0xff94
	v_fma_f32 v23, -v25, v48, v6
	v_mov_b32_e32 v6, s18
	ds_read2_b32 v[6:7], v6 offset1:1
	s_add_i32 s14, s14, s9
	s_add_i32 s18, s15, 0xffffe28c
	s_lshl_b32 s14, s14, 2
	v_mov_b32_e32 v8, s18
	v_mov_b32_e32 v27, s14
	s_add_i32 s18, s14, -8
	v_mov_b32_e32 v31, s18
	ds_read2_b32 v[8:9], v8 offset1:1
	ds_read_b32 v27, v27
	ds_read2_b32 v[46:47], v31 offset1:1
	s_waitcnt lgkmcnt(3)
	v_fma_f32 v7, -v21, v7, v23
	v_fma_f32 v6, -v16, v6, v7
	s_waitcnt lgkmcnt(2)
	v_fma_f32 v6, -v18, v9, v6
	v_mul_f32_e32 v23, v8, v6
	ds_write_b32 v4, v23 offset:16384
	s_waitcnt lgkmcnt(2)
	v_fma_f32 v4, -v10, v27, v5
	s_waitcnt lgkmcnt(1)
	v_fma_f32 v4, -v11, v47, v4
	s_add_i32 s18, s14, -16
	v_fma_f32 v27, -v12, v46, v4
	v_mov_b32_e32 v4, s18
	ds_read2_b32 v[4:5], v4 offset1:1
	s_sub_i32 s18, s14, 24
	v_mov_b32_e32 v6, s18
	s_sub_i32 s18, s14, 32
	v_mov_b32_e32 v8, s18
	;; [unrolled: 2-line block ×3, first 2 shown]
	ds_read2_b32 v[6:7], v6 offset1:1
	ds_read2_b32 v[8:9], v8 offset1:1
	;; [unrolled: 1-line block ×3, first 2 shown]
	s_waitcnt lgkmcnt(3)
	v_fma_f32 v5, -v13, v5, v27
	v_fma_f32 v4, -v14, v4, v5
	s_waitcnt lgkmcnt(2)
	v_fma_f32 v4, -v15, v7, v4
	v_fma_f32 v4, -v17, v6, v4
	;; [unrolled: 3-line block ×3, first 2 shown]
	s_waitcnt lgkmcnt(0)
	v_fma_f32 v4, -v22, v47, v4
	s_sub_i32 s18, s14, 48
	v_fma_f32 v27, -v24, v46, v4
	v_mov_b32_e32 v4, s18
	ds_read2_b32 v[4:5], v4 offset1:1
	s_sub_i32 s18, s14, 56
	v_mov_b32_e32 v6, s18
	s_sub_i32 s18, s14, 64
	v_mov_b32_e32 v8, s18
	s_add_i32 s18, s14, 0xffffffb8
	v_mov_b32_e32 v31, s18
	ds_read2_b32 v[6:7], v6 offset1:1
	ds_read2_b32 v[8:9], v8 offset1:1
	;; [unrolled: 1-line block ×3, first 2 shown]
	s_waitcnt lgkmcnt(3)
	v_fma_f32 v5, -v26, v5, v27
	v_fma_f32 v4, -v28, v4, v5
	s_waitcnt lgkmcnt(2)
	v_fma_f32 v4, -v30, v7, v4
	v_fma_f32 v4, -v32, v6, v4
	;; [unrolled: 3-line block ×3, first 2 shown]
	s_waitcnt lgkmcnt(0)
	v_fma_f32 v4, -v40, v47, v4
	s_add_i32 s18, s14, 0xffffffb0
	v_fma_f32 v27, -v44, v46, v4
	v_mov_b32_e32 v4, s18
	ds_read2_b32 v[4:5], v4 offset1:1
	s_add_i32 s18, s14, 0xffffffa8
	v_mov_b32_e32 v6, s18
	s_add_i32 s18, s14, 0xffffffa0
	v_mov_b32_e32 v8, s18
	;; [unrolled: 2-line block ×3, first 2 shown]
	ds_read2_b32 v[6:7], v6 offset1:1
	ds_read2_b32 v[8:9], v8 offset1:1
	;; [unrolled: 1-line block ×3, first 2 shown]
	s_waitcnt lgkmcnt(3)
	v_fma_f32 v5, -v45, v5, v27
	v_fma_f32 v4, -v42, v4, v5
	s_waitcnt lgkmcnt(2)
	v_fma_f32 v4, -v39, v7, v4
	v_fma_f32 v4, -v36, v6, v4
	s_waitcnt lgkmcnt(1)
	v_fma_f32 v4, -v33, v9, v4
	v_fma_f32 v4, -v29, v8, v4
	s_waitcnt lgkmcnt(0)
	v_fma_f32 v4, -v25, v47, v4
	s_addk_i32 s14, 0xff90
	v_fma_f32 v27, -v21, v46, v4
	v_mov_b32_e32 v4, s14
	s_add_i32 s14, s15, 0xffffe188
	v_mov_b32_e32 v6, s14
	s_sub_i32 s14, s9, 31
	s_lshl_b32 s14, s14, 6
	s_add_i32 s18, s14, s9
	ds_read2_b32 v[4:5], v4 offset1:1
	s_lshl_b32 s18, s18, 2
	s_add_i32 s19, s18, -4
	v_mov_b32_e32 v8, s19
	s_add_i32 s19, s18, -12
	v_mov_b32_e32 v31, s19
	ds_read2_b32 v[6:7], v6 offset1:1
	ds_read2_b32 v[8:9], v8 offset1:1
	ds_read2_b32 v[46:47], v31 offset1:1
	s_waitcnt lgkmcnt(3)
	v_fma_f32 v5, -v16, v5, v27
	v_fma_f32 v4, -v18, v4, v5
	s_waitcnt lgkmcnt(2)
	v_fma_f32 v4, -v23, v7, v4
	v_mul_f32_e32 v27, v6, v4
	ds_write_b32 v2, v27 offset:16384
	s_waitcnt lgkmcnt(2)
	v_fma_f32 v2, -v10, v9, v3
	v_fma_f32 v2, -v11, v8, v2
	s_waitcnt lgkmcnt(1)
	v_fma_f32 v2, -v12, v47, v2
	s_sub_i32 s19, s18, 20
	v_fma_f32 v10, -v13, v46, v2
	v_mov_b32_e32 v2, s19
	s_sub_i32 s19, s18, 28
	ds_read2_b32 v[2:3], v2 offset1:1
	v_mov_b32_e32 v4, s19
	s_sub_i32 s19, s18, 36
	v_mov_b32_e32 v6, s19
	s_sub_i32 s19, s18, 44
	v_mov_b32_e32 v8, s19
	ds_read2_b32 v[4:5], v4 offset1:1
	ds_read2_b32 v[6:7], v6 offset1:1
	;; [unrolled: 1-line block ×3, first 2 shown]
	s_waitcnt lgkmcnt(3)
	v_fma_f32 v3, -v14, v3, v10
	v_fma_f32 v2, -v15, v2, v3
	s_waitcnt lgkmcnt(2)
	v_fma_f32 v2, -v17, v5, v2
	v_fma_f32 v2, -v19, v4, v2
	;; [unrolled: 3-line block ×3, first 2 shown]
	s_waitcnt lgkmcnt(0)
	v_fma_f32 v2, -v24, v9, v2
	s_sub_i32 s19, s18, 52
	v_fma_f32 v10, -v26, v8, v2
	v_mov_b32_e32 v2, s19
	s_sub_i32 s19, s18, 60
	ds_read2_b32 v[2:3], v2 offset1:1
	v_mov_b32_e32 v4, s19
	s_add_i32 s19, s18, 0xffffffbc
	v_mov_b32_e32 v6, s19
	s_add_i32 s19, s18, 0xffffffb4
	v_mov_b32_e32 v8, s19
	ds_read2_b32 v[4:5], v4 offset1:1
	ds_read2_b32 v[6:7], v6 offset1:1
	;; [unrolled: 1-line block ×3, first 2 shown]
	s_waitcnt lgkmcnt(3)
	v_fma_f32 v3, -v28, v3, v10
	v_fma_f32 v2, -v30, v2, v3
	s_waitcnt lgkmcnt(2)
	v_fma_f32 v2, -v32, v5, v2
	v_fma_f32 v2, -v35, v4, v2
	;; [unrolled: 3-line block ×3, first 2 shown]
	s_waitcnt lgkmcnt(0)
	v_fma_f32 v2, -v44, v9, v2
	s_add_i32 s19, s18, 0xffffffac
	v_fma_f32 v10, -v45, v8, v2
	v_mov_b32_e32 v2, s19
	s_add_i32 s19, s18, 0xffffffa4
	ds_read2_b32 v[2:3], v2 offset1:1
	v_mov_b32_e32 v4, s19
	s_add_i32 s19, s18, 0xffffff9c
	v_mov_b32_e32 v6, s19
	s_add_i32 s19, s18, 0xffffff94
	v_mov_b32_e32 v8, s19
	ds_read2_b32 v[4:5], v4 offset1:1
	ds_read2_b32 v[6:7], v6 offset1:1
	;; [unrolled: 1-line block ×3, first 2 shown]
	s_waitcnt lgkmcnt(3)
	v_fma_f32 v3, -v42, v3, v10
	v_fma_f32 v2, -v39, v2, v3
	s_waitcnt lgkmcnt(2)
	v_fma_f32 v2, -v36, v5, v2
	v_fma_f32 v2, -v33, v4, v2
	s_waitcnt lgkmcnt(1)
	v_fma_f32 v2, -v29, v7, v2
	s_addk_i32 s18, 0xff8c
	v_fma_f32 v6, -v25, v6, v2
	v_mov_b32_e32 v2, s18
	s_addk_i32 s15, 0xe084
	ds_read2_b32 v[2:3], v2 offset1:1
	v_mov_b32_e32 v4, s15
	ds_read2_b32 v[4:5], v4 offset1:1
	s_waitcnt lgkmcnt(2)
	v_fma_f32 v6, -v21, v9, v6
	v_fma_f32 v6, -v16, v8, v6
	s_waitcnt lgkmcnt(1)
	v_fma_f32 v3, -v18, v3, v6
	v_fma_f32 v2, -v23, v2, v3
	s_waitcnt lgkmcnt(0)
	v_fma_f32 v2, -v27, v5, v2
	v_or_b32_e32 v3, s14, v0
	s_sub_i32 s14, s9, 32
	s_addk_i32 s8, 0xe000
	v_mul_f32_e32 v2, v4, v2
	v_lshlrev_b32_e32 v3, 2, v3
	s_cmp_gt_i32 s9, 62
	ds_write_b32 v3, v2 offset:16384
	s_cbranch_scc0 .LBB43_34
; %bb.33:                               ;   in Loop: Header=BB43_30 Depth=1
	s_mov_b32 s9, s14
	s_branch .LBB43_30
.LBB43_34:
	s_cmp_gt_i32 s14, -1
	s_cbranch_scc0 .LBB43_55
; %bb.35:
	s_cmp_lt_u32 s14, 3
	s_cbranch_scc1 .LBB43_41
; %bb.36:
	s_lshl_b32 s8, s14, 8
	s_lshl_b32 s9, s26, 2
	v_lshlrev_b32_e32 v1, 2, v0
	s_add_i32 s8, s8, s9
	v_lshl_or_b32 v1, s26, 8, v1
	s_addk_i32 s8, 0xfcfc
	v_add_u32_e32 v1, 0x3f00, v1
.LBB43_37:                              ; =>This Loop Header: Depth=1
                                        ;     Child Loop BB43_38 Depth 2
	s_lshl_b32 s9, s14, 6
	v_or_b32_e32 v2, s9, v0
	s_sub_i32 s15, s9, 64
	v_lshlrev_b32_e32 v8, 2, v2
	v_or_b32_e32 v2, s15, v0
	s_add_i32 s15, s9, 0xffffff80
	v_lshlrev_b32_e32 v4, 2, v2
	v_or_b32_e32 v2, s15, v0
	s_addk_i32 s9, 0xff40
	v_lshlrev_b32_e32 v3, 2, v2
	v_or_b32_e32 v2, s9, v0
	v_lshlrev_b32_e32 v2, 2, v2
	ds_read_b32 v7, v8 offset:16384
	ds_read_b32 v6, v4 offset:16384
	;; [unrolled: 1-line block ×4, first 2 shown]
	s_cmp_le_i32 s6, s14
	v_mov_b32_e32 v9, v1
	s_mov_b32 s18, s8
	s_mov_b32 s19, s6
	s_cbranch_scc1 .LBB43_39
.LBB43_38:                              ;   Parent Loop BB43_37 Depth=1
                                        ; =>  This Inner Loop Header: Depth=2
	v_mov_b32_e32 v12, s18
	ds_read_b32 v14, v9
	ds_read2st64_b32 v[10:11], v12 offset0:2 offset1:3
	ds_read2st64_b32 v[12:13], v12 offset1:1
	s_add_i32 s19, s19, -1
	s_add_i32 s18, s18, -4
	v_add_u32_e32 v9, 0xffffff00, v9
	s_cmp_gt_i32 s19, s14
	s_waitcnt lgkmcnt(1)
	v_fma_f32 v7, -v14, v11, v7
	v_fma_f32 v6, -v14, v10, v6
	s_waitcnt lgkmcnt(0)
	v_fma_f32 v5, -v14, v13, v5
	v_fma_f32 v4, -v14, v12, v4
	s_cbranch_scc1 .LBB43_38
.LBB43_39:                              ;   in Loop: Header=BB43_37 Depth=1
	s_mul_i32 s18, s14, 0x104
	v_mov_b32_e32 v9, s18
	s_add_i32 s15, s15, s14
	s_lshl_b32 s15, s15, 2
	ds_read_b32 v9, v9
	s_add_i32 s19, s18, 0xfffffefc
	v_mov_b32_e32 v12, s15
	s_add_i32 s15, s18, 0xfffffdf8
	v_mov_b32_e32 v10, s19
	v_mov_b32_e32 v13, s15
	ds_read2_b32 v[10:11], v10 offset1:1
	ds_read_b32 v14, v12
	ds_read2_b32 v[12:13], v13 offset1:1
	s_waitcnt lgkmcnt(3)
	v_mul_f32_e32 v15, v9, v7
	s_lshl_b32 s15, s14, 8
	s_add_i32 s9, s9, s14
	s_waitcnt lgkmcnt(2)
	v_fma_f32 v6, -v15, v11, v6
	s_addk_i32 s15, 0xff00
	s_lshl_b32 s9, s9, 2
	v_add_u32_e32 v8, 0x4000, v8
	v_mul_f32_e32 v10, v10, v6
	v_lshl_or_b32 v6, v0, 2, s15
	s_add_i32 s9, s9, -4
	ds_write_b32 v8, v15
	ds_write_b32 v6, v10 offset:16384
	v_mov_b32_e32 v6, s9
	s_add_i32 s9, s18, 0xfffffcf4
	ds_read2_b32 v[6:7], v6 offset1:1
	v_mov_b32_e32 v8, s9
	ds_read2_b32 v[8:9], v8 offset1:1
	s_waitcnt lgkmcnt(5)
	v_fma_f32 v5, -v15, v14, v5
	s_waitcnt lgkmcnt(4)
	v_fma_f32 v5, -v10, v13, v5
	v_mul_f32_e32 v5, v12, v5
	ds_write_b32 v3, v5 offset:16384
	s_waitcnt lgkmcnt(2)
	v_fma_f32 v3, -v15, v7, v4
	v_fma_f32 v3, -v10, v6, v3
	s_waitcnt lgkmcnt(1)
	v_fma_f32 v3, -v5, v9, v3
	s_add_i32 s9, s14, -4
	s_addk_i32 s8, 0xfc00
	v_mul_f32_e32 v3, v8, v3
	s_cmp_gt_i32 s14, 6
	ds_write_b32 v2, v3 offset:16384
	s_cbranch_scc0 .LBB43_42
; %bb.40:                               ;   in Loop: Header=BB43_37 Depth=1
	s_mov_b32 s14, s9
	s_branch .LBB43_37
.LBB43_41:
	s_mov_b32 s9, s14
.LBB43_42:
	s_cmp_lt_i32 s9, 0
	s_cbranch_scc1 .LBB43_55
; %bb.43:
	s_bitcmp1_b32 s9, 0
	s_cselect_b64 s[14:15], -1, 0
	s_and_b64 vcc, exec, s[14:15]
	s_mov_b32 s8, s9
	s_cbranch_vccnz .LBB43_48
; %bb.44:
	v_lshlrev_b32_e32 v3, 2, v0
	v_lshl_or_b32 v2, s9, 8, v3
	ds_read_b32 v1, v2 offset:16384
	s_cmp_le_i32 s6, s9
	s_cbranch_scc1 .LBB43_47
; %bb.45:
	s_lshl_b32 s8, s9, 8
	s_lshl_b32 s14, s26, 2
	s_add_i32 s8, s8, s14
	v_lshl_or_b32 v3, s26, 8, v3
	s_add_i32 s8, s8, -4
	v_add_u32_e32 v3, 0x3f00, v3
	s_mov_b32 s14, s6
.LBB43_46:                              ; =>This Inner Loop Header: Depth=1
	v_mov_b32_e32 v5, s8
	ds_read_b32 v4, v3
	ds_read_b32 v5, v5
	s_add_i32 s14, s14, -1
	s_add_i32 s8, s8, -4
	v_add_u32_e32 v3, 0xffffff00, v3
	s_cmp_gt_i32 s14, s9
	s_waitcnt lgkmcnt(0)
	v_fma_f32 v1, -v4, v5, v1
	s_cbranch_scc1 .LBB43_46
.LBB43_47:
	s_mul_i32 s8, s9, 0x104
	v_mov_b32_e32 v3, s8
	ds_read_b32 v3, v3
	v_add_u32_e32 v2, 0x4000, v2
	s_add_i32 s8, s9, -1
	s_waitcnt lgkmcnt(0)
	v_mul_f32_e32 v1, v3, v1
	ds_write_b32 v2, v1
.LBB43_48:
	s_cmp_eq_u32 s9, 0
	s_cbranch_scc1 .LBB43_55
; %bb.49:
	s_lshl_b32 s9, s8, 8
	s_lshl_b32 s14, s26, 2
	v_lshlrev_b32_e32 v1, 2, v0
	s_add_i32 s14, s9, s14
	v_lshl_or_b32 v2, s26, 8, v1
	s_add_i32 s9, s14, -4
	v_add_u32_e32 v2, 0x3f00, v2
	s_addk_i32 s14, 0xfefc
	s_branch .LBB43_51
.LBB43_50:                              ;   in Loop: Header=BB43_51 Depth=1
	s_addk_i32 s15, 0xfefc
	v_add_u32_e32 v4, 0x4000, v5
	v_mov_b32_e32 v5, s15
	ds_read_b32 v5, v5
	s_add_i32 s15, s8, -2
	s_addk_i32 s9, 0xfe00
	s_addk_i32 s14, 0xfe00
	s_cmp_lt_i32 s8, 2
	s_waitcnt lgkmcnt(0)
	v_mul_f32_e32 v3, v5, v3
	s_mov_b32 s8, s15
	ds_write_b32 v4, v3
	s_cbranch_scc1 .LBB43_55
.LBB43_51:                              ; =>This Loop Header: Depth=1
                                        ;     Child Loop BB43_52 Depth 2
                                        ;     Child Loop BB43_54 Depth 2
	v_lshl_or_b32 v3, s8, 8, v1
	ds_read_b32 v4, v3 offset:16384
	s_cmp_le_i32 s6, s8
	v_mov_b32_e32 v5, v2
	s_mov_b32 s15, s9
	s_mov_b32 s18, s6
	s_cbranch_scc1 .LBB43_53
.LBB43_52:                              ;   Parent Loop BB43_51 Depth=1
                                        ; =>  This Inner Loop Header: Depth=2
	v_mov_b32_e32 v7, s15
	ds_read_b32 v6, v5
	ds_read_b32 v7, v7
	s_add_i32 s18, s18, -1
	s_add_i32 s15, s15, -4
	v_add_u32_e32 v5, 0xffffff00, v5
	s_cmp_gt_i32 s18, s8
	s_waitcnt lgkmcnt(0)
	v_fma_f32 v4, -v6, v7, v4
	s_cbranch_scc1 .LBB43_52
.LBB43_53:                              ;   in Loop: Header=BB43_51 Depth=1
	s_mul_i32 s15, s8, 0x104
	v_add_u32_e32 v6, 0x4000, v3
	v_mov_b32_e32 v3, s15
	s_lshl_b32 s18, s8, 8
	ds_read_b32 v7, v3
	s_addk_i32 s18, 0xff00
	v_lshl_or_b32 v5, v0, 2, s18
	ds_read_b32 v3, v5 offset:16384
	s_cmp_le_i32 s26, s8
	s_waitcnt lgkmcnt(1)
	v_mul_f32_e32 v4, v7, v4
	ds_write_b32 v6, v4
	v_mov_b32_e32 v4, v2
	s_mov_b32 s18, s14
	s_mov_b32 s19, s26
	s_cbranch_scc1 .LBB43_50
.LBB43_54:                              ;   Parent Loop BB43_51 Depth=1
                                        ; =>  This Inner Loop Header: Depth=2
	v_mov_b32_e32 v7, s18
	ds_read_b32 v6, v4
	ds_read_b32 v7, v7
	s_add_i32 s19, s19, -1
	s_add_i32 s18, s18, -4
	v_add_u32_e32 v4, 0xffffff00, v4
	s_cmp_gt_i32 s19, s8
	s_waitcnt lgkmcnt(0)
	v_fma_f32 v3, -v6, v7, v3
	s_cbranch_scc1 .LBB43_54
	s_branch .LBB43_50
.LBB43_55:
	s_mov_b64 s[8:9], 0
.LBB43_56:
	s_and_b64 vcc, exec, s[8:9]
	s_cbranch_vccz .LBB43_89
; %bb.57:
	s_cmp_lt_i32 s10, 32
	s_mov_b32 s9, 0
	s_cbranch_scc1 .LBB43_64
; %bb.58:
	v_mov_b32_e32 v1, 0x4000
	v_lshl_or_b32 v1, v0, 2, v1
	s_mov_b32 s6, 0
	s_mov_b32 s8, 0
	v_lshlrev_b32_e32 v106, 2, v0
.LBB43_59:                              ; =>This Loop Header: Depth=1
                                        ;     Child Loop BB43_61 Depth 2
	s_lshl_b32 s9, s8, 6
	v_or_b32_e32 v2, s9, v0
	v_lshlrev_b32_e32 v4, 2, v2
	ds_read2st64_b32 v[2:3], v4 offset0:64 offset1:65
	ds_read2st64_b32 v[10:11], v4 offset0:66 offset1:67
	;; [unrolled: 1-line block ×16, first 2 shown]
	s_cmp_eq_u32 s8, 0
	s_cbranch_scc1 .LBB43_62
; %bb.60:                               ;   in Loop: Header=BB43_59 Depth=1
	s_mov_b32 s14, 0
	v_mov_b32_e32 v5, v1
	s_mov_b32 s15, s6
.LBB43_61:                              ;   Parent Loop BB43_59 Depth=1
                                        ; =>  This Inner Loop Header: Depth=2
	ds_read2st64_b32 v[12:13], v5 offset1:1
	v_mov_b32_e32 v28, s15
	ds_read_b128 v[6:9], v28
	ds_read_b128 v[32:35], v28 offset:16
	ds_read_b128 v[38:41], v28 offset:32
	;; [unrolled: 1-line block ×15, first 2 shown]
	s_add_i32 s14, s14, 2
	s_addk_i32 s15, 0x200
	s_waitcnt lgkmcnt(14)
	v_mov_b32_e32 v28, v13
	v_pk_fma_f32 v[2:3], v[12:13], v[6:7], v[2:3] op_sel_hi:[0,1,1] neg_lo:[1,0,0] neg_hi:[1,0,0]
	v_pk_fma_f32 v[6:7], v[12:13], v[8:9], v[10:11] op_sel_hi:[0,1,1] neg_lo:[1,0,0] neg_hi:[1,0,0]
	;; [unrolled: 1-line block ×4, first 2 shown]
	s_waitcnt lgkmcnt(13)
	v_pk_fma_f32 v[24:25], v[12:13], v[38:39], v[24:25] op_sel_hi:[0,1,1] neg_lo:[1,0,0] neg_hi:[1,0,0]
	v_pk_fma_f32 v[22:23], v[12:13], v[40:41], v[22:23] op_sel_hi:[0,1,1] neg_lo:[1,0,0] neg_hi:[1,0,0]
	s_waitcnt lgkmcnt(12)
	v_pk_fma_f32 v[20:21], v[12:13], v[46:47], v[20:21] op_sel_hi:[0,1,1] neg_lo:[1,0,0] neg_hi:[1,0,0]
	v_pk_fma_f32 v[18:19], v[12:13], v[48:49], v[18:19] op_sel_hi:[0,1,1] neg_lo:[1,0,0] neg_hi:[1,0,0]
	;; [unrolled: 3-line block ×6, first 2 shown]
	v_add_u32_e32 v5, 0x200, v5
	s_cmp_lt_u32 s14, s8
	s_waitcnt lgkmcnt(7)
	v_pk_fma_f32 v[2:3], v[28:29], v[74:75], v[2:3] op_sel_hi:[0,1,1] neg_lo:[1,0,0] neg_hi:[1,0,0]
	v_pk_fma_f32 v[10:11], v[28:29], v[76:77], v[6:7] op_sel_hi:[0,1,1] neg_lo:[1,0,0] neg_hi:[1,0,0]
	s_waitcnt lgkmcnt(6)
	v_pk_fma_f32 v[36:37], v[28:29], v[78:79], v[8:9] op_sel_hi:[0,1,1] neg_lo:[1,0,0] neg_hi:[1,0,0]
	v_pk_fma_f32 v[26:27], v[28:29], v[80:81], v[26:27] op_sel_hi:[0,1,1] neg_lo:[1,0,0] neg_hi:[1,0,0]
	;; [unrolled: 3-line block ×8, first 2 shown]
	s_cbranch_scc1 .LBB43_61
.LBB43_62:                              ;   in Loop: Header=BB43_59 Depth=1
	s_mul_i32 s14, s8, 0x104
	v_mov_b32_e32 v38, s14
	ds_read_b128 v[32:35], v38
	ds_read_b128 v[6:9], v38 offset:16
	ds_read2_b32 v[12:13], v38 offset0:65 offset1:66
	v_add_u32_e32 v4, 0x4000, v4
	s_or_b32 s15, s9, 64
	ds_read2_b32 v[46:47], v38 offset0:195 offset1:196
	s_waitcnt lgkmcnt(3)
	v_mul_f32_e32 v107, v32, v2
	v_fma_f32 v28, -v107, v33, v3
	ds_write_b32 v4, v107
	ds_read_b128 v[2:5], v38 offset:32
	ds_read2_b64 v[40:43], v38 offset0:65 offset1:66
	s_waitcnt lgkmcnt(4)
	v_mul_f32_e32 v108, v12, v28
	v_or_b32_e32 v12, s15, v0
	s_add_i32 s15, s8, s15
	s_lshl_b32 s15, s15, 2
	v_lshlrev_b32_e32 v12, 2, v12
	v_fma_f32 v10, -v107, v34, v10
	v_mov_b32_e32 v76, s15
	ds_write_b32 v12, v108 offset:16384
	v_fma_f32 v10, -v108, v13, v10
	ds_read2_b32 v[12:13], v76 offset0:3 offset1:4
	s_or_b32 s18, s9, 0x80
	s_waitcnt lgkmcnt(2)
	v_mul_f32_e32 v109, v40, v10
	v_or_b32_e32 v10, s18, v0
	v_lshlrev_b32_e32 v10, 2, v10
	ds_write_b32 v10, v109 offset:16384
	v_fma_f32 v10, -v107, v35, v11
	s_waitcnt lgkmcnt(1)
	v_fma_f32 v10, -v108, v12, v10
	s_add_i32 s15, s8, s18
	v_fma_f32 v10, -v109, v41, v10
	s_or_b32 s18, s9, 0xc0
	v_mul_f32_e32 v110, v46, v10
	v_or_b32_e32 v10, s18, v0
	v_lshlrev_b32_e32 v10, 2, v10
	v_fma_f32 v6, -v107, v6, v36
	ds_read2_b32 v[34:35], v76 offset0:5 offset1:6
	ds_read2_b32 v[32:33], v76 offset0:7 offset1:8
	;; [unrolled: 1-line block ×3, first 2 shown]
	ds_write_b32 v10, v110 offset:16384
	v_fma_f32 v6, -v108, v13, v6
	ds_read_b128 v[10:13], v38 offset:1040
	ds_read_b32 v36, v38 offset:2080
	v_fma_f32 v6, -v109, v42, v6
	s_add_i32 s18, s8, s18
	s_lshl_b32 s19, s18, 2
	v_fma_f32 v6, -v110, v47, v6
	s_or_b32 s18, s9, 0x100
	s_waitcnt lgkmcnt(1)
	v_mul_f32_e32 v111, v10, v6
	v_or_b32_e32 v6, s18, v0
	v_lshlrev_b32_e32 v6, 2, v6
	ds_write_b32 v6, v111 offset:16384
	v_fma_f32 v6, -v107, v7, v37
	v_mov_b32_e32 v96, s19
	v_fma_f32 v10, -v108, v34, v6
	ds_read2_b32 v[6:7], v96 offset0:5 offset1:6
	v_fma_f32 v10, -v109, v43, v10
	s_addk_i32 s14, 0x514
	ds_read2_b32 v[58:59], v76 offset0:27 offset1:28
	ds_read2_b32 v[60:61], v76 offset0:29 offset1:30
	ds_read_b32 v112, v76 offset:124
	s_lshl_b32 s15, s15, 2
	s_waitcnt lgkmcnt(3)
	v_fma_f32 v6, -v110, v6, v10
	v_mov_b32_e32 v10, s14
	ds_read2_b32 v[62:63], v10 offset1:1
	s_add_i32 s18, s8, s18
	v_mov_b32_e32 v80, s15
	ds_read2_b64 v[40:43], v80 offset0:3 offset1:4
	s_lshl_b32 s14, s18, 2
	v_fma_f32 v6, -v111, v11, v6
	s_or_b32 s18, s9, 0x140
	s_waitcnt lgkmcnt(1)
	v_mul_f32_e32 v113, v62, v6
	v_or_b32_e32 v6, s18, v0
	v_lshlrev_b32_e32 v6, 2, v6
	ds_write_b32 v6, v113 offset:16384
	v_fma_f32 v6, -v107, v8, v26
	v_fma_f32 v6, -v108, v35, v6
	s_waitcnt lgkmcnt(1)
	v_fma_f32 v6, -v109, v40, v6
	v_fma_f32 v6, -v110, v7, v6
	;; [unrolled: 1-line block ×3, first 2 shown]
	v_add_u32_e32 v6, 0x400, v38
	ds_read2_b32 v[6:7], v6 offset0:134 offset1:199
	s_add_i32 s15, s8, s18
	v_fma_f32 v8, -v113, v63, v8
	s_or_b32 s18, s9, 0x180
	ds_read2_b64 v[46:49], v80 offset0:5 offset1:6
	s_waitcnt lgkmcnt(1)
	v_mul_f32_e32 v115, v6, v8
	v_or_b32_e32 v6, s18, v0
	v_lshlrev_b32_e32 v6, 2, v6
	s_lshl_b32 s15, s15, 2
	ds_write_b32 v6, v115 offset:16384
	v_fma_f32 v6, -v107, v9, v27
	ds_read2_b32 v[8:9], v96 offset0:7 offset1:8
	v_mov_b32_e32 v81, s15
	s_add_i32 s15, s8, s18
	v_fma_f32 v6, -v108, v32, v6
	s_lshl_b32 s15, s15, 2
	ds_read_b32 v114, v96 offset:124
	v_fma_f32 v6, -v109, v41, v6
	ds_read2_b32 v[38:39], v96 offset0:9 offset1:10
	ds_read2_b32 v[40:41], v96 offset0:11 offset1:12
	;; [unrolled: 1-line block ×3, first 2 shown]
	v_mov_b32_e32 v124, s15
	ds_read2_b32 v[26:27], v81 offset0:7 offset1:8
	ds_read2_b32 v[66:67], v81 offset0:9 offset1:10
	;; [unrolled: 1-line block ×3, first 2 shown]
	ds_read_b64 v[62:63], v80 offset:120
	ds_read2_b32 v[72:73], v124 offset0:7 offset1:8
	s_waitcnt lgkmcnt(9)
	v_fma_f32 v6, -v110, v8, v6
	v_fma_f32 v6, -v111, v13, v6
	s_waitcnt lgkmcnt(4)
	v_fma_f32 v6, -v113, v26, v6
	s_or_b32 s15, s9, 0x1c0
	s_waitcnt lgkmcnt(0)
	v_fma_f32 v6, -v115, v72, v6
	v_fma_f32 v2, -v107, v2, v24
	v_mul_f32_e32 v117, v7, v6
	v_or_b32_e32 v6, s15, v0
	v_fma_f32 v2, -v108, v33, v2
	v_lshlrev_b32_e32 v6, 2, v6
	v_fma_f32 v2, -v109, v42, v2
	v_mov_b32_e32 v135, s14
	ds_read2_b32 v[74:75], v124 offset0:9 offset1:10
	ds_read2_b32 v[64:65], v81 offset0:29 offset1:30
	ds_read_b32 v116, v81 offset:124
	ds_write_b32 v6, v117 offset:16384
	v_fma_f32 v2, -v110, v9, v2
	ds_read_b128 v[6:9], v135 offset:32
	s_add_i32 s14, s8, s15
	s_lshl_b32 s14, s14, 2
	v_mov_b32_e32 v134, s14
	ds_read_b128 v[10:13], v135 offset:48
	ds_read_b128 v[32:35], v134 offset:32
	s_waitcnt lgkmcnt(2)
	v_fma_f32 v2, -v111, v6, v2
	v_fma_f32 v2, -v113, v27, v2
	;; [unrolled: 1-line block ×3, first 2 shown]
	s_or_b32 s14, s9, 0x200
	s_waitcnt lgkmcnt(0)
	v_fma_f32 v2, -v117, v32, v2
	v_mul_f32_e32 v118, v36, v2
	v_or_b32_e32 v2, s14, v0
	v_lshlrev_b32_e32 v2, 2, v2
	ds_write_b32 v2, v118 offset:16384
	v_fma_f32 v2, -v107, v3, v25
	v_fma_f32 v2, -v108, v28, v2
	;; [unrolled: 1-line block ×4, first 2 shown]
	s_add_i32 s14, s8, s14
	v_fma_f32 v2, -v111, v7, v2
	s_lshl_b32 s14, s14, 2
	v_fma_f32 v2, -v113, v66, v2
	v_mov_b32_e32 v131, s14
	ds_read_b128 v[82:85], v134 offset:48
	v_fma_f32 v6, -v115, v74, v2
	ds_read2_b32 v[2:3], v131 offset0:9 offset1:10
	s_or_b32 s15, s8, 9
	v_fma_f32 v24, -v117, v33, v6
	s_lshl_b32 s14, s15, 6
	s_mulk_i32 s15, 0x104
	s_waitcnt lgkmcnt(0)
	v_fma_f32 v2, -v118, v2, v24
	v_mov_b32_e32 v24, s15
	ds_read2_b32 v[6:7], v131 offset0:11 offset1:12
	ds_read2_b32 v[36:37], v131 offset0:13 offset1:14
	;; [unrolled: 1-line block ×3, first 2 shown]
	ds_read2_b32 v[32:33], v24 offset1:1
	s_or_b32 s15, s8, 10
	s_mul_i32 s18, s15, 0x104
	v_mov_b32_e32 v24, s18
	ds_read2_b64 v[24:27], v24 offset1:1
	s_waitcnt lgkmcnt(1)
	v_mul_f32_e32 v119, v32, v2
	v_or_b32_e32 v2, s14, v0
	v_lshlrev_b32_e32 v2, 2, v2
	ds_write_b32 v2, v119 offset:16384
	v_fma_f32 v2, -v107, v4, v22
	v_fma_f32 v2, -v108, v29, v2
	;; [unrolled: 1-line block ×10, first 2 shown]
	s_lshl_b32 s15, s15, 6
	s_waitcnt lgkmcnt(1)
	v_mul_f32_e32 v120, v24, v2
	v_or_b32_e32 v2, s15, v0
	v_lshlrev_b32_e32 v2, 2, v2
	ds_write_b32 v2, v120 offset:16384
	ds_read2_b32 v[2:3], v76 offset0:11 offset1:12
	v_fma_f32 v4, -v107, v5, v23
	s_add_i32 s14, s8, s14
	ds_read2_b32 v[28:29], v76 offset0:13 offset1:14
	ds_read2_b32 v[74:75], v76 offset0:15 offset1:16
	;; [unrolled: 1-line block ×3, first 2 shown]
	s_lshl_b32 s14, s14, 2
	s_waitcnt lgkmcnt(3)
	v_fma_f32 v2, -v108, v2, v4
	ds_read2_b32 v[4:5], v124 offset0:11 offset1:12
	v_fma_f32 v2, -v109, v47, v2
	v_fma_f32 v2, -v110, v40, v2
	v_mov_b32_e32 v77, s14
	v_fma_f32 v2, -v111, v9, v2
	ds_read2_b32 v[38:39], v124 offset0:13 offset1:14
	ds_read2_b32 v[102:103], v124 offset0:15 offset1:16
	;; [unrolled: 1-line block ×4, first 2 shown]
	s_or_b32 s18, s8, 11
	v_fma_f32 v2, -v113, v70, v2
	s_waitcnt lgkmcnt(4)
	v_fma_f32 v2, -v115, v4, v2
	s_add_i32 s14, s8, s15
	s_mul_i32 s15, s18, 0x104
	s_add_i32 s9, s8, s9
	v_fma_f32 v2, -v117, v35, v2
	v_mov_b32_e32 v4, s15
	s_lshl_b32 s9, s9, 2
	v_fma_f32 v2, -v118, v6, v2
	ds_read2_b32 v[46:47], v77 offset0:13 offset1:14
	ds_read2_b32 v[104:105], v77 offset0:15 offset1:16
	;; [unrolled: 1-line block ×3, first 2 shown]
	ds_read2_b32 v[42:43], v4 offset1:1
	s_waitcnt lgkmcnt(4)
	v_fma_f32 v2, -v119, v8, v2
	v_mov_b32_e32 v97, s9
	v_fma_f32 v2, -v120, v25, v2
	ds_read2_b32 v[72:73], v77 offset0:27 offset1:28
	ds_read2_b32 v[66:67], v77 offset0:29 offset1:30
	ds_read_b32 v122, v77 offset:124
	ds_read_b128 v[22:25], v97 offset:48
	s_lshl_b32 s15, s18, 6
	s_waitcnt lgkmcnt(4)
	v_mul_f32_e32 v121, v42, v2
	v_or_b32_e32 v2, s15, v0
	v_lshlrev_b32_e32 v2, 2, v2
	ds_write_b32 v2, v121 offset:16384
	s_waitcnt lgkmcnt(1)
	v_fma_f32 v2, -v107, v22, v20
	v_fma_f32 v2, -v108, v3, v2
	;; [unrolled: 1-line block ×4, first 2 shown]
	s_or_b32 s9, s8, 12
	v_fma_f32 v2, -v111, v10, v2
	v_fma_f32 v2, -v113, v71, v2
	s_mul_i32 s18, s9, 0x104
	v_fma_f32 v2, -v115, v5, v2
	v_mov_b32_e32 v3, s18
	ds_read_b128 v[86:89], v97 offset:64
	ds_read_b128 v[32:35], v3
	v_fma_f32 v2, -v117, v82, v2
	v_fma_f32 v2, -v118, v7, v2
	;; [unrolled: 1-line block ×5, first 2 shown]
	s_lshl_b32 s9, s9, 6
	s_waitcnt lgkmcnt(0)
	v_mul_f32_e32 v123, v32, v6
	v_or_b32_e32 v6, s9, v0
	v_lshlrev_b32_e32 v6, 2, v6
	ds_read_b128 v[2:5], v97 offset:112
	ds_write_b32 v6, v123 offset:16384
	v_fma_f32 v6, -v107, v23, v21
	ds_read2_b32 v[20:21], v81 offset0:13 offset1:14
	v_fma_f32 v6, -v108, v28, v6
	v_fma_f32 v6, -v109, v49, v6
	s_add_i32 s15, s8, s15
	v_fma_f32 v6, -v110, v68, v6
	s_lshl_b32 s15, s15, 2
	v_fma_f32 v8, -v111, v11, v6
	s_waitcnt lgkmcnt(0)
	v_fma_f32 v8, -v113, v20, v8
	v_mov_b32_e32 v164, s15
	ds_read2_b32 v[132:133], v81 offset0:15 offset1:16
	ds_read2_b32 v[152:153], v81 offset0:17 offset1:18
	;; [unrolled: 1-line block ×3, first 2 shown]
	v_fma_f32 v8, -v115, v38, v8
	ds_read2_b32 v[10:11], v164 offset0:13 offset1:14
	v_fma_f32 v8, -v117, v83, v8
	v_fma_f32 v8, -v118, v36, v8
	s_or_b32 s18, s8, 13
	v_fma_f32 v8, -v119, v46, v8
	v_fma_f32 v20, -v120, v27, v8
	s_mul_i32 s15, s18, 0x104
	s_waitcnt lgkmcnt(0)
	v_fma_f32 v10, -v121, v10, v20
	v_mov_b32_e32 v20, s15
	ds_read2_b32 v[144:145], v164 offset0:15 offset1:16
	ds_read2_b32 v[154:155], v164 offset0:17 offset1:18
	;; [unrolled: 1-line block ×3, first 2 shown]
	ds_read2_b32 v[22:23], v20 offset1:1
	v_fma_f32 v10, -v123, v33, v10
	s_lshl_b32 s15, s18, 6
	ds_read2_b32 v[70:71], v164 offset0:29 offset1:30
	ds_read_b32 v126, v164 offset:124
	ds_read2_b64 v[90:93], v80 offset0:7 offset1:8
	s_waitcnt lgkmcnt(3)
	v_mul_f32_e32 v125, v22, v10
	v_or_b32_e32 v10, s15, v0
	v_lshlrev_b32_e32 v10, 2, v10
	s_lshl_b32 s14, s14, 2
	ds_write_b32 v10, v125 offset:16384
	v_fma_f32 v10, -v107, v24, v18
	v_fma_f32 v10, -v108, v29, v10
	v_mov_b32_e32 v165, s14
	ds_read2_b64 v[98:101], v165 offset0:7 offset1:8
	s_waitcnt lgkmcnt(2)
	v_fma_f32 v10, -v109, v90, v10
	v_fma_f32 v10, -v110, v69, v10
	;; [unrolled: 1-line block ×7, first 2 shown]
	s_or_b32 s18, s8, 14
	v_fma_f32 v10, -v119, v47, v10
	s_waitcnt lgkmcnt(0)
	v_fma_f32 v10, -v120, v98, v10
	s_add_i32 s14, s8, s15
	s_mul_i32 s15, s18, 0x104
	v_fma_f32 v10, -v121, v11, v10
	v_mov_b32_e32 v11, s15
	ds_read2_b64 v[40:43], v80 offset0:9 offset1:10
	ds_read2_b64 v[136:139], v11 offset1:1
	v_fma_f32 v10, -v123, v34, v10
	v_fma_f32 v10, -v125, v23, v10
	s_lshl_b32 s15, s18, 6
	ds_read2_b64 v[36:39], v165 offset0:9 offset1:10
	s_waitcnt lgkmcnt(1)
	v_mul_f32_e32 v127, v136, v10
	v_or_b32_e32 v10, s15, v0
	v_lshlrev_b32_e32 v10, 2, v10
	ds_write_b32 v10, v127 offset:16384
	v_fma_f32 v10, -v107, v25, v19
	ds_read2_b32 v[18:19], v96 offset0:15 offset1:16
	v_fma_f32 v10, -v108, v74, v10
	v_fma_f32 v10, -v109, v91, v10
	s_lshl_b32 s14, s14, 2
	s_or_b32 s18, s8, 15
	s_waitcnt lgkmcnt(0)
	v_fma_f32 v10, -v110, v18, v10
	v_fma_f32 v10, -v111, v13, v10
	;; [unrolled: 1-line block ×5, first 2 shown]
	v_mov_b32_e32 v194, s14
	ds_read_b64 v[68:69], v165 offset:120
	ds_read2_b32 v[20:21], v96 offset0:17 offset1:18
	ds_read2_b32 v[156:157], v96 offset0:19 offset1:20
	;; [unrolled: 1-line block ×3, first 2 shown]
	v_fma_f32 v10, -v118, v78, v10
	ds_read2_b32 v[90:91], v194 offset0:15 offset1:16
	s_add_i32 s14, s8, s15
	s_mul_i32 s15, s18, 0x104
	v_fma_f32 v10, -v119, v104, v10
	v_mov_b32_e32 v11, s15
	v_fma_f32 v10, -v120, v99, v10
	ds_read2_b32 v[158:159], v194 offset0:17 offset1:18
	ds_read2_b32 v[160:161], v194 offset0:19 offset1:20
	;; [unrolled: 1-line block ×3, first 2 shown]
	ds_read2_b32 v[98:99], v11 offset1:1
	ds_read_b32 v129, v194 offset:124
	v_fma_f32 v10, -v121, v144, v10
	v_fma_f32 v10, -v123, v35, v10
	s_waitcnt lgkmcnt(5)
	v_fma_f32 v10, -v125, v90, v10
	v_fma_f32 v10, -v127, v137, v10
	s_lshl_b32 s15, s18, 6
	s_waitcnt lgkmcnt(1)
	v_mul_f32_e32 v128, v98, v10
	v_or_b32_e32 v10, s15, v0
	v_lshlrev_b32_e32 v10, 2, v10
	ds_write_b32 v10, v128 offset:16384
	v_fma_f32 v10, -v107, v86, v16
	v_fma_f32 v16, -v108, v75, v10
	ds_read_b128 v[10:13], v135 offset:64
	v_fma_f32 v16, -v109, v92, v16
	ds_read_b128 v[22:25], v135 offset:80
	ds_read_b128 v[82:85], v134 offset:64
	v_fma_f32 v16, -v110, v19, v16
	s_add_i32 s9, s8, s9
	s_waitcnt lgkmcnt(2)
	v_fma_f32 v10, -v111, v10, v16
	s_lshl_b32 s9, s9, 2
	v_fma_f32 v10, -v113, v133, v10
	v_fma_f32 v10, -v115, v103, v10
	v_mov_b32_e32 v200, s9
	s_waitcnt lgkmcnt(0)
	v_fma_f32 v10, -v117, v82, v10
	ds_read_b128 v[140:143], v200 offset:64
	ds_read_b128 v[32:35], v200 offset:80
	s_or_b32 s18, s8, 16
	v_fma_f32 v10, -v118, v79, v10
	v_fma_f32 v10, -v119, v105, v10
	s_add_i32 s9, s8, s15
	s_mul_i32 s15, s18, 0x104
	v_fma_f32 v10, -v120, v100, v10
	v_mov_b32_e32 v16, s15
	ds_read_b128 v[26:29], v134 offset:80
	v_fma_f32 v10, -v121, v145, v10
	ds_read_b128 v[144:147], v16
	s_waitcnt lgkmcnt(3)
	v_fma_f32 v10, -v123, v140, v10
	v_fma_f32 v10, -v125, v91, v10
	;; [unrolled: 1-line block ×4, first 2 shown]
	s_lshl_b32 s15, s18, 6
	s_waitcnt lgkmcnt(0)
	v_mul_f32_e32 v130, v144, v10
	v_or_b32_e32 v10, s15, v0
	v_lshlrev_b32_e32 v10, 2, v10
	ds_write_b32 v10, v130 offset:16384
	v_fma_f32 v10, -v107, v87, v17
	v_fma_f32 v10, -v108, v94, v10
	;; [unrolled: 1-line block ×4, first 2 shown]
	s_lshl_b32 s9, s9, 2
	v_fma_f32 v10, -v111, v11, v10
	v_mov_b32_e32 v137, s9
	v_fma_f32 v10, -v113, v152, v10
	ds_read2_b32 v[90:91], v137 offset0:17 offset1:18
	v_fma_f32 v16, -v115, v148, v10
	ds_read2_b32 v[10:11], v131 offset0:17 offset1:18
	v_fma_f32 v18, -v117, v83, v16
	s_or_b32 s9, s8, 17
	s_mul_i32 s18, s9, 0x104
	ds_read2_b32 v[16:17], v131 offset0:19 offset1:20
	ds_read2_b32 v[102:103], v131 offset0:21 offset1:22
	;; [unrolled: 1-line block ×3, first 2 shown]
	s_waitcnt lgkmcnt(3)
	v_fma_f32 v10, -v118, v10, v18
	v_fma_f32 v10, -v119, v150, v10
	;; [unrolled: 1-line block ×4, first 2 shown]
	v_mov_b32_e32 v18, s18
	v_fma_f32 v10, -v123, v141, v10
	ds_read2_b32 v[82:83], v18 offset1:1
	v_fma_f32 v10, -v125, v158, v10
	v_fma_f32 v10, -v127, v139, v10
	;; [unrolled: 1-line block ×4, first 2 shown]
	s_lshl_b32 s9, s9, 6
	s_waitcnt lgkmcnt(0)
	v_mul_f32_e32 v132, v82, v10
	v_or_b32_e32 v10, s9, v0
	v_lshlrev_b32_e32 v10, 2, v10
	ds_read2_b32 v[78:79], v137 offset0:27 offset1:28
	ds_read2_b32 v[74:75], v137 offset0:29 offset1:30
	ds_read_b32 v133, v137 offset:124
	ds_write_b32 v10, v132 offset:16384
	v_fma_f32 v10, -v107, v88, v14
	v_fma_f32 v10, -v108, v95, v10
	;; [unrolled: 1-line block ×7, first 2 shown]
	s_lshl_b32 s14, s14, 2
	v_fma_f32 v10, -v117, v84, v10
	v_fma_f32 v10, -v118, v11, v10
	v_mov_b32_e32 v201, s14
	v_fma_f32 v10, -v119, v151, v10
	ds_read2_b64 v[98:101], v201 offset0:9 offset1:10
	s_or_b32 s18, s8, 18
	v_fma_f32 v10, -v120, v36, v10
	v_fma_f32 v10, -v121, v155, v10
	s_mul_i32 s14, s18, 0x104
	v_fma_f32 v10, -v123, v142, v10
	v_mov_b32_e32 v11, s14
	v_fma_f32 v10, -v125, v159, v10
	ds_read2_b64 v[138:141], v11 offset1:1
	ds_read2_b32 v[92:93], v76 offset0:19 offset1:20
	s_waitcnt lgkmcnt(2)
	v_fma_f32 v10, -v127, v98, v10
	v_fma_f32 v10, -v128, v91, v10
	;; [unrolled: 1-line block ×4, first 2 shown]
	s_lshl_b32 s14, s18, 6
	s_add_i32 s9, s8, s9
	s_waitcnt lgkmcnt(1)
	v_mul_f32_e32 v136, v138, v10
	v_or_b32_e32 v10, s14, v0
	s_lshl_b32 s9, s9, 2
	v_lshlrev_b32_e32 v10, 2, v10
	v_mov_b32_e32 v184, s9
	ds_write_b32 v10, v136 offset:16384
	v_fma_f32 v10, -v107, v89, v15
	ds_read2_b64 v[18:21], v201 offset0:11 offset1:12
	ds_read2_b32 v[82:83], v184 offset0:19 offset1:20
	ds_read2_b32 v[154:155], v76 offset0:21 offset1:22
	;; [unrolled: 1-line block ×4, first 2 shown]
	s_waitcnt lgkmcnt(6)
	v_fma_f32 v10, -v108, v92, v10
	ds_read2_b32 v[14:15], v124 offset0:19 offset1:20
	v_fma_f32 v10, -v109, v41, v10
	v_fma_f32 v10, -v110, v156, v10
	;; [unrolled: 1-line block ×4, first 2 shown]
	s_waitcnt lgkmcnt(0)
	v_fma_f32 v6, -v115, v14, v6
	ds_read2_b32 v[40:41], v124 offset0:21 offset1:22
	ds_read2_b32 v[168:169], v124 offset0:23 offset1:24
	;; [unrolled: 1-line block ×3, first 2 shown]
	v_fma_f32 v6, -v117, v85, v6
	ds_read2_b32 v[84:85], v77 offset0:19 offset1:20
	v_fma_f32 v6, -v118, v16, v6
	ds_read2_b32 v[158:159], v77 offset0:21 offset1:22
	ds_read2_b32 v[170:171], v77 offset0:23 offset1:24
	;; [unrolled: 1-line block ×3, first 2 shown]
	s_or_b32 s9, s8, 19
	s_mul_i32 s18, s9, 0x104
	s_waitcnt lgkmcnt(3)
	v_fma_f32 v6, -v119, v84, v6
	v_fma_f32 v6, -v120, v37, v6
	ds_read2_b32 v[36:37], v137 offset0:19 offset1:20
	v_fma_f32 v6, -v121, v8, v6
	v_fma_f32 v6, -v123, v143, v6
	v_fma_f32 v6, -v125, v160, v6
	v_mov_b32_e32 v8, s18
	v_fma_f32 v6, -v127, v99, v6
	ds_read2_b32 v[162:163], v137 offset0:21 offset1:22
	ds_read2_b32 v[172:173], v137 offset0:23 offset1:24
	;; [unrolled: 1-line block ×3, first 2 shown]
	ds_read2_b32 v[88:89], v8 offset1:1
	s_waitcnt lgkmcnt(4)
	v_fma_f32 v6, -v128, v36, v6
	v_fma_f32 v6, -v130, v147, v6
	ds_read2_b32 v[76:77], v184 offset0:29 offset1:30
	ds_read_b32 v138, v184 offset:124
	ds_read_b128 v[142:145], v97 offset:80
	v_fma_f32 v6, -v132, v82, v6
	v_fma_f32 v6, -v136, v139, v6
	s_lshl_b32 s9, s9, 6
	s_waitcnt lgkmcnt(3)
	v_mul_f32_e32 v137, v88, v6
	v_or_b32_e32 v6, s9, v0
	v_lshlrev_b32_e32 v6, 2, v6
	ds_write_b32 v6, v137 offset:16384
	s_waitcnt lgkmcnt(1)
	v_fma_f32 v6, -v107, v142, v30
	v_fma_f32 v6, -v108, v93, v6
	;; [unrolled: 1-line block ×8, first 2 shown]
	s_add_i32 s15, s8, s15
	v_fma_f32 v6, -v118, v17, v6
	s_lshl_b32 s15, s15, 2
	v_fma_f32 v6, -v119, v85, v6
	v_fma_f32 v6, -v120, v38, v6
	v_mov_b32_e32 v7, s15
	v_fma_f32 v6, -v121, v9, v6
	ds_read_b128 v[146:149], v7 offset:80
	ds_read_b128 v[14:17], v7 offset:96
	s_or_b32 s18, s8, 20
	v_fma_f32 v6, -v123, v32, v6
	v_fma_f32 v6, -v125, v161, v6
	s_mul_i32 s15, s18, 0x104
	v_fma_f32 v6, -v127, v100, v6
	v_mov_b32_e32 v8, s15
	ds_read_b128 v[10:13], v97 offset:96
	ds_read_b128 v[150:153], v8
	v_fma_f32 v6, -v128, v37, v6
	s_waitcnt lgkmcnt(3)
	v_fma_f32 v6, -v130, v146, v6
	v_fma_f32 v6, -v132, v83, v6
	;; [unrolled: 1-line block ×4, first 2 shown]
	s_lshl_b32 s15, s18, 6
	s_waitcnt lgkmcnt(0)
	v_mul_f32_e32 v139, v150, v22
	v_or_b32_e32 v22, s15, v0
	v_lshlrev_b32_e32 v22, 2, v22
	ds_read_b128 v[6:9], v7 offset:112
	ds_read2_b32 v[36:37], v81 offset0:21 offset1:22
	ds_write_b32 v22, v139 offset:16384
	v_fma_f32 v22, -v107, v143, v31
	v_fma_f32 v22, -v108, v154, v22
	;; [unrolled: 1-line block ×5, first 2 shown]
	s_waitcnt lgkmcnt(1)
	v_fma_f32 v22, -v113, v36, v22
	v_fma_f32 v22, -v115, v40, v22
	;; [unrolled: 1-line block ×4, first 2 shown]
	ds_read2_b32 v[42:43], v81 offset0:23 offset1:24
	ds_read2_b32 v[174:175], v81 offset0:25 offset1:26
	;; [unrolled: 1-line block ×3, first 2 shown]
	v_fma_f32 v26, -v119, v158, v22
	ds_read2_b32 v[22:23], v164 offset0:21 offset1:22
	v_fma_f32 v26, -v120, v39, v26
	ds_read2_b32 v[176:177], v164 offset0:23 offset1:24
	ds_read2_b32 v[178:179], v164 offset0:25 offset1:26
	;; [unrolled: 1-line block ×3, first 2 shown]
	s_add_i32 s9, s8, s9
	s_lshl_b32 s9, s9, 2
	s_waitcnt lgkmcnt(3)
	v_fma_f32 v22, -v121, v22, v26
	v_fma_f32 v22, -v123, v33, v22
	ds_read2_b32 v[26:27], v184 offset0:21 offset1:22
	v_fma_f32 v22, -v125, v48, v22
	v_fma_f32 v22, -v127, v101, v22
	;; [unrolled: 1-line block ×4, first 2 shown]
	s_or_b32 s18, s8, 21
	s_waitcnt lgkmcnt(0)
	v_fma_f32 v22, -v132, v26, v22
	v_mov_b32_e32 v26, s9
	ds_read2_b32 v[180:181], v184 offset0:23 offset1:24
	ds_read2_b32 v[182:183], v184 offset0:25 offset1:26
	;; [unrolled: 1-line block ×4, first 2 shown]
	s_add_i32 s9, s8, s15
	s_mul_i32 s15, s18, 0x104
	v_mov_b32_e32 v30, s15
	ds_read2_b32 v[184:185], v26 offset0:23 offset1:24
	ds_read2_b32 v[186:187], v26 offset0:25 offset1:26
	;; [unrolled: 1-line block ×3, first 2 shown]
	ds_read2_b32 v[188:189], v30 offset1:1
	v_fma_f32 v22, -v136, v141, v22
	s_waitcnt lgkmcnt(4)
	v_fma_f32 v22, -v137, v146, v22
	v_fma_f32 v22, -v139, v151, v22
	s_lshl_b32 s15, s18, 6
	ds_read2_b32 v[82:83], v26 offset0:29 offset1:30
	ds_read_b32 v202, v26 offset:124
	ds_read2_b64 v[140:143], v80 offset0:11 offset1:12
	ds_read2_b64 v[30:33], v80 offset0:13 offset1:14
	s_waitcnt lgkmcnt(4)
	v_mul_f32_e32 v203, v188, v22
	v_or_b32_e32 v22, s15, v0
	v_lshlrev_b32_e32 v22, 2, v22
	ds_write_b32 v22, v203 offset:16384
	v_fma_f32 v22, -v107, v144, v44
	v_fma_f32 v22, -v108, v155, v22
	s_waitcnt lgkmcnt(2)
	v_fma_f32 v22, -v109, v140, v22
	v_fma_f32 v22, -v110, v47, v22
	;; [unrolled: 1-line block ×4, first 2 shown]
	ds_read2_b64 v[154:157], v165 offset0:11 offset1:12
	v_fma_f32 v22, -v115, v41, v22
	ds_read2_b64 v[38:41], v165 offset0:13 offset1:14
	v_fma_f32 v22, -v117, v28, v22
	v_fma_f32 v22, -v118, v103, v22
	;; [unrolled: 1-line block ×3, first 2 shown]
	s_waitcnt lgkmcnt(1)
	v_fma_f32 v22, -v120, v154, v22
	v_fma_f32 v22, -v121, v23, v22
	s_add_i32 s14, s8, s14
	v_fma_f32 v22, -v123, v34, v22
	s_lshl_b32 s14, s14, 2
	v_fma_f32 v22, -v125, v49, v22
	v_fma_f32 v18, -v127, v18, v22
	v_mov_b32_e32 v22, s14
	ds_read2_b64 v[158:161], v22 offset0:11 offset1:12
	ds_read2_b64 v[46:49], v22 offset0:13 offset1:14
	s_or_b32 s18, s8, 22
	v_fma_f32 v18, -v128, v163, v18
	s_add_i32 s14, s8, s15
	s_mul_i32 s15, s18, 0x104
	v_fma_f32 v18, -v130, v148, v18
	v_mov_b32_e32 v23, s15
	v_fma_f32 v18, -v132, v27, v18
	ds_read2_b64 v[162:165], v23 offset1:1
	ds_read_b64 v[80:81], v22 offset:120
	s_waitcnt lgkmcnt(3)
	v_fma_f32 v18, -v136, v158, v18
	v_fma_f32 v18, -v137, v147, v18
	;; [unrolled: 1-line block ×4, first 2 shown]
	s_lshl_b32 s15, s18, 6
	s_waitcnt lgkmcnt(1)
	v_mul_f32_e32 v204, v162, v18
	v_or_b32_e32 v18, s15, v0
	ds_read2_b32 v[22:23], v96 offset0:23 offset1:24
	v_lshlrev_b32_e32 v18, 2, v18
	ds_write_b32 v18, v204 offset:16384
	v_fma_f32 v18, -v107, v145, v45
	v_fma_f32 v18, -v108, v166, v18
	;; [unrolled: 1-line block ×3, first 2 shown]
	s_waitcnt lgkmcnt(1)
	v_fma_f32 v18, -v110, v22, v18
	v_fma_f32 v18, -v111, v25, v18
	;; [unrolled: 1-line block ×5, first 2 shown]
	ds_read2_b32 v[140:141], v96 offset0:25 offset1:26
	ds_read2_b32 v[188:189], v96 offset0:27 offset1:28
	;; [unrolled: 1-line block ×3, first 2 shown]
	v_fma_f32 v18, -v118, v104, v18
	ds_read2_b32 v[44:45], v194 offset0:23 offset1:24
	v_fma_f32 v18, -v119, v170, v18
	v_fma_f32 v18, -v120, v155, v18
	;; [unrolled: 1-line block ×4, first 2 shown]
	s_waitcnt lgkmcnt(0)
	v_fma_f32 v18, -v125, v44, v18
	v_fma_f32 v18, -v127, v19, v18
	;; [unrolled: 1-line block ×3, first 2 shown]
	s_lshl_b32 s14, s14, 2
	v_fma_f32 v18, -v130, v149, v18
	s_or_b32 s18, s8, 23
	v_fma_f32 v18, -v132, v180, v18
	v_mov_b32_e32 v22, s14
	ds_read2_b32 v[190:191], v194 offset0:25 offset1:26
	ds_read2_b32 v[192:193], v194 offset0:27 offset1:28
	;; [unrolled: 1-line block ×3, first 2 shown]
	v_fma_f32 v18, -v136, v159, v18
	ds_read2_b32 v[158:159], v22 offset0:23 offset1:24
	s_add_i32 s14, s8, s15
	s_mul_i32 s15, s18, 0x104
	v_fma_f32 v18, -v137, v184, v18
	v_mov_b32_e32 v25, s15
	v_fma_f32 v24, -v139, v153, v18
	ds_read2_b32 v[194:195], v22 offset0:25 offset1:26
	ds_read2_b32 v[196:197], v22 offset0:27 offset1:28
	;; [unrolled: 1-line block ×3, first 2 shown]
	ds_read2_b32 v[198:199], v25 offset1:1
	ds_read_b32 v176, v22 offset:124
	s_waitcnt lgkmcnt(5)
	v_fma_f32 v24, -v203, v158, v24
	s_lshl_b32 s15, s18, 6
	v_fma_f32 v24, -v204, v163, v24
	v_or_b32_e32 v22, s15, v0
	v_fma_f32 v10, -v107, v10, v56
	ds_read_b128 v[144:147], v135 offset:96
	s_waitcnt lgkmcnt(2)
	v_mul_f32_e32 v180, v198, v24
	v_lshlrev_b32_e32 v22, 2, v22
	v_fma_f32 v10, -v108, v167, v10
	ds_write_b32 v22, v180 offset:16384
	v_fma_f32 v10, -v109, v142, v10
	v_fma_f32 v10, -v110, v23, v10
	ds_read_b128 v[22:25], v135 offset:112
	ds_read_b128 v[148:151], v134 offset:96
	s_waitcnt lgkmcnt(3)
	v_fma_f32 v10, -v111, v144, v10
	v_fma_f32 v10, -v113, v43, v10
	;; [unrolled: 1-line block ×3, first 2 shown]
	ds_read_b128 v[152:155], v200 offset:96
	ds_read_b128 v[34:37], v200 offset:112
	s_waitcnt lgkmcnt(2)
	v_fma_f32 v10, -v117, v148, v10
	v_fma_f32 v10, -v118, v105, v10
	;; [unrolled: 1-line block ×5, first 2 shown]
	s_waitcnt lgkmcnt(1)
	v_fma_f32 v10, -v123, v152, v10
	v_fma_f32 v10, -v125, v45, v10
	;; [unrolled: 1-line block ×3, first 2 shown]
	s_lshl_b32 s9, s9, 2
	v_fma_f32 v10, -v128, v173, v10
	v_fma_f32 v10, -v130, v14, v10
	v_mov_b32_e32 v14, s9
	ds_read_b128 v[166:169], v14 offset:96
	ds_read_b128 v[42:45], v14 offset:112
	s_or_b32 s18, s8, 24
	v_fma_f32 v10, -v132, v181, v10
	s_add_i32 s9, s8, s15
	s_mul_i32 s15, s18, 0x104
	v_fma_f32 v10, -v136, v160, v10
	v_mov_b32_e32 v14, s15
	ds_read_b128 v[26:29], v134 offset:112
	ds_read_b128 v[170:173], v14
	v_fma_f32 v10, -v137, v185, v10
	s_waitcnt lgkmcnt(3)
	v_fma_f32 v10, -v139, v166, v10
	v_fma_f32 v10, -v203, v159, v10
	;; [unrolled: 1-line block ×4, first 2 shown]
	s_lshl_b32 s15, s18, 6
	s_waitcnt lgkmcnt(0)
	v_mul_f32_e32 v148, v170, v10
	v_or_b32_e32 v10, s15, v0
	v_lshlrev_b32_e32 v10, 2, v10
	ds_write_b32 v10, v148 offset:16384
	v_fma_f32 v10, -v107, v11, v57
	v_fma_f32 v10, -v108, v86, v10
	;; [unrolled: 1-line block ×4, first 2 shown]
	s_lshl_b32 s9, s9, 2
	v_fma_f32 v10, -v111, v145, v10
	v_mov_b32_e32 v142, s9
	v_fma_f32 v10, -v113, v174, v10
	ds_read2_b32 v[104:105], v142 offset0:25 offset1:26
	v_fma_f32 v14, -v115, v90, v10
	ds_read2_b32 v[10:11], v131 offset0:25 offset1:26
	v_fma_f32 v14, -v117, v149, v14
	s_or_b32 s9, s8, 25
	s_mul_i32 s18, s9, 0x104
	ds_read2_b32 v[56:57], v131 offset0:27 offset1:28
	ds_read2_b32 v[134:135], v131 offset0:29 offset1:30
	ds_read_b32 v131, v131 offset:124
	s_waitcnt lgkmcnt(3)
	v_fma_f32 v10, -v118, v10, v14
	v_fma_f32 v10, -v119, v94, v10
	;; [unrolled: 1-line block ×12, first 2 shown]
	v_mov_b32_e32 v14, s18
	v_fma_f32 v10, -v139, v167, v10
	ds_read2_b32 v[14:15], v14 offset1:1
	v_fma_f32 v10, -v203, v194, v10
	v_fma_f32 v10, -v204, v165, v10
	;; [unrolled: 1-line block ×4, first 2 shown]
	s_lshl_b32 s9, s9, 6
	s_waitcnt lgkmcnt(0)
	v_mul_f32_e32 v104, v14, v10
	v_or_b32_e32 v10, s9, v0
	v_lshlrev_b32_e32 v10, 2, v10
	ds_read2_b32 v[20:21], v142 offset0:27 offset1:28
	ds_read2_b32 v[144:145], v142 offset0:29 offset1:30
	ds_read_b32 v98, v142 offset:124
	ds_write_b32 v10, v104 offset:16384
	v_fma_f32 v10, -v107, v12, v54
	v_fma_f32 v10, -v108, v87, v10
	;; [unrolled: 1-line block ×10, first 2 shown]
	ds_read2_b64 v[140:143], v201 offset0:13 offset1:14
	v_fma_f32 v10, -v120, v38, v10
	v_fma_f32 v10, -v121, v179, v10
	;; [unrolled: 1-line block ×4, first 2 shown]
	s_waitcnt lgkmcnt(0)
	v_fma_f32 v10, -v127, v140, v10
	s_lshl_b32 s14, s14, 2
	v_fma_f32 v10, -v128, v99, v10
	v_fma_f32 v10, -v130, v16, v10
	v_mov_b32_e32 v11, s14
	v_fma_f32 v10, -v132, v183, v10
	ds_read2_b64 v[156:159], v11 offset0:13 offset1:14
	ds_read_b64 v[90:91], v11 offset:120
	s_or_b32 s18, s8, 26
	v_fma_f32 v10, -v136, v46, v10
	v_fma_f32 v10, -v137, v187, v10
	s_mul_i32 s14, s18, 0x104
	v_fma_f32 v10, -v139, v168, v10
	v_mov_b32_e32 v11, s14
	v_fma_f32 v10, -v203, v195, v10
	ds_read2_b64 v[160:163], v11 offset1:1
	s_waitcnt lgkmcnt(2)
	v_fma_f32 v10, -v204, v156, v10
	v_fma_f32 v10, -v180, v105, v10
	s_add_i32 s9, s8, s9
	v_fma_f32 v10, -v148, v172, v10
	s_lshl_b32 s9, s9, 2
	v_fma_f32 v10, -v104, v15, v10
	s_lshl_b32 s14, s18, 6
	v_mov_b32_e32 v12, s9
	ds_read2_b32 v[94:95], v12 offset0:27 offset1:28
	s_waitcnt lgkmcnt(1)
	v_mul_f32_e32 v54, v160, v10
	v_or_b32_e32 v10, s14, v0
	v_lshlrev_b32_e32 v10, 2, v10
	ds_write_b32 v10, v54 offset:16384
	v_fma_f32 v10, -v107, v13, v55
	v_fma_f32 v10, -v108, v58, v10
	;; [unrolled: 1-line block ×3, first 2 shown]
	ds_read_b64 v[86:87], v201 offset:120
	v_fma_f32 v13, -v110, v188, v10
	ds_read2_b32 v[10:11], v124 offset0:27 offset1:28
	v_fma_f32 v13, -v111, v147, v13
	v_fma_f32 v13, -v113, v84, v13
	;; [unrolled: 1-line block ×4, first 2 shown]
	s_waitcnt lgkmcnt(0)
	v_fma_f32 v10, -v115, v10, v13
	v_fma_f32 v10, -v117, v151, v10
	;; [unrolled: 1-line block ×20, first 2 shown]
	s_or_b32 s9, s8, 27
	v_fma_f32 v10, -v137, v100, v10
	v_fma_f32 v2, -v119, v73, v2
	;; [unrolled: 1-line block ×3, first 2 shown]
	s_mul_i32 s18, s9, 0x104
	v_fma_f32 v2, -v120, v40, v2
	v_fma_f32 v10, -v203, v196, v10
	v_mov_b32_e32 v13, s18
	v_fma_f32 v2, -v121, v89, v2
	ds_read2_b32 v[30:31], v124 offset0:29 offset1:30
	ds_read_b32 v55, v124 offset:124
	v_fma_f32 v10, -v204, v157, v10
	ds_read2_b32 v[38:39], v13 offset1:1
	v_fma_f32 v2, -v123, v34, v2
	v_fma_f32 v10, -v180, v20, v10
	;; [unrolled: 1-line block ×7, first 2 shown]
	s_add_i32 s15, s8, s15
	v_fma_f32 v10, -v54, v161, v10
	s_lshl_b32 s9, s9, 6
	v_fma_f32 v2, -v130, v6, v2
	s_lshl_b32 s15, s15, 2
	s_waitcnt lgkmcnt(0)
	v_mul_f32_e32 v38, v38, v10
	v_or_b32_e32 v10, s9, v0
	v_fma_f32 v2, -v132, v93, v2
	v_lshlrev_b32_e32 v10, 2, v10
	v_fma_f32 v2, -v136, v48, v2
	v_mov_b32_e32 v6, s15
	ds_read2_b32 v[46:47], v12 offset0:29 offset1:30
	ds_read_b32 v20, v12 offset:124
	ds_write_b32 v10, v38 offset:16384
	v_fma_f32 v2, -v137, v101, v2
	ds_read_b128 v[10:13], v6 offset:112
	s_or_b32 s18, s8, 28
	v_fma_f32 v2, -v139, v42, v2
	v_fma_f32 v2, -v203, v197, v2
	s_mul_i32 s15, s18, 0x104
	v_fma_f32 v2, -v204, v158, v2
	v_mov_b32_e32 v6, s15
	v_fma_f32 v2, -v180, v21, v2
	ds_read_b128 v[14:17], v6
	s_waitcnt lgkmcnt(1)
	v_fma_f32 v2, -v148, v10, v2
	v_fma_f32 v2, -v104, v95, v2
	;; [unrolled: 1-line block ×4, first 2 shown]
	s_waitcnt lgkmcnt(0)
	v_mul_f32_e32 v14, v14, v2
	v_lshl_or_b32 v2, s18, 8, v106
	ds_write_b32 v2, v14 offset:16384
	v_fma_f32 v2, -v107, v3, v53
	v_fma_f32 v2, -v108, v60, v2
	;; [unrolled: 1-line block ×23, first 2 shown]
	s_add_i32 s9, s8, s9
	v_fma_f32 v2, -v180, v144, v2
	s_lshl_b32 s9, s9, 2
	v_fma_f32 v2, -v148, v11, v2
	v_fma_f32 v2, -v104, v46, v2
	v_mov_b32_e32 v21, s9
	s_add_i32 s14, s8, s14
	s_or_b32 s15, s8, 29
	v_fma_f32 v18, -v54, v163, v2
	ds_read2_b32 v[2:3], v21 offset0:29 offset1:30
	s_lshl_b32 s14, s14, 2
	s_mul_i32 s9, s15, 0x104
	v_mov_b32_e32 v10, s9
	v_mov_b32_e32 v6, s14
	ds_read_b64 v[6:7], v6 offset:120
	ds_read2_b32 v[10:11], v10 offset1:1
	ds_read_b32 v21, v21 offset:124
	s_waitcnt lgkmcnt(3)
	v_fma_f32 v2, -v38, v2, v18
	v_fma_f32 v2, -v14, v15, v2
	s_lshl_b32 s9, s15, 6
	s_waitcnt lgkmcnt(1)
	v_mul_f32_e32 v10, v10, v2
	v_or_b32_e32 v2, s9, v0
	v_lshlrev_b32_e32 v2, 2, v2
	ds_write_b32 v2, v10 offset:16384
	v_fma_f32 v2, -v107, v4, v50
	v_fma_f32 v2, -v108, v61, v2
	;; [unrolled: 1-line block ×27, first 2 shown]
	s_or_b32 s14, s8, 30
	v_fma_f32 v2, -v38, v3, v2
	v_fma_f32 v2, -v14, v16, v2
	s_mul_i32 s15, s14, 0x104
	v_fma_f32 v4, -v10, v11, v2
	v_mov_b32_e32 v2, s15
	ds_read_b64 v[2:3], v2
	s_add_i32 s9, s8, s9
	s_lshl_b32 s9, s9, 2
	s_or_b32 s15, s8, 31
	v_mov_b32_e32 v6, s9
	s_mul_i32 s9, s15, 0x104
	v_mov_b32_e32 v8, s9
	s_waitcnt lgkmcnt(0)
	v_mul_f32_e32 v2, v2, v4
	v_lshl_or_b32 v4, s14, 8, v106
	ds_read_b32 v6, v6 offset:124
	ds_read_b32 v8, v8
	ds_write_b32 v4, v2 offset:16384
	v_fma_f32 v4, -v107, v5, v51
	v_fma_f32 v4, -v108, v112, v4
	;; [unrolled: 1-line block ×29, first 2 shown]
	s_waitcnt lgkmcnt(2)
	v_fma_f32 v4, -v10, v6, v4
	v_fma_f32 v2, -v2, v3, v4
	s_add_i32 s9, s8, 32
	s_add_i32 s8, s8, 63
	s_addk_i32 s6, 0x80
	s_waitcnt lgkmcnt(1)
	v_mul_f32_e32 v2, v8, v2
	v_lshl_or_b32 v3, s15, 8, v106
	s_cmp_lt_i32 s8, s26
	ds_write_b32 v3, v2 offset:16384
	s_cbranch_scc0 .LBB43_64
; %bb.63:                               ;   in Loop: Header=BB43_59 Depth=1
	s_mov_b32 s8, s9
	s_branch .LBB43_59
.LBB43_64:
	s_cmp_lt_i32 s9, s26
	s_cbranch_scc0 .LBB43_89
; %bb.65:
	s_add_i32 s6, s9, 3
	s_cmp_ge_i32 s6, s26
	s_cbranch_scc1 .LBB43_77
; %bb.66:
	v_mov_b32_e32 v1, 0x4000
	s_add_i32 s6, s9, -1
	s_lshl_b32 s8, s9, 2
	v_lshl_or_b32 v1, v0, 2, v1
	s_mov_b32 s14, 0
	v_lshlrev_b32_e32 v6, 2, v0
	s_mov_b32 s15, s9
.LBB43_67:                              ; =>This Loop Header: Depth=1
                                        ;     Child Loop BB43_70 Depth 2
                                        ;     Child Loop BB43_74 Depth 2
	v_lshl_or_b32 v7, s9, 8, v6
	ds_read2st64_b32 v[4:5], v7 offset0:64 offset1:65
	ds_read2st64_b32 v[2:3], v7 offset0:66 offset1:67
	s_cmp_eq_u32 s9, 0
	s_cbranch_scc1 .LBB43_75
; %bb.68:                               ;   in Loop: Header=BB43_67 Depth=1
	s_lshl_b32 s18, s14, 2
	s_add_i32 s18, s6, s18
	s_cmp_lt_u32 s18, 7
	s_cbranch_scc1 .LBB43_72
; %bb.69:                               ;   in Loop: Header=BB43_67 Depth=1
	s_and_b32 s18, s9, -8
	s_mov_b32 s19, 0
	v_mov_b32_e32 v8, v1
	s_mov_b32 s20, s8
.LBB43_70:                              ;   Parent Loop BB43_67 Depth=1
                                        ; =>  This Inner Loop Header: Depth=2
	v_mov_b32_e32 v9, s20
	ds_read2st64_b32 v[10:11], v8 offset1:1
	ds_read2st64_b32 v[12:13], v8 offset0:2 offset1:3
	ds_read2st64_b32 v[14:15], v8 offset0:4 offset1:5
	;; [unrolled: 1-line block ×3, first 2 shown]
	ds_read2_b32 v[18:19], v9 offset1:1
	ds_read2_b32 v[20:21], v9 offset0:2 offset1:3
	ds_read2_b32 v[22:23], v9 offset0:64 offset1:65
	;; [unrolled: 1-line block ×7, first 2 shown]
	s_add_i32 s21, s20, 0x400
	s_add_i32 s23, s20, 0x408
	;; [unrolled: 1-line block ×8, first 2 shown]
	s_waitcnt lgkmcnt(11)
	v_mov_b32_e32 v50, v11
	s_waitcnt lgkmcnt(7)
	v_pk_fma_f32 v[4:5], v[10:11], v[18:19], v[4:5] op_sel_hi:[0,1,1] neg_lo:[1,0,0] neg_hi:[1,0,0]
	s_waitcnt lgkmcnt(6)
	v_pk_fma_f32 v[2:3], v[10:11], v[20:21], v[2:3] op_sel_hi:[0,1,1] neg_lo:[1,0,0] neg_hi:[1,0,0]
	v_mov_b32_e32 v9, s21
	v_mov_b32_e32 v36, s23
	;; [unrolled: 1-line block ×8, first 2 shown]
	s_waitcnt lgkmcnt(5)
	v_pk_fma_f32 v[4:5], v[50:51], v[22:23], v[4:5] op_sel_hi:[0,1,1] neg_lo:[1,0,0] neg_hi:[1,0,0]
	s_waitcnt lgkmcnt(4)
	v_pk_fma_f32 v[2:3], v[50:51], v[24:25], v[2:3] op_sel_hi:[0,1,1] neg_lo:[1,0,0] neg_hi:[1,0,0]
	ds_read2_b32 v[34:35], v9 offset1:1
	ds_read2_b32 v[36:37], v36 offset1:1
	;; [unrolled: 1-line block ×8, first 2 shown]
	v_mov_b32_e32 v52, v13
	s_waitcnt lgkmcnt(11)
	v_pk_fma_f32 v[4:5], v[12:13], v[26:27], v[4:5] op_sel_hi:[0,1,1] neg_lo:[1,0,0] neg_hi:[1,0,0]
	s_waitcnt lgkmcnt(10)
	v_pk_fma_f32 v[2:3], v[12:13], v[28:29], v[2:3] op_sel_hi:[0,1,1] neg_lo:[1,0,0] neg_hi:[1,0,0]
	;; [unrolled: 2-line block ×4, first 2 shown]
	v_mov_b32_e32 v54, v15
	s_waitcnt lgkmcnt(7)
	v_pk_fma_f32 v[4:5], v[14:15], v[34:35], v[4:5] op_sel_hi:[0,1,1] neg_lo:[1,0,0] neg_hi:[1,0,0]
	s_waitcnt lgkmcnt(6)
	v_pk_fma_f32 v[2:3], v[14:15], v[36:37], v[2:3] op_sel_hi:[0,1,1] neg_lo:[1,0,0] neg_hi:[1,0,0]
	;; [unrolled: 2-line block ×4, first 2 shown]
	s_add_i32 s19, s19, 8
	s_addk_i32 s20, 0x800
	v_mov_b32_e32 v56, v17
	s_waitcnt lgkmcnt(3)
	v_pk_fma_f32 v[4:5], v[16:17], v[42:43], v[4:5] op_sel_hi:[0,1,1] neg_lo:[1,0,0] neg_hi:[1,0,0]
	s_waitcnt lgkmcnt(2)
	v_pk_fma_f32 v[2:3], v[16:17], v[44:45], v[2:3] op_sel_hi:[0,1,1] neg_lo:[1,0,0] neg_hi:[1,0,0]
	v_add_u32_e32 v8, 0x800, v8
	s_cmp_lg_u32 s18, s19
	s_waitcnt lgkmcnt(1)
	v_pk_fma_f32 v[4:5], v[56:57], v[46:47], v[4:5] op_sel_hi:[0,1,1] neg_lo:[1,0,0] neg_hi:[1,0,0]
	s_waitcnt lgkmcnt(0)
	v_pk_fma_f32 v[2:3], v[56:57], v[48:49], v[2:3] op_sel_hi:[0,1,1] neg_lo:[1,0,0] neg_hi:[1,0,0]
	s_cbranch_scc1 .LBB43_70
; %bb.71:                               ;   in Loop: Header=BB43_67 Depth=1
	s_and_b32 s19, s9, 7
	s_cmp_eq_u32 s19, 0
	s_cbranch_scc0 .LBB43_73
	s_branch .LBB43_75
.LBB43_72:                              ;   in Loop: Header=BB43_67 Depth=1
	s_mov_b32 s18, 0
	s_and_b32 s19, s9, 7
	s_cmp_eq_u32 s19, 0
	s_cbranch_scc1 .LBB43_75
.LBB43_73:                              ;   in Loop: Header=BB43_67 Depth=1
	s_and_b32 s19, s15, 7
	s_lshl_b32 s18, s18, 8
.LBB43_74:                              ;   Parent Loop BB43_67 Depth=1
                                        ; =>  This Inner Loop Header: Depth=2
	s_add_i32 s20, s8, s18
	v_add_u32_e32 v8, s18, v1
	v_mov_b32_e32 v9, s20
	ds_read_b32 v8, v8
	ds_read2_b32 v[10:11], v9 offset1:1
	ds_read2_b32 v[12:13], v9 offset0:2 offset1:3
	s_add_i32 s19, s19, -1
	s_addk_i32 s18, 0x100
	s_cmp_lg_u32 s19, 0
	s_waitcnt lgkmcnt(1)
	v_pk_fma_f32 v[4:5], v[8:9], v[10:11], v[4:5] op_sel_hi:[0,1,1] neg_lo:[1,0,0] neg_hi:[1,0,0]
	s_waitcnt lgkmcnt(0)
	v_pk_fma_f32 v[2:3], v[8:9], v[12:13], v[2:3] op_sel_hi:[0,1,1] neg_lo:[1,0,0] neg_hi:[1,0,0]
	s_cbranch_scc1 .LBB43_74
.LBB43_75:                              ;   in Loop: Header=BB43_67 Depth=1
	s_mul_i32 s18, s9, 0x104
	v_mov_b32_e32 v16, s18
	ds_read2_b32 v[8:9], v16 offset1:1
	ds_read2_b32 v[10:11], v16 offset0:130 offset1:131
	ds_read2_b32 v[12:13], v16 offset0:65 offset1:66
	;; [unrolled: 1-line block ×3, first 2 shown]
	s_lshl_b32 s18, s9, 6
	v_add_u32_e32 v7, 0x4000, v7
	s_add_i32 s18, s18, 64
	s_waitcnt lgkmcnt(3)
	v_mul_f32_e32 v4, v8, v4
	ds_write_b32 v7, v4
	v_fma_f32 v5, -v4, v9, v5
	v_or_b32_e32 v7, s18, v0
	s_add_i32 s18, s9, s18
	s_waitcnt lgkmcnt(2)
	v_mul_f32_e32 v5, v12, v5
	v_lshlrev_b32_e32 v7, 2, v7
	s_lshl_b32 s18, s18, 2
	ds_write_b32 v7, v5 offset:16384
	v_mov_b32_e32 v7, s18
	ds_read_b32 v7, v7 offset:12
	ds_read_b32 v9, v16 offset:780
	s_waitcnt lgkmcnt(4)
	v_fma_f32 v2, -v4, v14, v2
	s_lshl_b32 s19, s9, 8
	v_fma_f32 v2, -v5, v13, v2
	s_add_i32 s20, s19, 0x200
	v_fma_f32 v3, -v4, v15, v3
	v_mul_f32_e32 v2, v10, v2
	v_or_b32_e32 v8, s20, v6
	s_waitcnt lgkmcnt(1)
	v_fma_f32 v3, -v5, v7, v3
	ds_write_b32 v8, v2 offset:16384
	v_fma_f32 v2, -v2, v11, v3
	s_addk_i32 s19, 0x300
	s_waitcnt lgkmcnt(1)
	v_mul_f32_e32 v2, v9, v2
	v_or_b32_e32 v3, s19, v6
	ds_write_b32 v3, v2 offset:16384
	s_add_i32 s18, s9, 4
	s_add_i32 s9, s9, 7
	;; [unrolled: 1-line block ×4, first 2 shown]
	v_add_u16_e64 v2, s15, 4
	s_cmp_lt_i32 s9, s26
	v_readfirstlane_b32 s15, v2
	s_cbranch_scc0 .LBB43_78
; %bb.76:                               ;   in Loop: Header=BB43_67 Depth=1
	s_mov_b32 s9, s18
	s_branch .LBB43_67
.LBB43_77:
	s_mov_b32 s18, s9
.LBB43_78:
	s_cmp_ge_i32 s18, s26
	s_cbranch_scc1 .LBB43_89
; %bb.79:
	v_mov_b32_e32 v1, 0x4000
	s_add_i32 s6, s18, -1
	s_lshl_b32 s8, s18, 2
	v_lshl_or_b32 v1, v0, 2, v1
	s_mov_b32 s9, 0
	v_lshlrev_b32_e32 v2, 2, v0
	s_mov_b32 s14, s18
	s_branch .LBB43_81
.LBB43_80:                              ;   in Loop: Header=BB43_81 Depth=1
	s_mul_i32 s15, s18, 0x104
	v_mov_b32_e32 v5, s15
	ds_read_b32 v5, v5
	s_add_i32 s18, s18, 1
	s_add_i32 s9, s9, 1
	;; [unrolled: 1-line block ×3, first 2 shown]
	v_add_u16_e64 v6, s14, 1
	v_add_u32_e32 v4, 0x4000, v4
	s_waitcnt lgkmcnt(0)
	v_mul_f32_e32 v3, v5, v3
	s_cmp_ge_i32 s18, s26
	v_readfirstlane_b32 s14, v6
	ds_write_b32 v4, v3
	s_cbranch_scc1 .LBB43_89
.LBB43_81:                              ; =>This Loop Header: Depth=1
                                        ;     Child Loop BB43_84 Depth 2
                                        ;     Child Loop BB43_88 Depth 2
	v_lshl_or_b32 v4, s18, 8, v2
	ds_read_b32 v3, v4 offset:16384
	s_cmp_eq_u32 s18, 0
	s_cbranch_scc1 .LBB43_80
; %bb.82:                               ;   in Loop: Header=BB43_81 Depth=1
	s_add_i32 s15, s6, s9
	s_cmp_lt_u32 s15, 7
	s_cbranch_scc1 .LBB43_86
; %bb.83:                               ;   in Loop: Header=BB43_81 Depth=1
	s_and_b32 s15, s18, -8
	s_mov_b32 s19, 0
	v_mov_b32_e32 v5, v1
	s_mov_b32 s20, s8
.LBB43_84:                              ;   Parent Loop BB43_81 Depth=1
                                        ; =>  This Inner Loop Header: Depth=2
	v_mov_b32_e32 v20, s20
	ds_read2st64_b32 v[6:7], v5 offset1:1
	ds_read2st64_b32 v[8:9], v5 offset0:2 offset1:3
	ds_read2st64_b32 v[10:11], v5 offset0:4 offset1:5
	;; [unrolled: 1-line block ×3, first 2 shown]
	ds_read2st64_b32 v[14:15], v20 offset1:1
	ds_read2st64_b32 v[16:17], v20 offset0:2 offset1:3
	ds_read2st64_b32 v[18:19], v20 offset0:4 offset1:5
	;; [unrolled: 1-line block ×3, first 2 shown]
	s_add_i32 s19, s19, 8
	s_waitcnt lgkmcnt(3)
	v_fma_f32 v3, -v6, v14, v3
	v_fma_f32 v3, -v7, v15, v3
	s_waitcnt lgkmcnt(2)
	v_fma_f32 v3, -v8, v16, v3
	v_fma_f32 v3, -v9, v17, v3
	;; [unrolled: 3-line block ×3, first 2 shown]
	s_addk_i32 s20, 0x800
	s_waitcnt lgkmcnt(0)
	v_fma_f32 v3, -v12, v20, v3
	v_add_u32_e32 v5, 0x800, v5
	s_cmp_lg_u32 s15, s19
	v_fma_f32 v3, -v13, v21, v3
	s_cbranch_scc1 .LBB43_84
; %bb.85:                               ;   in Loop: Header=BB43_81 Depth=1
	s_and_b32 s19, s18, 7
	s_cmp_eq_u32 s19, 0
	s_cbranch_scc0 .LBB43_87
	s_branch .LBB43_80
.LBB43_86:                              ;   in Loop: Header=BB43_81 Depth=1
	s_mov_b32 s15, 0
	s_and_b32 s19, s18, 7
	s_cmp_eq_u32 s19, 0
	s_cbranch_scc1 .LBB43_80
.LBB43_87:                              ;   in Loop: Header=BB43_81 Depth=1
	s_and_b32 s19, s14, 7
	s_lshl_b32 s15, s15, 8
.LBB43_88:                              ;   Parent Loop BB43_81 Depth=1
                                        ; =>  This Inner Loop Header: Depth=2
	s_add_i32 s20, s8, s15
	v_add_u32_e32 v5, s15, v1
	v_mov_b32_e32 v6, s20
	ds_read_b32 v5, v5
	ds_read_b32 v6, v6
	s_addk_i32 s15, 0x100
	s_add_i32 s19, s19, -1
	s_cmp_lg_u32 s19, 0
	s_waitcnt lgkmcnt(0)
	v_fma_f32 v3, -v5, v6, v3
	s_cbranch_scc1 .LBB43_88
	s_branch .LBB43_80
.LBB43_89:
	s_waitcnt lgkmcnt(0)
	; wave barrier
	s_waitcnt lgkmcnt(0)
	s_and_saveexec_b64 s[8:9], s[12:13]
	s_cbranch_execz .LBB43_101
; %bb.90:
	s_cmp_lt_i32 s10, 2
	s_cbranch_scc1 .LBB43_98
; %bb.91:
	s_add_i32 s8, s26, -2
	s_lshr_b32 s9, s8, 1
	s_add_i32 s9, s9, 1
	s_mov_b32 s10, 0
	s_mov_b32 s6, 1
	s_cmp_lt_u32 s8, 14
	s_mov_b32 s8, s10
	s_cbranch_scc1 .LBB43_94
; %bb.92:
	s_mul_i32 s8, s1, s7
	s_mul_hi_u32 s10, s0, s7
	s_add_i32 s15, s10, s8
	s_mul_i32 s14, s0, s7
	s_lshl_b64 s[18:19], s[4:5], 2
	v_lshlrev_b32_e32 v1, 2, v0
	s_and_b32 s12, s9, -8
	s_lshl_b64 s[14:15], s[14:15], 2
	v_mov_b32_e32 v2, s19
	v_add_co_u32_e32 v1, vcc, s18, v1
	s_lshl_b64 s[18:19], s[16:17], 2
	s_add_u32 s8, s2, s18
	s_addc_u32 s10, s3, s19
	s_add_u32 s14, s8, s14
	s_addc_u32 s15, s10, s15
	v_addc_co_u32_e32 v4, vcc, 0, v2, vcc
	v_pk_mov_b32 v[2:3], s[14:15], s[14:15] op_sel:[0,1]
	v_mad_u64_u32 v[2:3], s[14:15], v1, s22, v[2:3]
	v_mul_lo_u32 v1, v1, s11
	v_mul_lo_u32 v4, v4, s22
	v_add3_u32 v1, v4, v3, v1
	v_add_co_u32_e32 v2, vcc, 56, v2
	v_addc_co_u32_e32 v3, vcc, 0, v1, vcc
	s_mov_b32 s8, 0
	s_mov_b32 s10, 0
.LBB43_93:                              ; =>This Inner Loop Header: Depth=1
	s_lshl_b32 s13, s10, 6
	s_lshl_b32 s14, s6, 6
	v_or_b32_e32 v4, s13, v0
	s_add_i32 s15, s13, 0x80
	s_add_i32 s18, s14, 0x80
	;; [unrolled: 1-line block ×7, first 2 shown]
	s_addk_i32 s13, 0x380
	v_or_b32_e32 v1, s14, v0
	s_add_i32 s20, s14, 0x100
	s_add_i32 s23, s14, 0x180
	;; [unrolled: 1-line block ×5, first 2 shown]
	s_addk_i32 s14, 0x380
	v_or_b32_e32 v5, s18, v0
	v_or_b32_e32 v6, s15, v0
	;; [unrolled: 1-line block ×8, first 2 shown]
	v_lshlrev_b32_e32 v4, 2, v4
	v_or_b32_e32 v7, s20, v0
	v_or_b32_e32 v9, s23, v0
	;; [unrolled: 1-line block ×6, first 2 shown]
	v_lshlrev_b32_e32 v6, 2, v6
	v_lshlrev_b32_e32 v19, 2, v5
	;; [unrolled: 1-line block ×15, first 2 shown]
	ds_read_b32 v4, v4 offset:16384
	ds_read_b32 v5, v1 offset:16384
	;; [unrolled: 1-line block ×16, first 2 shown]
	s_add_i32 s8, s8, 16
	s_add_i32 s6, s6, 16
	;; [unrolled: 1-line block ×3, first 2 shown]
	s_add_i32 s12, s12, -8
	s_waitcnt lgkmcnt(12)
	global_store_dwordx4 v[2:3], v[4:7], off offset:-56
	s_waitcnt lgkmcnt(8)
	global_store_dwordx4 v[2:3], v[8:11], off offset:-40
	;; [unrolled: 2-line block ×4, first 2 shown]
	v_add_co_u32_e32 v2, vcc, 64, v2
	s_cmp_lg_u32 s12, 0
	v_addc_co_u32_e32 v3, vcc, 0, v3, vcc
	s_cbranch_scc1 .LBB43_93
.LBB43_94:
	s_and_b32 s12, s9, 7
	s_cmp_eq_u32 s12, 0
	s_mov_b32 s9, 0
	s_cbranch_scc1 .LBB43_97
; %bb.95:
	s_mul_i32 s13, s1, s7
	s_mul_hi_u32 s14, s0, s7
	s_add_i32 s15, s14, s13
	s_mul_i32 s14, s0, s7
	s_lshl_b64 s[18:19], s[4:5], 2
	v_lshlrev_b32_e32 v1, 2, v0
	s_lshl_b64 s[14:15], s[14:15], 2
	v_mov_b32_e32 v2, s19
	v_add_co_u32_e32 v4, vcc, s18, v1
	s_lshl_b64 s[18:19], s[16:17], 2
	s_lshl_b64 s[8:9], s[8:9], 2
	s_add_u32 s8, s2, s8
	s_addc_u32 s9, s3, s9
	s_add_u32 s8, s8, s18
	s_addc_u32 s9, s9, s19
	;; [unrolled: 2-line block ×3, first 2 shown]
	v_addc_co_u32_e32 v5, vcc, 0, v2, vcc
	v_pk_mov_b32 v[2:3], s[8:9], s[8:9] op_sel:[0,1]
	v_mad_u64_u32 v[2:3], s[8:9], v4, s22, v[2:3]
	v_mul_lo_u32 v4, v4, s11
	v_mul_lo_u32 v5, v5, s22
	v_add3_u32 v3, v5, v3, v4
	s_lshl_b32 s8, s12, 3
.LBB43_96:                              ; =>This Inner Loop Header: Depth=1
	v_lshl_or_b32 v4, s10, 8, v1
	v_lshl_or_b32 v5, s6, 8, v1
	ds_read_b32 v4, v4 offset:16384
	ds_read_b32 v5, v5 offset:16384
	s_add_i32 s6, s6, 2
	s_add_i32 s10, s10, 2
	s_add_i32 s8, s8, -8
	s_cmp_lg_u32 s8, 0
	s_waitcnt lgkmcnt(0)
	global_store_dwordx2 v[2:3], v[4:5], off
	v_add_co_u32_e32 v2, vcc, 8, v2
	v_addc_co_u32_e32 v3, vcc, 0, v3, vcc
	s_cbranch_scc1 .LBB43_96
.LBB43_97:
	s_and_b32 s10, s26, 0x7e
	s_cmp_lg_u32 s26, s10
	s_cselect_b64 s[8:9], -1, 0
	s_and_b64 vcc, exec, s[8:9]
	s_cbranch_vccnz .LBB43_99
	s_branch .LBB43_101
.LBB43_98:
	s_mov_b32 s10, 0
	s_cbranch_execz .LBB43_101
.LBB43_99:
	v_lshlrev_b32_e32 v0, 2, v0
	s_mul_i32 s1, s1, s7
	s_mul_hi_u32 s8, s0, s7
	v_lshl_or_b32 v1, s10, 8, v0
	s_add_i32 s1, s8, s1
	s_mul_i32 s0, s0, s7
	s_lshl_b64 s[4:5], s[4:5], 2
	v_add_u32_e32 v2, 0x4000, v1
	s_sub_i32 s6, s26, s10
	s_lshl_b64 s[0:1], s[0:1], 2
	v_mov_b32_e32 v1, s5
	v_add_co_u32_e32 v3, vcc, s4, v0
	s_lshl_b64 s[4:5], s[16:17], 2
	s_lshl_b32 s7, s10, 2
	s_add_u32 s2, s2, s7
	s_addc_u32 s3, s3, 0
	s_add_u32 s2, s2, s4
	s_addc_u32 s3, s3, s5
	s_add_u32 s0, s2, s0
	s_addc_u32 s1, s3, s1
	v_addc_co_u32_e32 v4, vcc, 0, v1, vcc
	v_pk_mov_b32 v[0:1], s[0:1], s[0:1] op_sel:[0,1]
	v_mad_u64_u32 v[0:1], s[0:1], v3, s22, v[0:1]
	v_mul_lo_u32 v3, v3, s11
	v_mul_lo_u32 v4, v4, s22
	v_add3_u32 v1, v4, v1, v3
.LBB43_100:                             ; =>This Inner Loop Header: Depth=1
	ds_read_b32 v3, v2
	s_add_i32 s6, s6, -1
	v_add_u32_e32 v2, 0x100, v2
	s_cmp_lg_u32 s6, 0
	s_waitcnt lgkmcnt(0)
	global_store_dword v[0:1], v3, off
	v_add_co_u32_e32 v0, vcc, 4, v0
	v_addc_co_u32_e32 v1, vcc, 0, v1, vcc
	s_cbranch_scc1 .LBB43_100
.LBB43_101:
	s_endpgm
	.section	.rodata,"a",@progbits
	.p2align	6, 0x0
	.amdhsa_kernel _ZL38rocblas_trsm_small_left_device_sharedBILi64ELi32ELb1EffPKfPfEv13rocblas_fill_18rocblas_operation_17rocblas_diagonal_iiT3_T4_lilT5_lili
		.amdhsa_group_segment_fixed_size 32768
		.amdhsa_private_segment_fixed_size 0
		.amdhsa_kernarg_size 352
		.amdhsa_user_sgpr_count 6
		.amdhsa_user_sgpr_private_segment_buffer 1
		.amdhsa_user_sgpr_dispatch_ptr 0
		.amdhsa_user_sgpr_queue_ptr 0
		.amdhsa_user_sgpr_kernarg_segment_ptr 1
		.amdhsa_user_sgpr_dispatch_id 0
		.amdhsa_user_sgpr_flat_scratch_init 0
		.amdhsa_user_sgpr_kernarg_preload_length 0
		.amdhsa_user_sgpr_kernarg_preload_offset 0
		.amdhsa_user_sgpr_private_segment_size 0
		.amdhsa_uses_dynamic_stack 0
		.amdhsa_system_sgpr_private_segment_wavefront_offset 0
		.amdhsa_system_sgpr_workgroup_id_x 1
		.amdhsa_system_sgpr_workgroup_id_y 0
		.amdhsa_system_sgpr_workgroup_id_z 1
		.amdhsa_system_sgpr_workgroup_info 0
		.amdhsa_system_vgpr_workitem_id 0
		.amdhsa_next_free_vgpr 205
		.amdhsa_next_free_sgpr 50
		.amdhsa_accum_offset 208
		.amdhsa_reserve_vcc 1
		.amdhsa_reserve_flat_scratch 0
		.amdhsa_float_round_mode_32 0
		.amdhsa_float_round_mode_16_64 0
		.amdhsa_float_denorm_mode_32 3
		.amdhsa_float_denorm_mode_16_64 3
		.amdhsa_dx10_clamp 1
		.amdhsa_ieee_mode 1
		.amdhsa_fp16_overflow 0
		.amdhsa_tg_split 0
		.amdhsa_exception_fp_ieee_invalid_op 0
		.amdhsa_exception_fp_denorm_src 0
		.amdhsa_exception_fp_ieee_div_zero 0
		.amdhsa_exception_fp_ieee_overflow 0
		.amdhsa_exception_fp_ieee_underflow 0
		.amdhsa_exception_fp_ieee_inexact 0
		.amdhsa_exception_int_div_zero 0
	.end_amdhsa_kernel
	.section	.text._ZL38rocblas_trsm_small_left_device_sharedBILi64ELi32ELb1EffPKfPfEv13rocblas_fill_18rocblas_operation_17rocblas_diagonal_iiT3_T4_lilT5_lili,"axG",@progbits,_ZL38rocblas_trsm_small_left_device_sharedBILi64ELi32ELb1EffPKfPfEv13rocblas_fill_18rocblas_operation_17rocblas_diagonal_iiT3_T4_lilT5_lili,comdat
.Lfunc_end43:
	.size	_ZL38rocblas_trsm_small_left_device_sharedBILi64ELi32ELb1EffPKfPfEv13rocblas_fill_18rocblas_operation_17rocblas_diagonal_iiT3_T4_lilT5_lili, .Lfunc_end43-_ZL38rocblas_trsm_small_left_device_sharedBILi64ELi32ELb1EffPKfPfEv13rocblas_fill_18rocblas_operation_17rocblas_diagonal_iiT3_T4_lilT5_lili
                                        ; -- End function
	.section	.AMDGPU.csdata,"",@progbits
; Kernel info:
; codeLenInByte = 25840
; NumSgprs: 54
; NumVgprs: 205
; NumAgprs: 0
; TotalNumVgprs: 205
; ScratchSize: 0
; MemoryBound: 0
; FloatMode: 240
; IeeeMode: 1
; LDSByteSize: 32768 bytes/workgroup (compile time only)
; SGPRBlocks: 6
; VGPRBlocks: 25
; NumSGPRsForWavesPerEU: 54
; NumVGPRsForWavesPerEU: 205
; AccumOffset: 208
; Occupancy: 1
; WaveLimiterHint : 0
; COMPUTE_PGM_RSRC2:SCRATCH_EN: 0
; COMPUTE_PGM_RSRC2:USER_SGPR: 6
; COMPUTE_PGM_RSRC2:TRAP_HANDLER: 0
; COMPUTE_PGM_RSRC2:TGID_X_EN: 1
; COMPUTE_PGM_RSRC2:TGID_Y_EN: 0
; COMPUTE_PGM_RSRC2:TGID_Z_EN: 1
; COMPUTE_PGM_RSRC2:TIDIG_COMP_CNT: 0
; COMPUTE_PGM_RSRC3_GFX90A:ACCUM_OFFSET: 51
; COMPUTE_PGM_RSRC3_GFX90A:TG_SPLIT: 0
	.section	.text._ZL30rocblas_trsm_small_left_deviceILi64ELi32ELb1EffPKfPfEv13rocblas_fill_18rocblas_operation_17rocblas_diagonal_iiT3_T4_lilT5_lili,"axG",@progbits,_ZL30rocblas_trsm_small_left_deviceILi64ELi32ELb1EffPKfPfEv13rocblas_fill_18rocblas_operation_17rocblas_diagonal_iiT3_T4_lilT5_lili,comdat
	.globl	_ZL30rocblas_trsm_small_left_deviceILi64ELi32ELb1EffPKfPfEv13rocblas_fill_18rocblas_operation_17rocblas_diagonal_iiT3_T4_lilT5_lili ; -- Begin function _ZL30rocblas_trsm_small_left_deviceILi64ELi32ELb1EffPKfPfEv13rocblas_fill_18rocblas_operation_17rocblas_diagonal_iiT3_T4_lilT5_lili
	.p2align	8
	.type	_ZL30rocblas_trsm_small_left_deviceILi64ELi32ELb1EffPKfPfEv13rocblas_fill_18rocblas_operation_17rocblas_diagonal_iiT3_T4_lilT5_lili,@function
_ZL30rocblas_trsm_small_left_deviceILi64ELi32ELb1EffPKfPfEv13rocblas_fill_18rocblas_operation_17rocblas_diagonal_iiT3_T4_lilT5_lili: ; @_ZL30rocblas_trsm_small_left_deviceILi64ELi32ELb1EffPKfPfEv13rocblas_fill_18rocblas_operation_17rocblas_diagonal_iiT3_T4_lilT5_lili
; %bb.0:
	s_load_dwordx4 s[8:11], s[4:5], 0x4
	s_load_dword s16, s[4:5], 0x14
	s_load_dwordx4 s[0:3], s[4:5], 0x30
	s_load_dwordx2 s[18:19], s[4:5], 0x40
	s_mov_b32 s27, 0
	s_waitcnt lgkmcnt(0)
	s_min_i32 s26, s10, 64
	v_cmp_gt_i32_e32 vcc, s26, v0
	s_and_saveexec_b64 s[20:21], vcc
	s_cbranch_execz .LBB44_15
; %bb.1:
	s_load_dword s22, s[4:5], 0x28
	s_load_dwordx4 s[12:15], s[4:5], 0x18
	s_cmp_gt_u32 s26, 1
	s_cselect_b64 s[24:25], -1, 0
	s_mov_b32 s17, 1
	s_waitcnt lgkmcnt(0)
	s_cmp_eq_u32 s22, 1
	s_cselect_b64 s[28:29], -1, 0
	s_and_b64 s[28:29], s[24:25], s[28:29]
	s_mov_b64 s[24:25], -1
	s_and_b64 vcc, exec, s[28:29]
	s_cbranch_vccz .LBB44_9
; %bb.2:
	s_add_i32 s24, s26, -2
	s_lshr_b32 s25, s24, 1
	s_add_i32 s25, s25, 1
	s_mov_b32 s23, 0
	s_cmp_lt_u32 s24, 14
	s_mov_b32 s24, s23
	s_cbranch_scc1 .LBB44_5
; %bb.3:
	s_mul_i32 s17, s1, s7
	s_mul_hi_u32 s23, s0, s7
	s_add_i32 s29, s23, s17
	s_mul_i32 s28, s0, s7
	s_and_b32 s27, s25, -8
	s_lshl_b64 s[28:29], s[28:29], 2
	s_lshl_b64 s[30:31], s[14:15], 2
	s_add_u32 s17, s28, s30
	s_addc_u32 s23, s29, s31
	s_add_u32 s17, s12, s17
	v_lshlrev_b32_e32 v1, 2, v0
	s_addc_u32 s23, s13, s23
	v_mov_b32_e32 v2, s23
	v_add_co_u32_e32 v1, vcc, s17, v1
	v_addc_co_u32_e32 v3, vcc, 0, v2, vcc
	v_add_co_u32_e32 v2, vcc, 56, v1
	v_addc_co_u32_e32 v3, vcc, 0, v3, vcc
	s_mov_b32 s17, 1
	s_mov_b32 s24, 0
	;; [unrolled: 1-line block ×3, first 2 shown]
.LBB44_4:                               ; =>This Inner Loop Header: Depth=1
	global_load_dwordx4 v[4:7], v[2:3], off offset:-56
	global_load_dwordx4 v[8:11], v[2:3], off offset:-40
	;; [unrolled: 1-line block ×4, first 2 shown]
	s_lshl_b32 s28, s23, 6
	s_lshl_b32 s29, s17, 6
	s_add_i32 s24, s24, 16
	s_add_i32 s17, s17, 16
	;; [unrolled: 1-line block ×3, first 2 shown]
	s_add_i32 s27, s27, -8
	v_add_co_u32_e32 v2, vcc, 64, v2
	v_or_b32_e32 v1, s29, v0
	v_or_b32_e32 v20, s28, v0
	s_add_i32 s30, s28, 0x80
	s_add_i32 s31, s29, 0x80
	;; [unrolled: 1-line block ×12, first 2 shown]
	s_addk_i32 s28, 0x380
	s_addk_i32 s29, 0x380
	v_addc_co_u32_e32 v3, vcc, 0, v3, vcc
	v_lshlrev_b32_e32 v20, 2, v20
	v_or_b32_e32 v21, s31, v0
	v_or_b32_e32 v22, s30, v0
	;; [unrolled: 1-line block ×14, first 2 shown]
	s_cmp_lg_u32 s27, 0
	v_lshlrev_b32_e32 v1, 2, v1
	v_lshlrev_b32_e32 v22, 2, v22
	;; [unrolled: 1-line block ×15, first 2 shown]
	s_waitcnt vmcnt(3)
	ds_write_b32 v20, v4
	ds_write_b32 v1, v5
	ds_write_b32 v22, v6
	ds_write_b32 v21, v7
	s_waitcnt vmcnt(2)
	ds_write_b32 v24, v8
	ds_write_b32 v23, v9
	ds_write_b32 v26, v10
	ds_write_b32 v25, v11
	;; [unrolled: 5-line block ×4, first 2 shown]
	s_cbranch_scc1 .LBB44_4
.LBB44_5:
	s_and_b32 s27, s25, 7
	s_cmp_eq_u32 s27, 0
	s_mov_b32 s25, 0
	s_cbranch_scc1 .LBB44_8
; %bb.6:
	s_mul_i32 s28, s1, s7
	s_mul_hi_u32 s29, s0, s7
	s_add_i32 s29, s29, s28
	s_mul_i32 s28, s0, s7
	s_lshl_b64 s[28:29], s[28:29], 2
	s_lshl_b64 s[30:31], s[14:15], 2
	s_add_u32 s28, s28, s30
	s_addc_u32 s29, s29, s31
	s_lshl_b64 s[24:25], s[24:25], 2
	s_add_u32 s24, s12, s24
	s_addc_u32 s25, s13, s25
	s_add_u32 s24, s24, s28
	v_lshlrev_b32_e32 v1, 2, v0
	s_addc_u32 s25, s25, s29
	v_mov_b32_e32 v3, s25
	v_add_co_u32_e32 v2, vcc, s24, v1
	v_addc_co_u32_e32 v3, vcc, 0, v3, vcc
	s_lshl_b32 s24, s27, 3
.LBB44_7:                               ; =>This Inner Loop Header: Depth=1
	global_load_dwordx2 v[4:5], v[2:3], off
	v_lshl_or_b32 v6, s23, 8, v1
	v_lshl_or_b32 v7, s17, 8, v1
	s_add_i32 s17, s17, 2
	s_add_i32 s23, s23, 2
	v_add_co_u32_e32 v2, vcc, 8, v2
	s_add_i32 s24, s24, -8
	v_addc_co_u32_e32 v3, vcc, 0, v3, vcc
	s_cmp_lg_u32 s24, 0
	s_waitcnt vmcnt(0)
	ds_write_b32 v6, v4
	ds_write_b32 v7, v5
	s_cbranch_scc1 .LBB44_7
.LBB44_8:
	s_and_b32 s27, s26, -2
	s_cmp_lg_u32 s26, s27
	s_cselect_b64 s[24:25], -1, 0
.LBB44_9:
	s_and_b64 vcc, exec, s[24:25]
	s_cbranch_vccz .LBB44_12
; %bb.10:
	s_ashr_i32 s23, s22, 31
	s_mul_i32 s1, s1, s7
	s_mul_hi_u32 s17, s0, s7
	s_add_i32 s1, s17, s1
	s_mul_hi_u32 s17, s22, s27
	s_mul_i32 s24, s23, s27
	s_mul_i32 s0, s0, s7
	s_add_i32 s25, s17, s24
	s_mul_i32 s24, s22, s27
	s_lshl_b64 s[0:1], s[0:1], 2
	s_lshl_b64 s[24:25], s[24:25], 2
	s_add_u32 s17, s0, s24
	s_addc_u32 s24, s1, s25
	s_lshl_b64 s[0:1], s[14:15], 2
	s_add_u32 s0, s17, s0
	s_addc_u32 s1, s24, s1
	s_add_u32 s0, s12, s0
	v_lshlrev_b32_e32 v1, 2, v0
	s_addc_u32 s1, s13, s1
	v_mov_b32_e32 v3, s1
	v_add_co_u32_e32 v2, vcc, s0, v1
	s_lshl_b64 s[0:1], s[22:23], 2
	v_addc_co_u32_e32 v3, vcc, 0, v3, vcc
	v_lshl_or_b32 v1, s27, 8, v1
	s_sub_i32 s12, s26, s27
	v_mov_b32_e32 v4, s1
.LBB44_11:                              ; =>This Inner Loop Header: Depth=1
	global_load_dword v5, v[2:3], off
	v_add_co_u32_e32 v2, vcc, s0, v2
	s_add_i32 s12, s12, -1
	v_addc_co_u32_e32 v3, vcc, v3, v4, vcc
	s_cmp_eq_u32 s12, 0
	s_waitcnt vmcnt(0)
	ds_write_b32 v1, v5
	v_add_u32_e32 v1, 0x100, v1
	s_cbranch_scc0 .LBB44_11
.LBB44_12:
	v_mul_u32_u24_e32 v1, 0x41, v0
	s_cmpk_lg_i32 s9, 0x84
	v_lshlrev_b32_e32 v1, 2, v1
	v_mov_b32_e32 v2, 1.0
	s_cbranch_scc0 .LBB44_14
; %bb.13:
	ds_read_b32 v2, v1
	s_waitcnt lgkmcnt(0)
	v_div_scale_f32 v3, s[0:1], v2, v2, 1.0
	v_rcp_f32_e32 v4, v3
	v_div_scale_f32 v5, vcc, 1.0, v2, 1.0
	v_fma_f32 v6, -v3, v4, 1.0
	v_fmac_f32_e32 v4, v6, v4
	v_mul_f32_e32 v6, v5, v4
	v_fma_f32 v7, -v3, v6, v5
	v_fmac_f32_e32 v6, v7, v4
	v_fma_f32 v3, -v3, v6, v5
	v_div_fmas_f32 v3, v3, v4, v6
	v_div_fixup_f32 v2, v3, v2, 1.0
.LBB44_14:
	ds_write_b32 v1, v2
.LBB44_15:
	s_or_b64 exec, exec, s[20:21]
	s_load_dword s0, s[4:5], 0x60
	s_lshl_b32 s9, s6, 6
	s_sub_i32 s1, s11, s9
	s_waitcnt lgkmcnt(0)
	; wave barrier
	s_waitcnt lgkmcnt(0)
	s_add_i32 s0, s0, -1
	s_cmp_ge_u32 s6, s0
	s_cselect_b32 s0, s1, 64
	v_cmp_gt_i32_e32 vcc, s0, v0
	s_and_saveexec_b64 s[0:1], vcc
	s_cbranch_execz .LBB44_82
; %bb.16:
	s_load_dwordx2 s[0:1], s[4:5], 0x50
	s_load_dword s6, s[4:5], 0x48
	v_add_u32_e32 v0, s9, v0
	s_waitcnt lgkmcnt(0)
	s_mul_i32 s1, s7, s1
	s_mul_hi_u32 s4, s7, s0
	s_mul_i32 s0, s7, s0
	s_add_i32 s1, s4, s1
	s_lshl_b64 s[0:1], s[0:1], 2
	s_add_u32 s7, s2, s0
	s_addc_u32 s11, s3, s1
	s_lshl_b64 s[4:5], s[18:19], 2
	s_add_u32 s12, s7, s4
	v_mad_i64_i32 v[0:1], s[6:7], s6, v0, 0
	s_addc_u32 s11, s11, s5
	v_lshlrev_b64 v[70:71], 2, v[0:1]
	v_mov_b32_e32 v0, s11
	v_add_co_u32_e32 v106, vcc, s12, v70
	v_addc_co_u32_e32 v107, vcc, v0, v71, vcc
	s_cmpk_eq_i32 s8, 0x6f
	s_mov_b64 s[6:7], -1
	s_cbranch_scc1 .LBB44_49
; %bb.17:
	s_add_i32 s6, s26, -1
	s_cmp_gt_i32 s10, 31
	s_mov_b32 s12, s6
	s_cbranch_scc0 .LBB44_23
; %bb.18:
	s_mul_i32 s7, s26, 0x104
	s_add_i32 s11, s7, 0xffffdffc
	s_ashr_i32 s7, s6, 31
	s_lshl_b64 s[8:9], s[6:7], 2
	s_add_u32 s7, s2, s8
	s_addc_u32 s8, s3, s9
	s_add_u32 s7, s7, s4
	s_addc_u32 s8, s8, s5
	;; [unrolled: 2-line block ×3, first 2 shown]
	v_mov_b32_e32 v0, s8
	v_add_co_u32_e32 v32, vcc, s7, v70
	s_mov_b32 s17, s16
	v_addc_co_u32_e32 v33, vcc, v0, v71, vcc
	s_mov_b32 s8, s6
.LBB44_19:                              ; =>This Loop Header: Depth=1
                                        ;     Child Loop BB44_20 Depth 2
	s_ashr_i32 s9, s8, 31
	s_lshl_b64 s[12:13], s[8:9], 2
	v_mov_b32_e32 v0, s13
	v_add_co_u32_e32 v34, vcc, s12, v106
	v_addc_co_u32_e32 v35, vcc, v107, v0, vcc
	global_load_dwordx4 v[0:3], v[34:35], off offset:-12
	global_load_dwordx4 v[4:7], v[34:35], off offset:-28
	;; [unrolled: 1-line block ×8, first 2 shown]
	v_pk_mov_b32 v[36:37], v[32:33], v[32:33] op_sel:[0,1]
	s_mov_b32 s7, s11
	s_cmp_le_i32 s6, s8
	s_mov_b32 s9, s6
	s_waitcnt vmcnt(7)
	v_pk_mul_f32 v[2:3], v[2:3], s[16:17]
	v_pk_mul_f32 v[0:1], v[0:1], s[16:17]
	s_waitcnt vmcnt(6)
	v_pk_mul_f32 v[6:7], v[6:7], s[16:17]
	v_pk_mul_f32 v[4:5], v[4:5], s[16:17]
	;; [unrolled: 3-line block ×8, first 2 shown]
	s_cbranch_scc1 .LBB44_21
.LBB44_20:                              ;   Parent Loop BB44_19 Depth=1
                                        ; =>  This Inner Loop Header: Depth=2
	global_load_dword v38, v[36:37], off
	v_mov_b32_e32 v39, s7
	ds_read2st64_b32 v[40:41], v39 offset0:30 offset1:31
	ds_read2st64_b32 v[42:43], v39 offset0:28 offset1:29
	;; [unrolled: 1-line block ×15, first 2 shown]
	ds_read2st64_b32 v[72:73], v39 offset1:1
	s_add_i32 s9, s9, -1
	s_add_i32 s7, s7, -4
	v_add_co_u32_e32 v36, vcc, -4, v36
	v_addc_co_u32_e32 v37, vcc, -1, v37, vcc
	s_cmp_gt_i32 s9, s8
	s_waitcnt vmcnt(0) lgkmcnt(14)
	v_pk_fma_f32 v[2:3], v[38:39], v[40:41], v[2:3] op_sel_hi:[0,1,1] neg_lo:[1,0,0] neg_hi:[1,0,0]
	v_pk_fma_f32 v[0:1], v[38:39], v[42:43], v[0:1] op_sel_hi:[0,1,1] neg_lo:[1,0,0] neg_hi:[1,0,0]
	s_waitcnt lgkmcnt(13)
	v_pk_fma_f32 v[6:7], v[38:39], v[44:45], v[6:7] op_sel_hi:[0,1,1] neg_lo:[1,0,0] neg_hi:[1,0,0]
	s_waitcnt lgkmcnt(12)
	;; [unrolled: 2-line block ×14, first 2 shown]
	v_pk_fma_f32 v[28:29], v[38:39], v[72:73], v[28:29] op_sel_hi:[0,1,1] neg_lo:[1,0,0] neg_hi:[1,0,0]
	s_cbranch_scc1 .LBB44_20
.LBB44_21:                              ;   in Loop: Header=BB44_19 Depth=1
	s_mul_i32 s7, s8, 0x104
	s_add_i32 s9, s7, 0xfffffefc
	v_mov_b32_e32 v37, s9
	s_lshl_b32 s9, s8, 6
	s_add_i32 s9, s9, s8
	s_lshl_b32 s9, s9, 2
	v_mov_b32_e32 v36, s7
	s_add_i32 s12, s9, 0xfffffe00
	v_mov_b32_e32 v38, s12
	s_add_i32 s12, s7, 0xfffffdf8
	ds_read_b32 v40, v36
	ds_read2_b32 v[36:37], v37 offset1:1
	v_mov_b32_e32 v39, s12
	ds_read_b32 v41, v38
	ds_read2_b32 v[38:39], v39 offset1:1
	s_add_i32 s12, s9, 0xfffffcfc
	s_waitcnt lgkmcnt(3)
	v_mul_f32_e32 v3, v40, v3
	s_waitcnt lgkmcnt(2)
	v_fma_f32 v2, -v3, v37, v2
	v_mul_f32_e32 v2, v36, v2
	s_waitcnt lgkmcnt(1)
	v_fma_f32 v1, -v3, v41, v1
	s_waitcnt lgkmcnt(0)
	v_fma_f32 v1, -v2, v39, v1
	v_mov_b32_e32 v36, s12
	s_add_i32 s12, s7, 0xfffffcf4
	v_mul_f32_e32 v1, v38, v1
	v_mov_b32_e32 v38, s12
	s_add_i32 s12, s9, 0xfffffc00
	ds_read2_b32 v[36:37], v36 offset1:1
	v_mov_b32_e32 v40, s12
	s_add_i32 s12, s9, 0xfffffbf8
	v_mov_b32_e32 v41, s12
	ds_read2_b32 v[38:39], v38 offset1:1
	ds_read_b32 v42, v40
	ds_read2_b32 v[40:41], v41 offset1:1
	s_waitcnt lgkmcnt(3)
	v_fma_f32 v0, -v3, v37, v0
	s_add_i32 s12, s7, 0xfffffbf0
	v_fma_f32 v0, -v2, v36, v0
	v_mov_b32_e32 v36, s12
	s_waitcnt lgkmcnt(2)
	v_fma_f32 v0, -v1, v39, v0
	s_waitcnt lgkmcnt(1)
	v_fma_f32 v7, -v3, v42, v7
	s_add_i32 s12, s9, 0xfffffafc
	ds_read2_b32 v[36:37], v36 offset1:1
	v_mul_f32_e32 v0, v38, v0
	s_waitcnt lgkmcnt(1)
	v_fma_f32 v7, -v2, v41, v7
	v_mov_b32_e32 v38, s12
	s_add_i32 s12, s9, 0xfffffaf4
	v_fma_f32 v7, -v1, v40, v7
	v_mov_b32_e32 v40, s12
	s_add_i32 s12, s7, 0xfffffaec
	global_store_dwordx4 v[34:35], v[0:3], off offset:-12
	v_mov_b32_e32 v42, s12
	ds_read2_b32 v[38:39], v38 offset1:1
	ds_read2_b32 v[40:41], v40 offset1:1
	;; [unrolled: 1-line block ×3, first 2 shown]
	s_waitcnt lgkmcnt(3)
	v_fma_f32 v7, -v0, v37, v7
	s_add_i32 s12, s9, 0xfffff9fc
	v_mul_f32_e32 v7, v36, v7
	v_mov_b32_e32 v36, s12
	s_waitcnt lgkmcnt(2)
	v_fma_f32 v6, -v3, v39, v6
	ds_read2_b32 v[36:37], v36 offset1:1
	v_fma_f32 v6, -v2, v38, v6
	s_add_i32 s12, s9, 0xfffff9f4
	s_waitcnt lgkmcnt(2)
	v_fma_f32 v6, -v1, v41, v6
	v_mov_b32_e32 v38, s12
	s_add_i32 s12, s9, 0xfffff9ec
	v_fma_f32 v6, -v0, v40, v6
	v_mov_b32_e32 v40, s12
	ds_read2_b32 v[38:39], v38 offset1:1
	ds_read2_b32 v[40:41], v40 offset1:1
	s_waitcnt lgkmcnt(2)
	v_fma_f32 v5, -v3, v37, v5
	s_add_i32 s12, s7, 0xfffff9e8
	v_fma_f32 v5, -v2, v36, v5
	v_mov_b32_e32 v36, s12
	ds_read_b32 v36, v36
	s_waitcnt lgkmcnt(2)
	v_fma_f32 v5, -v1, v39, v5
	v_fma_f32 v6, -v7, v43, v6
	;; [unrolled: 1-line block ×3, first 2 shown]
	v_mul_f32_e32 v6, v42, v6
	s_waitcnt lgkmcnt(1)
	v_fma_f32 v5, -v7, v41, v5
	v_fma_f32 v5, -v6, v40, v5
	s_add_i32 s12, s9, 0xfffff900
	s_waitcnt lgkmcnt(0)
	v_mul_f32_e32 v5, v36, v5
	v_mov_b32_e32 v36, s12
	s_add_i32 s12, s9, 0xfffff8f8
	v_mov_b32_e32 v37, s12
	ds_read_b32 v42, v36
	ds_read2_b32 v[36:37], v37 offset1:1
	s_add_i32 s12, s9, 0xfffff8f0
	v_mov_b32_e32 v38, s12
	s_add_i32 s12, s9, 0xfffff8e8
	v_mov_b32_e32 v40, s12
	ds_read2_b32 v[38:39], v38 offset1:1
	ds_read2_b32 v[40:41], v40 offset1:1
	s_waitcnt lgkmcnt(3)
	v_fma_f32 v4, -v3, v42, v4
	s_waitcnt lgkmcnt(2)
	v_fma_f32 v4, -v2, v37, v4
	s_add_i32 s12, s7, 0xfffff8e4
	v_fma_f32 v4, -v1, v36, v4
	v_mov_b32_e32 v36, s12
	ds_read_b32 v36, v36
	s_waitcnt lgkmcnt(2)
	v_fma_f32 v4, -v0, v39, v4
	v_fma_f32 v4, -v7, v38, v4
	s_waitcnt lgkmcnt(1)
	v_fma_f32 v4, -v6, v41, v4
	v_fma_f32 v4, -v5, v40, v4
	s_add_i32 s12, s9, 0xfffff7fc
	s_waitcnt lgkmcnt(0)
	v_mul_f32_e32 v4, v36, v4
	v_mov_b32_e32 v36, s12
	s_add_i32 s12, s9, 0xfffff7f4
	ds_read2_b32 v[36:37], v36 offset1:1
	v_mov_b32_e32 v38, s12
	s_add_i32 s12, s9, 0xfffff7ec
	v_mov_b32_e32 v40, s12
	s_add_i32 s12, s9, 0xfffff7e4
	global_store_dwordx4 v[34:35], v[4:7], off offset:-28
	v_mov_b32_e32 v42, s12
	ds_read2_b32 v[38:39], v38 offset1:1
	ds_read2_b32 v[40:41], v40 offset1:1
	;; [unrolled: 1-line block ×3, first 2 shown]
	s_waitcnt lgkmcnt(3)
	v_fma_f32 v11, -v3, v37, v11
	v_fma_f32 v11, -v2, v36, v11
	s_add_i32 s12, s7, 0xfffff7e0
	s_waitcnt lgkmcnt(2)
	v_fma_f32 v11, -v1, v39, v11
	v_mov_b32_e32 v36, s12
	v_fma_f32 v11, -v0, v38, v11
	ds_read_b32 v36, v36
	s_waitcnt lgkmcnt(2)
	v_fma_f32 v11, -v7, v41, v11
	v_fma_f32 v11, -v6, v40, v11
	s_waitcnt lgkmcnt(1)
	v_fma_f32 v11, -v5, v43, v11
	v_fma_f32 v11, -v4, v42, v11
	s_add_i32 s12, s9, 0xfffff700
	s_waitcnt lgkmcnt(0)
	v_mul_f32_e32 v11, v36, v11
	v_mov_b32_e32 v36, s12
	s_add_i32 s12, s9, 0xfffff6f8
	v_mov_b32_e32 v37, s12
	ds_read_b32 v42, v36
	ds_read2_b32 v[36:37], v37 offset1:1
	s_add_i32 s12, s9, 0xfffff6f0
	v_mov_b32_e32 v38, s12
	s_add_i32 s12, s9, 0xfffff6e8
	v_mov_b32_e32 v40, s12
	ds_read2_b32 v[38:39], v38 offset1:1
	ds_read2_b32 v[40:41], v40 offset1:1
	s_waitcnt lgkmcnt(3)
	v_fma_f32 v10, -v3, v42, v10
	s_waitcnt lgkmcnt(2)
	v_fma_f32 v10, -v2, v37, v10
	s_add_i32 s12, s9, 0xfffff6e0
	v_fma_f32 v10, -v1, v36, v10
	v_mov_b32_e32 v36, s12
	ds_read2_b32 v[36:37], v36 offset1:1
	s_waitcnt lgkmcnt(2)
	v_fma_f32 v10, -v0, v39, v10
	s_add_i32 s12, s7, 0xfffff6dc
	v_fma_f32 v10, -v7, v38, v10
	v_mov_b32_e32 v38, s12
	ds_read_b32 v38, v38
	s_waitcnt lgkmcnt(2)
	v_fma_f32 v10, -v6, v41, v10
	v_fma_f32 v10, -v5, v40, v10
	s_waitcnt lgkmcnt(1)
	v_fma_f32 v10, -v4, v37, v10
	s_add_i32 s12, s9, 0xfffff5fc
	v_fma_f32 v10, -v11, v36, v10
	v_mov_b32_e32 v36, s12
	s_add_i32 s12, s9, 0xfffff5f4
	ds_read2_b32 v[36:37], v36 offset1:1
	s_waitcnt lgkmcnt(1)
	v_mul_f32_e32 v10, v38, v10
	v_mov_b32_e32 v38, s12
	s_add_i32 s12, s9, 0xfffff5ec
	v_mov_b32_e32 v40, s12
	s_add_i32 s12, s9, 0xfffff5e4
	v_mov_b32_e32 v42, s12
	ds_read2_b32 v[38:39], v38 offset1:1
	ds_read2_b32 v[40:41], v40 offset1:1
	ds_read2_b32 v[42:43], v42 offset1:1
	s_waitcnt lgkmcnt(3)
	v_fma_f32 v9, -v3, v37, v9
	v_fma_f32 v9, -v2, v36, v9
	s_add_i32 s12, s9, 0xfffff5dc
	s_waitcnt lgkmcnt(2)
	v_fma_f32 v9, -v1, v39, v9
	v_mov_b32_e32 v36, s12
	v_fma_f32 v9, -v0, v38, v9
	ds_read2_b32 v[36:37], v36 offset1:1
	s_waitcnt lgkmcnt(2)
	v_fma_f32 v9, -v7, v41, v9
	s_add_i32 s12, s7, 0xfffff5d8
	v_fma_f32 v9, -v6, v40, v9
	v_mov_b32_e32 v38, s12
	ds_read_b32 v38, v38
	s_waitcnt lgkmcnt(2)
	v_fma_f32 v9, -v5, v43, v9
	v_fma_f32 v9, -v4, v42, v9
	s_waitcnt lgkmcnt(1)
	v_fma_f32 v9, -v11, v37, v9
	s_add_i32 s12, s9, 0xfffff4fc
	v_fma_f32 v9, -v10, v36, v9
	v_mov_b32_e32 v36, s12
	s_add_i32 s12, s9, 0xfffff4f4
	ds_read2_b32 v[36:37], v36 offset1:1
	s_waitcnt lgkmcnt(1)
	v_mul_f32_e32 v9, v38, v9
	v_mov_b32_e32 v38, s12
	s_add_i32 s12, s9, 0xfffff4ec
	v_mov_b32_e32 v40, s12
	s_add_i32 s12, s9, 0xfffff4e4
	v_mov_b32_e32 v42, s12
	ds_read2_b32 v[38:39], v38 offset1:1
	ds_read2_b32 v[40:41], v40 offset1:1
	;; [unrolled: 1-line block ×3, first 2 shown]
	s_waitcnt lgkmcnt(3)
	v_fma_f32 v8, -v3, v37, v8
	v_fma_f32 v8, -v2, v36, v8
	s_waitcnt lgkmcnt(2)
	v_fma_f32 v8, -v1, v39, v8
	s_add_i32 s12, s9, 0xfffff4dc
	v_fma_f32 v8, -v0, v38, v8
	v_mov_b32_e32 v36, s12
	s_add_i32 s12, s7, 0xfffff4d4
	s_waitcnt lgkmcnt(1)
	v_fma_f32 v8, -v7, v41, v8
	v_mov_b32_e32 v38, s12
	s_add_i32 s12, s9, 0xfffff400
	ds_read2_b32 v[36:37], v36 offset1:1
	v_fma_f32 v8, -v6, v40, v8
	v_mov_b32_e32 v40, s12
	s_add_i32 s12, s9, 0xfffff3f8
	s_waitcnt lgkmcnt(1)
	v_fma_f32 v8, -v5, v43, v8
	v_mov_b32_e32 v41, s12
	v_fma_f32 v8, -v4, v42, v8
	ds_read2_b32 v[38:39], v38 offset1:1
	ds_read_b32 v42, v40
	ds_read2_b32 v[40:41], v41 offset1:1
	s_waitcnt lgkmcnt(3)
	v_fma_f32 v8, -v11, v37, v8
	s_add_i32 s12, s9, 0xfffff3f0
	v_fma_f32 v8, -v10, v36, v8
	v_mov_b32_e32 v36, s12
	s_waitcnt lgkmcnt(2)
	v_fma_f32 v8, -v9, v39, v8
	s_waitcnt lgkmcnt(1)
	v_fma_f32 v15, -v3, v42, v15
	s_add_i32 s12, s9, 0xfffff3e8
	ds_read2_b32 v[36:37], v36 offset1:1
	v_mul_f32_e32 v8, v38, v8
	s_waitcnt lgkmcnt(1)
	v_fma_f32 v15, -v2, v41, v15
	v_mov_b32_e32 v38, s12
	s_add_i32 s12, s9, 0xfffff3e0
	v_fma_f32 v15, -v1, v40, v15
	v_mov_b32_e32 v40, s12
	s_add_i32 s12, s9, 0xfffff3d8
	global_store_dwordx4 v[34:35], v[8:11], off offset:-44
	v_mov_b32_e32 v42, s12
	ds_read2_b32 v[38:39], v38 offset1:1
	ds_read2_b32 v[40:41], v40 offset1:1
	;; [unrolled: 1-line block ×3, first 2 shown]
	s_waitcnt lgkmcnt(3)
	v_fma_f32 v15, -v0, v37, v15
	v_fma_f32 v15, -v7, v36, v15
	s_waitcnt lgkmcnt(2)
	v_fma_f32 v15, -v6, v39, v15
	v_fma_f32 v15, -v5, v38, v15
	s_add_i32 s12, s7, 0xfffff3d0
	s_waitcnt lgkmcnt(1)
	v_fma_f32 v15, -v4, v41, v15
	v_mov_b32_e32 v36, s12
	s_add_i32 s12, s9, 0xfffff2fc
	v_fma_f32 v15, -v11, v40, v15
	v_mov_b32_e32 v38, s12
	s_add_i32 s12, s9, 0xfffff2f4
	s_waitcnt lgkmcnt(0)
	v_fma_f32 v15, -v10, v43, v15
	v_mov_b32_e32 v40, s12
	s_add_i32 s12, s9, 0xfffff2ec
	ds_read2_b32 v[36:37], v36 offset1:1
	v_fma_f32 v15, -v9, v42, v15
	v_mov_b32_e32 v42, s12
	ds_read2_b32 v[38:39], v38 offset1:1
	ds_read2_b32 v[40:41], v40 offset1:1
	;; [unrolled: 1-line block ×3, first 2 shown]
	s_add_i32 s12, s9, 0xfffff2e4
	s_waitcnt lgkmcnt(3)
	v_fma_f32 v15, -v8, v37, v15
	s_waitcnt lgkmcnt(2)
	v_fma_f32 v14, -v3, v39, v14
	v_mul_f32_e32 v15, v36, v15
	v_fma_f32 v14, -v2, v38, v14
	v_mov_b32_e32 v36, s12
	s_waitcnt lgkmcnt(1)
	v_fma_f32 v14, -v1, v41, v14
	s_add_i32 s12, s9, 0xfffff2dc
	ds_read2_b32 v[36:37], v36 offset1:1
	v_fma_f32 v14, -v0, v40, v14
	v_mov_b32_e32 v38, s12
	s_add_i32 s12, s9, 0xfffff2d4
	s_waitcnt lgkmcnt(1)
	v_fma_f32 v14, -v7, v43, v14
	v_mov_b32_e32 v40, s12
	s_add_i32 s12, s7, 0xfffff2cc
	v_fma_f32 v14, -v6, v42, v14
	v_mov_b32_e32 v42, s12
	ds_read2_b32 v[38:39], v38 offset1:1
	ds_read2_b32 v[40:41], v40 offset1:1
	;; [unrolled: 1-line block ×3, first 2 shown]
	s_waitcnt lgkmcnt(3)
	v_fma_f32 v14, -v5, v37, v14
	v_fma_f32 v14, -v4, v36, v14
	s_waitcnt lgkmcnt(2)
	v_fma_f32 v14, -v11, v39, v14
	v_fma_f32 v14, -v10, v38, v14
	s_waitcnt lgkmcnt(1)
	v_fma_f32 v14, -v9, v41, v14
	s_add_i32 s12, s9, 0xfffff200
	v_fma_f32 v14, -v8, v40, v14
	v_mov_b32_e32 v36, s12
	s_add_i32 s12, s9, 0xfffff1f8
	s_waitcnt lgkmcnt(0)
	v_fma_f32 v14, -v15, v43, v14
	v_mov_b32_e32 v37, s12
	v_mul_f32_e32 v14, v42, v14
	s_add_i32 s12, s9, 0xfffff1f0
	ds_read_b32 v42, v36
	ds_read2_b32 v[36:37], v37 offset1:1
	v_mov_b32_e32 v38, s12
	s_add_i32 s12, s9, 0xfffff1e8
	v_mov_b32_e32 v40, s12
	ds_read2_b32 v[38:39], v38 offset1:1
	ds_read2_b32 v[40:41], v40 offset1:1
	s_waitcnt lgkmcnt(3)
	v_fma_f32 v13, -v3, v42, v13
	s_waitcnt lgkmcnt(2)
	v_fma_f32 v13, -v2, v37, v13
	v_fma_f32 v13, -v1, v36, v13
	s_add_i32 s12, s9, 0xfffff1e0
	s_waitcnt lgkmcnt(1)
	v_fma_f32 v13, -v0, v39, v13
	v_mov_b32_e32 v36, s12
	v_fma_f32 v13, -v7, v38, v13
	s_add_i32 s12, s9, 0xfffff1d8
	ds_read2_b32 v[36:37], v36 offset1:1
	s_waitcnt lgkmcnt(1)
	v_fma_f32 v13, -v6, v41, v13
	v_mov_b32_e32 v38, s12
	s_add_i32 s12, s9, 0xfffff1d0
	v_fma_f32 v13, -v5, v40, v13
	v_mov_b32_e32 v40, s12
	s_add_i32 s12, s7, 0xfffff1c8
	v_mov_b32_e32 v42, s12
	ds_read2_b32 v[38:39], v38 offset1:1
	ds_read2_b32 v[40:41], v40 offset1:1
	;; [unrolled: 1-line block ×3, first 2 shown]
	s_waitcnt lgkmcnt(3)
	v_fma_f32 v13, -v4, v37, v13
	v_fma_f32 v13, -v11, v36, v13
	s_waitcnt lgkmcnt(2)
	v_fma_f32 v13, -v10, v39, v13
	s_add_i32 s12, s9, 0xfffff0fc
	v_fma_f32 v13, -v9, v38, v13
	v_mov_b32_e32 v36, s12
	s_waitcnt lgkmcnt(1)
	v_fma_f32 v13, -v8, v41, v13
	s_add_i32 s12, s9, 0xfffff0f4
	ds_read2_b32 v[36:37], v36 offset1:1
	v_fma_f32 v13, -v15, v40, v13
	v_mov_b32_e32 v38, s12
	s_add_i32 s12, s9, 0xfffff0ec
	s_waitcnt lgkmcnt(1)
	v_fma_f32 v13, -v14, v43, v13
	v_mov_b32_e32 v40, s12
	s_add_i32 s12, s9, 0xfffff0e4
	v_mul_f32_e32 v13, v42, v13
	v_mov_b32_e32 v42, s12
	ds_read2_b32 v[38:39], v38 offset1:1
	ds_read2_b32 v[40:41], v40 offset1:1
	ds_read2_b32 v[42:43], v42 offset1:1
	s_waitcnt lgkmcnt(3)
	v_fma_f32 v12, -v3, v37, v12
	v_fma_f32 v12, -v2, v36, v12
	s_waitcnt lgkmcnt(2)
	v_fma_f32 v12, -v1, v39, v12
	s_add_i32 s12, s9, 0xfffff0dc
	v_fma_f32 v12, -v0, v38, v12
	v_mov_b32_e32 v36, s12
	s_waitcnt lgkmcnt(1)
	v_fma_f32 v12, -v7, v41, v12
	s_add_i32 s12, s9, 0xfffff0d4
	ds_read2_b32 v[36:37], v36 offset1:1
	v_fma_f32 v12, -v6, v40, v12
	v_mov_b32_e32 v38, s12
	s_add_i32 s12, s9, 0xfffff0cc
	s_waitcnt lgkmcnt(1)
	v_fma_f32 v12, -v5, v43, v12
	v_mov_b32_e32 v40, s12
	s_add_i32 s12, s7, 0xfffff0c4
	v_fma_f32 v12, -v4, v42, v12
	v_mov_b32_e32 v42, s12
	ds_read2_b32 v[38:39], v38 offset1:1
	ds_read2_b32 v[40:41], v40 offset1:1
	ds_read2_b32 v[42:43], v42 offset1:1
	s_waitcnt lgkmcnt(3)
	v_fma_f32 v12, -v11, v37, v12
	v_fma_f32 v12, -v10, v36, v12
	s_waitcnt lgkmcnt(2)
	v_fma_f32 v12, -v9, v39, v12
	v_fma_f32 v12, -v8, v38, v12
	;; [unrolled: 3-line block ×3, first 2 shown]
	s_waitcnt lgkmcnt(0)
	v_fma_f32 v12, -v13, v43, v12
	s_add_i32 s12, s9, 0xfffff000
	v_mul_f32_e32 v12, v42, v12
	v_mov_b32_e32 v36, s12
	s_add_i32 s12, s9, 0xffffeff8
	global_store_dwordx4 v[34:35], v[12:15], off offset:-60
	v_mov_b32_e32 v37, s12
	s_add_i32 s12, s9, 0xffffeff0
	ds_read_b32 v42, v36
	ds_read2_b32 v[36:37], v37 offset1:1
	v_mov_b32_e32 v38, s12
	s_add_i32 s12, s9, 0xffffefe8
	v_mov_b32_e32 v40, s12
	ds_read2_b32 v[38:39], v38 offset1:1
	ds_read2_b32 v[40:41], v40 offset1:1
	s_waitcnt lgkmcnt(3)
	v_fma_f32 v19, -v3, v42, v19
	s_waitcnt lgkmcnt(2)
	v_fma_f32 v19, -v2, v37, v19
	v_fma_f32 v19, -v1, v36, v19
	s_add_i32 s12, s9, 0xffffefe0
	s_waitcnt lgkmcnt(1)
	v_fma_f32 v19, -v0, v39, v19
	v_mov_b32_e32 v36, s12
	v_fma_f32 v19, -v7, v38, v19
	s_add_i32 s12, s9, 0xffffefd8
	ds_read2_b32 v[36:37], v36 offset1:1
	s_waitcnt lgkmcnt(1)
	v_fma_f32 v19, -v6, v41, v19
	v_mov_b32_e32 v38, s12
	s_add_i32 s12, s9, 0xffffefd0
	v_fma_f32 v19, -v5, v40, v19
	v_mov_b32_e32 v40, s12
	s_add_i32 s12, s9, 0xffffefc8
	v_mov_b32_e32 v42, s12
	ds_read2_b32 v[38:39], v38 offset1:1
	ds_read2_b32 v[40:41], v40 offset1:1
	;; [unrolled: 1-line block ×3, first 2 shown]
	s_waitcnt lgkmcnt(3)
	v_fma_f32 v19, -v4, v37, v19
	v_fma_f32 v19, -v11, v36, v19
	s_waitcnt lgkmcnt(2)
	v_fma_f32 v19, -v10, v39, v19
	v_fma_f32 v19, -v9, v38, v19
	s_add_i32 s12, s7, 0xffffefc0
	s_waitcnt lgkmcnt(1)
	v_fma_f32 v19, -v8, v41, v19
	v_mov_b32_e32 v36, s12
	s_add_i32 s12, s9, 0xffffeefc
	v_fma_f32 v19, -v15, v40, v19
	v_mov_b32_e32 v38, s12
	s_add_i32 s12, s9, 0xffffeef4
	s_waitcnt lgkmcnt(0)
	v_fma_f32 v19, -v14, v43, v19
	v_mov_b32_e32 v40, s12
	s_add_i32 s12, s9, 0xffffeeec
	ds_read2_b32 v[36:37], v36 offset1:1
	v_fma_f32 v19, -v13, v42, v19
	v_mov_b32_e32 v42, s12
	ds_read2_b32 v[38:39], v38 offset1:1
	ds_read2_b32 v[40:41], v40 offset1:1
	;; [unrolled: 1-line block ×3, first 2 shown]
	s_add_i32 s12, s9, 0xffffeee4
	s_waitcnt lgkmcnt(3)
	v_fma_f32 v19, -v12, v37, v19
	s_waitcnt lgkmcnt(2)
	v_fma_f32 v18, -v3, v39, v18
	v_mul_f32_e32 v19, v36, v19
	v_fma_f32 v18, -v2, v38, v18
	v_mov_b32_e32 v36, s12
	s_waitcnt lgkmcnt(1)
	v_fma_f32 v18, -v1, v41, v18
	s_add_i32 s12, s9, 0xffffeedc
	ds_read2_b32 v[36:37], v36 offset1:1
	v_fma_f32 v18, -v0, v40, v18
	v_mov_b32_e32 v38, s12
	s_add_i32 s12, s9, 0xffffeed4
	s_waitcnt lgkmcnt(1)
	v_fma_f32 v18, -v7, v43, v18
	v_mov_b32_e32 v40, s12
	s_add_i32 s12, s9, 0xffffeecc
	v_fma_f32 v18, -v6, v42, v18
	v_mov_b32_e32 v42, s12
	ds_read2_b32 v[38:39], v38 offset1:1
	ds_read2_b32 v[40:41], v40 offset1:1
	;; [unrolled: 1-line block ×3, first 2 shown]
	s_waitcnt lgkmcnt(3)
	v_fma_f32 v18, -v5, v37, v18
	v_fma_f32 v18, -v4, v36, v18
	s_waitcnt lgkmcnt(2)
	v_fma_f32 v18, -v11, v39, v18
	s_add_i32 s12, s9, 0xffffeec4
	v_fma_f32 v18, -v10, v38, v18
	v_mov_b32_e32 v36, s12
	s_add_i32 s12, s7, 0xffffeebc
	s_waitcnt lgkmcnt(1)
	v_fma_f32 v18, -v9, v41, v18
	v_mov_b32_e32 v38, s12
	s_add_i32 s12, s9, 0xffffee00
	ds_read2_b32 v[36:37], v36 offset1:1
	v_fma_f32 v18, -v8, v40, v18
	v_mov_b32_e32 v40, s12
	s_add_i32 s12, s9, 0xffffedf8
	s_waitcnt lgkmcnt(1)
	v_fma_f32 v18, -v15, v43, v18
	v_mov_b32_e32 v41, s12
	v_fma_f32 v18, -v14, v42, v18
	ds_read2_b32 v[38:39], v38 offset1:1
	ds_read_b32 v42, v40
	ds_read2_b32 v[40:41], v41 offset1:1
	s_waitcnt lgkmcnt(3)
	v_fma_f32 v18, -v13, v37, v18
	s_add_i32 s12, s9, 0xffffedf0
	v_fma_f32 v18, -v12, v36, v18
	v_mov_b32_e32 v36, s12
	s_waitcnt lgkmcnt(2)
	v_fma_f32 v18, -v19, v39, v18
	s_waitcnt lgkmcnt(1)
	v_fma_f32 v17, -v3, v42, v17
	s_add_i32 s12, s9, 0xffffede8
	ds_read2_b32 v[36:37], v36 offset1:1
	v_mul_f32_e32 v18, v38, v18
	s_waitcnt lgkmcnt(1)
	v_fma_f32 v17, -v2, v41, v17
	v_mov_b32_e32 v38, s12
	s_add_i32 s12, s9, 0xffffede0
	v_fma_f32 v17, -v1, v40, v17
	v_mov_b32_e32 v40, s12
	s_add_i32 s12, s9, 0xffffedd8
	v_mov_b32_e32 v42, s12
	ds_read2_b32 v[38:39], v38 offset1:1
	ds_read2_b32 v[40:41], v40 offset1:1
	;; [unrolled: 1-line block ×3, first 2 shown]
	s_waitcnt lgkmcnt(3)
	v_fma_f32 v17, -v0, v37, v17
	v_fma_f32 v17, -v7, v36, v17
	s_waitcnt lgkmcnt(2)
	v_fma_f32 v17, -v6, v39, v17
	s_add_i32 s12, s9, 0xffffedd0
	v_fma_f32 v17, -v5, v38, v17
	v_mov_b32_e32 v36, s12
	s_waitcnt lgkmcnt(1)
	v_fma_f32 v17, -v4, v41, v17
	s_add_i32 s12, s9, 0xffffedc8
	ds_read2_b32 v[36:37], v36 offset1:1
	v_fma_f32 v17, -v11, v40, v17
	v_mov_b32_e32 v38, s12
	s_add_i32 s12, s9, 0xffffedc0
	s_waitcnt lgkmcnt(1)
	v_fma_f32 v17, -v10, v43, v17
	v_mov_b32_e32 v40, s12
	s_add_i32 s12, s7, 0xffffedb8
	v_fma_f32 v17, -v9, v42, v17
	v_mov_b32_e32 v42, s12
	ds_read2_b32 v[38:39], v38 offset1:1
	ds_read2_b32 v[40:41], v40 offset1:1
	;; [unrolled: 1-line block ×3, first 2 shown]
	s_waitcnt lgkmcnt(3)
	v_fma_f32 v17, -v8, v37, v17
	v_fma_f32 v17, -v15, v36, v17
	s_waitcnt lgkmcnt(2)
	v_fma_f32 v17, -v14, v39, v17
	s_add_i32 s12, s9, 0xffffecfc
	v_fma_f32 v17, -v13, v38, v17
	v_mov_b32_e32 v36, s12
	s_waitcnt lgkmcnt(1)
	v_fma_f32 v17, -v12, v41, v17
	s_add_i32 s12, s9, 0xffffecf4
	ds_read2_b32 v[36:37], v36 offset1:1
	v_fma_f32 v17, -v19, v40, v17
	v_mov_b32_e32 v38, s12
	s_add_i32 s12, s9, 0xffffecec
	s_waitcnt lgkmcnt(1)
	v_fma_f32 v17, -v18, v43, v17
	v_mov_b32_e32 v40, s12
	s_add_i32 s12, s9, 0xffffece4
	v_mul_f32_e32 v17, v42, v17
	v_mov_b32_e32 v42, s12
	ds_read2_b32 v[38:39], v38 offset1:1
	ds_read2_b32 v[40:41], v40 offset1:1
	;; [unrolled: 1-line block ×3, first 2 shown]
	s_waitcnt lgkmcnt(3)
	v_fma_f32 v16, -v3, v37, v16
	v_fma_f32 v16, -v2, v36, v16
	s_waitcnt lgkmcnt(2)
	v_fma_f32 v16, -v1, v39, v16
	s_add_i32 s12, s9, 0xffffecdc
	v_fma_f32 v16, -v0, v38, v16
	v_mov_b32_e32 v36, s12
	s_waitcnt lgkmcnt(1)
	v_fma_f32 v16, -v7, v41, v16
	s_add_i32 s12, s9, 0xffffecd4
	ds_read2_b32 v[36:37], v36 offset1:1
	v_fma_f32 v16, -v6, v40, v16
	v_mov_b32_e32 v38, s12
	s_add_i32 s12, s9, 0xffffeccc
	s_waitcnt lgkmcnt(1)
	v_fma_f32 v16, -v5, v43, v16
	v_mov_b32_e32 v40, s12
	s_add_i32 s12, s9, 0xffffecc4
	v_fma_f32 v16, -v4, v42, v16
	v_mov_b32_e32 v42, s12
	ds_read2_b32 v[38:39], v38 offset1:1
	ds_read2_b32 v[40:41], v40 offset1:1
	;; [unrolled: 1-line block ×3, first 2 shown]
	s_waitcnt lgkmcnt(3)
	v_fma_f32 v16, -v11, v37, v16
	v_fma_f32 v16, -v10, v36, v16
	s_waitcnt lgkmcnt(2)
	v_fma_f32 v16, -v9, v39, v16
	s_add_i32 s12, s9, 0xffffecbc
	v_fma_f32 v16, -v8, v38, v16
	v_mov_b32_e32 v36, s12
	s_add_i32 s12, s7, 0xffffecb4
	s_waitcnt lgkmcnt(1)
	v_fma_f32 v16, -v15, v41, v16
	v_mov_b32_e32 v38, s12
	s_add_i32 s12, s9, 0xffffec00
	ds_read2_b32 v[36:37], v36 offset1:1
	v_fma_f32 v16, -v14, v40, v16
	v_mov_b32_e32 v40, s12
	s_add_i32 s12, s9, 0xffffebf8
	s_waitcnt lgkmcnt(1)
	v_fma_f32 v16, -v13, v43, v16
	v_mov_b32_e32 v41, s12
	v_fma_f32 v16, -v12, v42, v16
	ds_read2_b32 v[38:39], v38 offset1:1
	ds_read_b32 v42, v40
	ds_read2_b32 v[40:41], v41 offset1:1
	s_waitcnt lgkmcnt(3)
	v_fma_f32 v16, -v19, v37, v16
	s_add_i32 s12, s9, 0xffffebf0
	v_fma_f32 v16, -v18, v36, v16
	v_mov_b32_e32 v36, s12
	s_waitcnt lgkmcnt(2)
	v_fma_f32 v16, -v17, v39, v16
	s_waitcnt lgkmcnt(1)
	v_fma_f32 v23, -v3, v42, v23
	s_add_i32 s12, s9, 0xffffebe8
	ds_read2_b32 v[36:37], v36 offset1:1
	v_mul_f32_e32 v16, v38, v16
	s_waitcnt lgkmcnt(1)
	v_fma_f32 v23, -v2, v41, v23
	v_mov_b32_e32 v38, s12
	s_add_i32 s12, s9, 0xffffebe0
	v_fma_f32 v23, -v1, v40, v23
	v_mov_b32_e32 v40, s12
	s_add_i32 s12, s9, 0xffffebd8
	global_store_dwordx4 v[34:35], v[16:19], off offset:-76
	v_mov_b32_e32 v42, s12
	ds_read2_b32 v[38:39], v38 offset1:1
	ds_read2_b32 v[40:41], v40 offset1:1
	;; [unrolled: 1-line block ×3, first 2 shown]
	s_waitcnt lgkmcnt(3)
	v_fma_f32 v23, -v0, v37, v23
	v_fma_f32 v23, -v7, v36, v23
	s_waitcnt lgkmcnt(2)
	v_fma_f32 v23, -v6, v39, v23
	s_add_i32 s12, s9, 0xffffebd0
	v_fma_f32 v23, -v5, v38, v23
	v_mov_b32_e32 v36, s12
	s_waitcnt lgkmcnt(1)
	v_fma_f32 v23, -v4, v41, v23
	s_add_i32 s12, s9, 0xffffebc8
	ds_read2_b32 v[36:37], v36 offset1:1
	v_fma_f32 v23, -v11, v40, v23
	v_mov_b32_e32 v38, s12
	s_add_i32 s12, s9, 0xffffebc0
	s_waitcnt lgkmcnt(1)
	v_fma_f32 v23, -v10, v43, v23
	v_mov_b32_e32 v40, s12
	s_add_i32 s12, s9, 0xffffebb8
	v_fma_f32 v23, -v9, v42, v23
	v_mov_b32_e32 v42, s12
	ds_read2_b32 v[38:39], v38 offset1:1
	ds_read2_b32 v[40:41], v40 offset1:1
	;; [unrolled: 1-line block ×3, first 2 shown]
	s_waitcnt lgkmcnt(3)
	v_fma_f32 v23, -v8, v37, v23
	v_fma_f32 v23, -v15, v36, v23
	s_waitcnt lgkmcnt(2)
	v_fma_f32 v23, -v14, v39, v23
	v_fma_f32 v23, -v13, v38, v23
	s_add_i32 s12, s7, 0xffffebb0
	s_waitcnt lgkmcnt(1)
	v_fma_f32 v23, -v12, v41, v23
	v_mov_b32_e32 v36, s12
	s_add_i32 s12, s9, 0xffffeafc
	v_fma_f32 v23, -v19, v40, v23
	v_mov_b32_e32 v38, s12
	s_add_i32 s12, s9, 0xffffeaf4
	s_waitcnt lgkmcnt(0)
	v_fma_f32 v23, -v18, v43, v23
	v_mov_b32_e32 v40, s12
	s_add_i32 s12, s9, 0xffffeaec
	ds_read2_b32 v[36:37], v36 offset1:1
	v_fma_f32 v23, -v17, v42, v23
	v_mov_b32_e32 v42, s12
	ds_read2_b32 v[38:39], v38 offset1:1
	ds_read2_b32 v[40:41], v40 offset1:1
	;; [unrolled: 1-line block ×3, first 2 shown]
	s_add_i32 s12, s9, 0xffffeae4
	s_waitcnt lgkmcnt(3)
	v_fma_f32 v23, -v16, v37, v23
	s_waitcnt lgkmcnt(2)
	v_fma_f32 v22, -v3, v39, v22
	v_mul_f32_e32 v23, v36, v23
	v_fma_f32 v22, -v2, v38, v22
	v_mov_b32_e32 v36, s12
	s_waitcnt lgkmcnt(1)
	v_fma_f32 v22, -v1, v41, v22
	s_add_i32 s12, s9, 0xffffeadc
	ds_read2_b32 v[36:37], v36 offset1:1
	v_fma_f32 v22, -v0, v40, v22
	v_mov_b32_e32 v38, s12
	s_add_i32 s12, s9, 0xffffead4
	s_waitcnt lgkmcnt(1)
	v_fma_f32 v22, -v7, v43, v22
	v_mov_b32_e32 v40, s12
	s_add_i32 s12, s9, 0xffffeacc
	v_fma_f32 v22, -v6, v42, v22
	v_mov_b32_e32 v42, s12
	ds_read2_b32 v[38:39], v38 offset1:1
	ds_read2_b32 v[40:41], v40 offset1:1
	;; [unrolled: 1-line block ×3, first 2 shown]
	s_waitcnt lgkmcnt(3)
	v_fma_f32 v22, -v5, v37, v22
	v_fma_f32 v22, -v4, v36, v22
	s_waitcnt lgkmcnt(2)
	v_fma_f32 v22, -v11, v39, v22
	s_add_i32 s12, s9, 0xffffeac4
	v_fma_f32 v22, -v10, v38, v22
	v_mov_b32_e32 v36, s12
	s_waitcnt lgkmcnt(1)
	v_fma_f32 v22, -v9, v41, v22
	s_add_i32 s12, s9, 0xffffeabc
	ds_read2_b32 v[36:37], v36 offset1:1
	v_fma_f32 v22, -v8, v40, v22
	v_mov_b32_e32 v38, s12
	s_add_i32 s12, s9, 0xffffeab4
	s_waitcnt lgkmcnt(1)
	v_fma_f32 v22, -v15, v43, v22
	v_mov_b32_e32 v40, s12
	s_add_i32 s12, s7, 0xffffeaac
	v_fma_f32 v22, -v14, v42, v22
	v_mov_b32_e32 v42, s12
	ds_read2_b32 v[38:39], v38 offset1:1
	ds_read2_b32 v[40:41], v40 offset1:1
	ds_read2_b32 v[42:43], v42 offset1:1
	s_waitcnt lgkmcnt(3)
	v_fma_f32 v22, -v13, v37, v22
	v_fma_f32 v22, -v12, v36, v22
	s_waitcnt lgkmcnt(2)
	v_fma_f32 v22, -v19, v39, v22
	v_fma_f32 v22, -v18, v38, v22
	s_waitcnt lgkmcnt(1)
	v_fma_f32 v22, -v17, v41, v22
	s_add_i32 s12, s9, 0xffffea00
	v_fma_f32 v22, -v16, v40, v22
	v_mov_b32_e32 v36, s12
	s_add_i32 s12, s9, 0xffffe9f8
	s_waitcnt lgkmcnt(0)
	v_fma_f32 v22, -v23, v43, v22
	v_mov_b32_e32 v37, s12
	v_mul_f32_e32 v22, v42, v22
	s_add_i32 s12, s9, 0xffffe9f0
	ds_read_b32 v42, v36
	ds_read2_b32 v[36:37], v37 offset1:1
	v_mov_b32_e32 v38, s12
	s_add_i32 s12, s9, 0xffffe9e8
	v_mov_b32_e32 v40, s12
	ds_read2_b32 v[38:39], v38 offset1:1
	ds_read2_b32 v[40:41], v40 offset1:1
	s_waitcnt lgkmcnt(3)
	v_fma_f32 v21, -v3, v42, v21
	s_waitcnt lgkmcnt(2)
	v_fma_f32 v21, -v2, v37, v21
	v_fma_f32 v21, -v1, v36, v21
	s_add_i32 s12, s9, 0xffffe9e0
	s_waitcnt lgkmcnt(1)
	v_fma_f32 v21, -v0, v39, v21
	v_mov_b32_e32 v36, s12
	v_fma_f32 v21, -v7, v38, v21
	s_add_i32 s12, s9, 0xffffe9d8
	ds_read2_b32 v[36:37], v36 offset1:1
	s_waitcnt lgkmcnt(1)
	v_fma_f32 v21, -v6, v41, v21
	v_mov_b32_e32 v38, s12
	s_add_i32 s12, s9, 0xffffe9d0
	v_fma_f32 v21, -v5, v40, v21
	v_mov_b32_e32 v40, s12
	s_add_i32 s12, s9, 0xffffe9c8
	v_mov_b32_e32 v42, s12
	ds_read2_b32 v[38:39], v38 offset1:1
	ds_read2_b32 v[40:41], v40 offset1:1
	;; [unrolled: 1-line block ×3, first 2 shown]
	s_waitcnt lgkmcnt(3)
	v_fma_f32 v21, -v4, v37, v21
	v_fma_f32 v21, -v11, v36, v21
	s_waitcnt lgkmcnt(2)
	v_fma_f32 v21, -v10, v39, v21
	s_add_i32 s12, s9, 0xffffe9c0
	v_fma_f32 v21, -v9, v38, v21
	v_mov_b32_e32 v36, s12
	s_waitcnt lgkmcnt(1)
	v_fma_f32 v21, -v8, v41, v21
	s_add_i32 s12, s9, 0xffffe9b8
	ds_read2_b32 v[36:37], v36 offset1:1
	v_fma_f32 v21, -v15, v40, v21
	v_mov_b32_e32 v38, s12
	s_add_i32 s12, s9, 0xffffe9b0
	s_waitcnt lgkmcnt(1)
	v_fma_f32 v21, -v14, v43, v21
	v_mov_b32_e32 v40, s12
	s_add_i32 s12, s7, 0xffffe9a8
	v_fma_f32 v21, -v13, v42, v21
	v_mov_b32_e32 v42, s12
	ds_read2_b32 v[38:39], v38 offset1:1
	ds_read2_b32 v[40:41], v40 offset1:1
	;; [unrolled: 1-line block ×3, first 2 shown]
	s_waitcnt lgkmcnt(3)
	v_fma_f32 v21, -v12, v37, v21
	v_fma_f32 v21, -v19, v36, v21
	s_waitcnt lgkmcnt(2)
	v_fma_f32 v21, -v18, v39, v21
	s_add_i32 s12, s9, 0xffffe8fc
	v_fma_f32 v21, -v17, v38, v21
	v_mov_b32_e32 v36, s12
	s_waitcnt lgkmcnt(1)
	v_fma_f32 v21, -v16, v41, v21
	s_add_i32 s12, s9, 0xffffe8f4
	ds_read2_b32 v[36:37], v36 offset1:1
	v_fma_f32 v21, -v23, v40, v21
	v_mov_b32_e32 v38, s12
	s_add_i32 s12, s9, 0xffffe8ec
	s_waitcnt lgkmcnt(1)
	v_fma_f32 v21, -v22, v43, v21
	v_mov_b32_e32 v40, s12
	s_add_i32 s12, s9, 0xffffe8e4
	v_mul_f32_e32 v21, v42, v21
	v_mov_b32_e32 v42, s12
	ds_read2_b32 v[38:39], v38 offset1:1
	ds_read2_b32 v[40:41], v40 offset1:1
	;; [unrolled: 1-line block ×3, first 2 shown]
	s_waitcnt lgkmcnt(3)
	v_fma_f32 v20, -v3, v37, v20
	v_fma_f32 v20, -v2, v36, v20
	s_waitcnt lgkmcnt(2)
	v_fma_f32 v20, -v1, v39, v20
	s_add_i32 s12, s9, 0xffffe8dc
	v_fma_f32 v20, -v0, v38, v20
	v_mov_b32_e32 v36, s12
	s_waitcnt lgkmcnt(1)
	v_fma_f32 v20, -v7, v41, v20
	s_add_i32 s12, s9, 0xffffe8d4
	ds_read2_b32 v[36:37], v36 offset1:1
	v_fma_f32 v20, -v6, v40, v20
	v_mov_b32_e32 v38, s12
	s_add_i32 s12, s9, 0xffffe8cc
	s_waitcnt lgkmcnt(1)
	v_fma_f32 v20, -v5, v43, v20
	v_mov_b32_e32 v40, s12
	s_add_i32 s12, s9, 0xffffe8c4
	v_fma_f32 v20, -v4, v42, v20
	v_mov_b32_e32 v42, s12
	ds_read2_b32 v[38:39], v38 offset1:1
	ds_read2_b32 v[40:41], v40 offset1:1
	;; [unrolled: 1-line block ×3, first 2 shown]
	s_waitcnt lgkmcnt(3)
	v_fma_f32 v20, -v11, v37, v20
	v_fma_f32 v20, -v10, v36, v20
	s_waitcnt lgkmcnt(2)
	v_fma_f32 v20, -v9, v39, v20
	s_add_i32 s12, s9, 0xffffe8bc
	v_fma_f32 v20, -v8, v38, v20
	v_mov_b32_e32 v36, s12
	s_waitcnt lgkmcnt(1)
	v_fma_f32 v20, -v15, v41, v20
	s_add_i32 s12, s9, 0xffffe8b4
	ds_read2_b32 v[36:37], v36 offset1:1
	v_fma_f32 v20, -v14, v40, v20
	v_mov_b32_e32 v38, s12
	s_add_i32 s12, s9, 0xffffe8ac
	s_waitcnt lgkmcnt(1)
	v_fma_f32 v20, -v13, v43, v20
	v_mov_b32_e32 v40, s12
	s_add_i32 s12, s7, 0xffffe8a4
	v_fma_f32 v20, -v12, v42, v20
	v_mov_b32_e32 v42, s12
	ds_read2_b32 v[38:39], v38 offset1:1
	ds_read2_b32 v[40:41], v40 offset1:1
	;; [unrolled: 1-line block ×3, first 2 shown]
	s_waitcnt lgkmcnt(3)
	v_fma_f32 v20, -v19, v37, v20
	v_fma_f32 v20, -v18, v36, v20
	s_waitcnt lgkmcnt(2)
	v_fma_f32 v20, -v17, v39, v20
	v_fma_f32 v20, -v16, v38, v20
	;; [unrolled: 3-line block ×3, first 2 shown]
	s_waitcnt lgkmcnt(0)
	v_fma_f32 v20, -v21, v43, v20
	s_add_i32 s12, s9, 0xffffe800
	v_mul_f32_e32 v20, v42, v20
	v_mov_b32_e32 v36, s12
	s_add_i32 s12, s9, 0xffffe7f8
	global_store_dwordx4 v[34:35], v[20:23], off offset:-92
	v_mov_b32_e32 v37, s12
	s_add_i32 s12, s9, 0xffffe7f0
	ds_read_b32 v42, v36
	ds_read2_b32 v[36:37], v37 offset1:1
	v_mov_b32_e32 v38, s12
	s_add_i32 s12, s9, 0xffffe7e8
	v_mov_b32_e32 v40, s12
	ds_read2_b32 v[38:39], v38 offset1:1
	ds_read2_b32 v[40:41], v40 offset1:1
	s_waitcnt lgkmcnt(3)
	v_fma_f32 v27, -v3, v42, v27
	s_waitcnt lgkmcnt(2)
	v_fma_f32 v27, -v2, v37, v27
	v_fma_f32 v27, -v1, v36, v27
	s_add_i32 s12, s9, 0xffffe7e0
	s_waitcnt lgkmcnt(1)
	v_fma_f32 v27, -v0, v39, v27
	v_mov_b32_e32 v36, s12
	v_fma_f32 v27, -v7, v38, v27
	s_add_i32 s12, s9, 0xffffe7d8
	ds_read2_b32 v[36:37], v36 offset1:1
	s_waitcnt lgkmcnt(1)
	v_fma_f32 v27, -v6, v41, v27
	v_mov_b32_e32 v38, s12
	s_add_i32 s12, s9, 0xffffe7d0
	v_fma_f32 v27, -v5, v40, v27
	v_mov_b32_e32 v40, s12
	s_add_i32 s12, s9, 0xffffe7c8
	v_mov_b32_e32 v42, s12
	ds_read2_b32 v[38:39], v38 offset1:1
	ds_read2_b32 v[40:41], v40 offset1:1
	;; [unrolled: 1-line block ×3, first 2 shown]
	s_waitcnt lgkmcnt(3)
	v_fma_f32 v27, -v4, v37, v27
	v_fma_f32 v27, -v11, v36, v27
	s_waitcnt lgkmcnt(2)
	v_fma_f32 v27, -v10, v39, v27
	s_add_i32 s12, s9, 0xffffe7c0
	v_fma_f32 v27, -v9, v38, v27
	v_mov_b32_e32 v36, s12
	s_waitcnt lgkmcnt(1)
	v_fma_f32 v27, -v8, v41, v27
	s_add_i32 s12, s9, 0xffffe7b8
	ds_read2_b32 v[36:37], v36 offset1:1
	v_fma_f32 v27, -v15, v40, v27
	v_mov_b32_e32 v38, s12
	s_add_i32 s12, s9, 0xffffe7b0
	s_waitcnt lgkmcnt(1)
	v_fma_f32 v27, -v14, v43, v27
	v_mov_b32_e32 v40, s12
	s_add_i32 s12, s9, 0xffffe7a8
	v_fma_f32 v27, -v13, v42, v27
	v_mov_b32_e32 v42, s12
	ds_read2_b32 v[38:39], v38 offset1:1
	ds_read2_b32 v[40:41], v40 offset1:1
	;; [unrolled: 1-line block ×3, first 2 shown]
	s_waitcnt lgkmcnt(3)
	v_fma_f32 v27, -v12, v37, v27
	v_fma_f32 v27, -v19, v36, v27
	s_waitcnt lgkmcnt(2)
	v_fma_f32 v27, -v18, v39, v27
	v_fma_f32 v27, -v17, v38, v27
	s_add_i32 s12, s7, 0xffffe7a0
	s_waitcnt lgkmcnt(1)
	v_fma_f32 v27, -v16, v41, v27
	v_mov_b32_e32 v36, s12
	s_add_i32 s12, s9, 0xffffe6fc
	v_fma_f32 v27, -v23, v40, v27
	v_mov_b32_e32 v38, s12
	s_add_i32 s12, s9, 0xffffe6f4
	s_waitcnt lgkmcnt(0)
	v_fma_f32 v27, -v22, v43, v27
	v_mov_b32_e32 v40, s12
	s_add_i32 s12, s9, 0xffffe6ec
	ds_read2_b32 v[36:37], v36 offset1:1
	v_fma_f32 v27, -v21, v42, v27
	v_mov_b32_e32 v42, s12
	ds_read2_b32 v[38:39], v38 offset1:1
	ds_read2_b32 v[40:41], v40 offset1:1
	ds_read2_b32 v[42:43], v42 offset1:1
	s_add_i32 s12, s9, 0xffffe6e4
	s_waitcnt lgkmcnt(3)
	v_fma_f32 v27, -v20, v37, v27
	s_waitcnt lgkmcnt(2)
	v_fma_f32 v26, -v3, v39, v26
	v_mul_f32_e32 v27, v36, v27
	v_fma_f32 v26, -v2, v38, v26
	v_mov_b32_e32 v36, s12
	s_waitcnt lgkmcnt(1)
	v_fma_f32 v26, -v1, v41, v26
	s_add_i32 s12, s9, 0xffffe6dc
	ds_read2_b32 v[36:37], v36 offset1:1
	v_fma_f32 v26, -v0, v40, v26
	v_mov_b32_e32 v38, s12
	s_add_i32 s12, s9, 0xffffe6d4
	s_waitcnt lgkmcnt(1)
	v_fma_f32 v26, -v7, v43, v26
	v_mov_b32_e32 v40, s12
	s_add_i32 s12, s9, 0xffffe6cc
	v_fma_f32 v26, -v6, v42, v26
	v_mov_b32_e32 v42, s12
	ds_read2_b32 v[38:39], v38 offset1:1
	ds_read2_b32 v[40:41], v40 offset1:1
	;; [unrolled: 1-line block ×3, first 2 shown]
	s_waitcnt lgkmcnt(3)
	v_fma_f32 v26, -v5, v37, v26
	v_fma_f32 v26, -v4, v36, v26
	s_waitcnt lgkmcnt(2)
	v_fma_f32 v26, -v11, v39, v26
	s_add_i32 s12, s9, 0xffffe6c4
	v_fma_f32 v26, -v10, v38, v26
	v_mov_b32_e32 v36, s12
	s_waitcnt lgkmcnt(1)
	v_fma_f32 v26, -v9, v41, v26
	s_add_i32 s12, s9, 0xffffe6bc
	ds_read2_b32 v[36:37], v36 offset1:1
	v_fma_f32 v26, -v8, v40, v26
	v_mov_b32_e32 v38, s12
	s_add_i32 s12, s9, 0xffffe6b4
	s_waitcnt lgkmcnt(1)
	v_fma_f32 v26, -v15, v43, v26
	v_mov_b32_e32 v40, s12
	s_add_i32 s12, s9, 0xffffe6ac
	v_fma_f32 v26, -v14, v42, v26
	v_mov_b32_e32 v42, s12
	ds_read2_b32 v[38:39], v38 offset1:1
	ds_read2_b32 v[40:41], v40 offset1:1
	;; [unrolled: 1-line block ×3, first 2 shown]
	s_waitcnt lgkmcnt(3)
	v_fma_f32 v26, -v13, v37, v26
	v_fma_f32 v26, -v12, v36, v26
	s_waitcnt lgkmcnt(2)
	v_fma_f32 v26, -v19, v39, v26
	s_add_i32 s12, s9, 0xffffe6a4
	v_fma_f32 v26, -v18, v38, v26
	v_mov_b32_e32 v36, s12
	s_add_i32 s12, s7, 0xffffe69c
	s_waitcnt lgkmcnt(1)
	v_fma_f32 v26, -v17, v41, v26
	v_mov_b32_e32 v38, s12
	s_add_i32 s12, s9, 0xffffe600
	ds_read2_b32 v[36:37], v36 offset1:1
	v_fma_f32 v26, -v16, v40, v26
	v_mov_b32_e32 v40, s12
	s_add_i32 s12, s9, 0xffffe5f8
	s_waitcnt lgkmcnt(1)
	v_fma_f32 v26, -v23, v43, v26
	v_mov_b32_e32 v41, s12
	v_fma_f32 v26, -v22, v42, v26
	ds_read2_b32 v[38:39], v38 offset1:1
	ds_read_b32 v42, v40
	ds_read2_b32 v[40:41], v41 offset1:1
	s_waitcnt lgkmcnt(3)
	v_fma_f32 v26, -v21, v37, v26
	s_add_i32 s12, s9, 0xffffe5f0
	v_fma_f32 v26, -v20, v36, v26
	v_mov_b32_e32 v36, s12
	s_waitcnt lgkmcnt(2)
	v_fma_f32 v26, -v27, v39, v26
	s_waitcnt lgkmcnt(1)
	v_fma_f32 v25, -v3, v42, v25
	s_add_i32 s12, s9, 0xffffe5e8
	ds_read2_b32 v[36:37], v36 offset1:1
	v_mul_f32_e32 v26, v38, v26
	s_waitcnt lgkmcnt(1)
	v_fma_f32 v25, -v2, v41, v25
	v_mov_b32_e32 v38, s12
	s_add_i32 s12, s9, 0xffffe5e0
	v_fma_f32 v25, -v1, v40, v25
	v_mov_b32_e32 v40, s12
	s_add_i32 s12, s9, 0xffffe5d8
	v_mov_b32_e32 v42, s12
	ds_read2_b32 v[38:39], v38 offset1:1
	ds_read2_b32 v[40:41], v40 offset1:1
	;; [unrolled: 1-line block ×3, first 2 shown]
	s_waitcnt lgkmcnt(3)
	v_fma_f32 v25, -v0, v37, v25
	v_fma_f32 v25, -v7, v36, v25
	s_waitcnt lgkmcnt(2)
	v_fma_f32 v25, -v6, v39, v25
	s_add_i32 s12, s9, 0xffffe5d0
	v_fma_f32 v25, -v5, v38, v25
	v_mov_b32_e32 v36, s12
	s_waitcnt lgkmcnt(1)
	v_fma_f32 v25, -v4, v41, v25
	s_add_i32 s12, s9, 0xffffe5c8
	ds_read2_b32 v[36:37], v36 offset1:1
	v_fma_f32 v25, -v11, v40, v25
	v_mov_b32_e32 v38, s12
	s_add_i32 s12, s9, 0xffffe5c0
	s_waitcnt lgkmcnt(1)
	v_fma_f32 v25, -v10, v43, v25
	v_mov_b32_e32 v40, s12
	s_add_i32 s12, s9, 0xffffe5b8
	v_fma_f32 v25, -v9, v42, v25
	v_mov_b32_e32 v42, s12
	ds_read2_b32 v[38:39], v38 offset1:1
	ds_read2_b32 v[40:41], v40 offset1:1
	;; [unrolled: 1-line block ×3, first 2 shown]
	s_waitcnt lgkmcnt(3)
	v_fma_f32 v25, -v8, v37, v25
	v_fma_f32 v25, -v15, v36, v25
	s_waitcnt lgkmcnt(2)
	v_fma_f32 v25, -v14, v39, v25
	s_add_i32 s12, s9, 0xffffe5b0
	v_fma_f32 v25, -v13, v38, v25
	v_mov_b32_e32 v36, s12
	s_waitcnt lgkmcnt(1)
	v_fma_f32 v25, -v12, v41, v25
	s_add_i32 s12, s9, 0xffffe5a8
	ds_read2_b32 v[36:37], v36 offset1:1
	v_fma_f32 v25, -v19, v40, v25
	v_mov_b32_e32 v38, s12
	s_add_i32 s12, s9, 0xffffe5a0
	s_waitcnt lgkmcnt(1)
	v_fma_f32 v25, -v18, v43, v25
	v_mov_b32_e32 v40, s12
	s_add_i32 s12, s7, 0xffffe598
	v_fma_f32 v25, -v17, v42, v25
	v_mov_b32_e32 v42, s12
	ds_read2_b32 v[38:39], v38 offset1:1
	ds_read2_b32 v[40:41], v40 offset1:1
	;; [unrolled: 1-line block ×3, first 2 shown]
	s_waitcnt lgkmcnt(3)
	v_fma_f32 v25, -v16, v37, v25
	v_fma_f32 v25, -v23, v36, v25
	s_waitcnt lgkmcnt(2)
	v_fma_f32 v25, -v22, v39, v25
	s_add_i32 s12, s9, 0xffffe4fc
	v_fma_f32 v25, -v21, v38, v25
	v_mov_b32_e32 v36, s12
	s_waitcnt lgkmcnt(1)
	v_fma_f32 v25, -v20, v41, v25
	s_add_i32 s12, s9, 0xffffe4f4
	ds_read2_b32 v[36:37], v36 offset1:1
	v_fma_f32 v25, -v27, v40, v25
	v_mov_b32_e32 v38, s12
	s_add_i32 s12, s9, 0xffffe4ec
	s_waitcnt lgkmcnt(1)
	v_fma_f32 v25, -v26, v43, v25
	v_mov_b32_e32 v40, s12
	s_add_i32 s12, s9, 0xffffe4e4
	v_mul_f32_e32 v25, v42, v25
	v_mov_b32_e32 v42, s12
	ds_read2_b32 v[38:39], v38 offset1:1
	ds_read2_b32 v[40:41], v40 offset1:1
	;; [unrolled: 1-line block ×3, first 2 shown]
	s_waitcnt lgkmcnt(3)
	v_fma_f32 v24, -v3, v37, v24
	v_fma_f32 v24, -v2, v36, v24
	s_waitcnt lgkmcnt(2)
	v_fma_f32 v24, -v1, v39, v24
	s_add_i32 s12, s9, 0xffffe4dc
	v_fma_f32 v24, -v0, v38, v24
	v_mov_b32_e32 v36, s12
	s_waitcnt lgkmcnt(1)
	v_fma_f32 v24, -v7, v41, v24
	s_add_i32 s12, s9, 0xffffe4d4
	ds_read2_b32 v[36:37], v36 offset1:1
	v_fma_f32 v24, -v6, v40, v24
	v_mov_b32_e32 v38, s12
	s_add_i32 s12, s9, 0xffffe4cc
	s_waitcnt lgkmcnt(1)
	v_fma_f32 v24, -v5, v43, v24
	v_mov_b32_e32 v40, s12
	s_add_i32 s12, s9, 0xffffe4c4
	v_fma_f32 v24, -v4, v42, v24
	v_mov_b32_e32 v42, s12
	ds_read2_b32 v[38:39], v38 offset1:1
	ds_read2_b32 v[40:41], v40 offset1:1
	;; [unrolled: 1-line block ×3, first 2 shown]
	s_waitcnt lgkmcnt(3)
	v_fma_f32 v24, -v11, v37, v24
	v_fma_f32 v24, -v10, v36, v24
	s_waitcnt lgkmcnt(2)
	v_fma_f32 v24, -v9, v39, v24
	s_add_i32 s12, s9, 0xffffe4bc
	v_fma_f32 v24, -v8, v38, v24
	v_mov_b32_e32 v36, s12
	s_waitcnt lgkmcnt(1)
	v_fma_f32 v24, -v15, v41, v24
	s_add_i32 s12, s9, 0xffffe4b4
	ds_read2_b32 v[36:37], v36 offset1:1
	v_fma_f32 v24, -v14, v40, v24
	v_mov_b32_e32 v38, s12
	s_add_i32 s12, s9, 0xffffe4ac
	s_waitcnt lgkmcnt(1)
	v_fma_f32 v24, -v13, v43, v24
	v_mov_b32_e32 v40, s12
	s_add_i32 s12, s9, 0xffffe4a4
	v_fma_f32 v24, -v12, v42, v24
	v_mov_b32_e32 v42, s12
	ds_read2_b32 v[38:39], v38 offset1:1
	ds_read2_b32 v[40:41], v40 offset1:1
	;; [unrolled: 1-line block ×3, first 2 shown]
	s_waitcnt lgkmcnt(3)
	v_fma_f32 v24, -v19, v37, v24
	v_fma_f32 v24, -v18, v36, v24
	s_waitcnt lgkmcnt(2)
	v_fma_f32 v24, -v17, v39, v24
	s_add_i32 s12, s9, 0xffffe49c
	v_fma_f32 v24, -v16, v38, v24
	v_mov_b32_e32 v36, s12
	s_add_i32 s12, s7, 0xffffe494
	s_waitcnt lgkmcnt(1)
	v_fma_f32 v24, -v23, v41, v24
	v_mov_b32_e32 v38, s12
	s_add_i32 s12, s9, 0xffffe400
	ds_read2_b32 v[36:37], v36 offset1:1
	v_fma_f32 v24, -v22, v40, v24
	v_mov_b32_e32 v40, s12
	s_add_i32 s12, s9, 0xffffe3f8
	s_waitcnt lgkmcnt(1)
	v_fma_f32 v24, -v21, v43, v24
	v_mov_b32_e32 v41, s12
	v_fma_f32 v24, -v20, v42, v24
	ds_read2_b32 v[38:39], v38 offset1:1
	ds_read_b32 v42, v40
	ds_read2_b32 v[40:41], v41 offset1:1
	s_waitcnt lgkmcnt(3)
	v_fma_f32 v24, -v27, v37, v24
	s_add_i32 s12, s9, 0xffffe3f0
	v_fma_f32 v24, -v26, v36, v24
	v_mov_b32_e32 v36, s12
	s_waitcnt lgkmcnt(2)
	v_fma_f32 v24, -v25, v39, v24
	s_waitcnt lgkmcnt(1)
	v_fma_f32 v31, -v3, v42, v31
	s_add_i32 s12, s9, 0xffffe3e8
	ds_read2_b32 v[36:37], v36 offset1:1
	v_mul_f32_e32 v24, v38, v24
	s_waitcnt lgkmcnt(1)
	v_fma_f32 v31, -v2, v41, v31
	v_mov_b32_e32 v38, s12
	s_add_i32 s12, s9, 0xffffe3e0
	v_fma_f32 v31, -v1, v40, v31
	v_mov_b32_e32 v40, s12
	s_add_i32 s12, s9, 0xffffe3d8
	global_store_dwordx4 v[34:35], v[24:27], off offset:-108
	v_mov_b32_e32 v42, s12
	ds_read2_b32 v[38:39], v38 offset1:1
	ds_read2_b32 v[40:41], v40 offset1:1
	;; [unrolled: 1-line block ×3, first 2 shown]
	s_waitcnt lgkmcnt(3)
	v_fma_f32 v31, -v0, v37, v31
	v_fma_f32 v31, -v7, v36, v31
	s_waitcnt lgkmcnt(2)
	v_fma_f32 v31, -v6, v39, v31
	s_add_i32 s12, s9, 0xffffe3d0
	v_fma_f32 v31, -v5, v38, v31
	v_mov_b32_e32 v36, s12
	s_waitcnt lgkmcnt(1)
	v_fma_f32 v31, -v4, v41, v31
	s_add_i32 s12, s9, 0xffffe3c8
	ds_read2_b32 v[36:37], v36 offset1:1
	v_fma_f32 v31, -v11, v40, v31
	v_mov_b32_e32 v38, s12
	s_add_i32 s12, s9, 0xffffe3c0
	s_waitcnt lgkmcnt(1)
	v_fma_f32 v31, -v10, v43, v31
	v_mov_b32_e32 v40, s12
	s_add_i32 s12, s9, 0xffffe3b8
	v_fma_f32 v31, -v9, v42, v31
	v_mov_b32_e32 v42, s12
	ds_read2_b32 v[38:39], v38 offset1:1
	ds_read2_b32 v[40:41], v40 offset1:1
	;; [unrolled: 1-line block ×3, first 2 shown]
	s_waitcnt lgkmcnt(3)
	v_fma_f32 v31, -v8, v37, v31
	v_fma_f32 v31, -v15, v36, v31
	s_waitcnt lgkmcnt(2)
	v_fma_f32 v31, -v14, v39, v31
	s_add_i32 s12, s9, 0xffffe3b0
	v_fma_f32 v31, -v13, v38, v31
	v_mov_b32_e32 v36, s12
	s_waitcnt lgkmcnt(1)
	v_fma_f32 v31, -v12, v41, v31
	s_add_i32 s12, s9, 0xffffe3a8
	ds_read2_b32 v[36:37], v36 offset1:1
	v_fma_f32 v31, -v19, v40, v31
	v_mov_b32_e32 v38, s12
	s_add_i32 s12, s9, 0xffffe3a0
	s_waitcnt lgkmcnt(1)
	v_fma_f32 v31, -v18, v43, v31
	v_mov_b32_e32 v40, s12
	s_add_i32 s12, s9, 0xffffe398
	v_fma_f32 v31, -v17, v42, v31
	v_mov_b32_e32 v42, s12
	ds_read2_b32 v[38:39], v38 offset1:1
	ds_read2_b32 v[40:41], v40 offset1:1
	;; [unrolled: 1-line block ×3, first 2 shown]
	s_waitcnt lgkmcnt(3)
	v_fma_f32 v31, -v16, v37, v31
	v_fma_f32 v31, -v23, v36, v31
	s_waitcnt lgkmcnt(2)
	v_fma_f32 v31, -v22, v39, v31
	v_fma_f32 v31, -v21, v38, v31
	s_add_i32 s12, s7, 0xffffe390
	s_waitcnt lgkmcnt(1)
	v_fma_f32 v31, -v20, v41, v31
	v_mov_b32_e32 v36, s12
	s_add_i32 s12, s9, 0xffffe2fc
	v_fma_f32 v31, -v27, v40, v31
	v_mov_b32_e32 v38, s12
	s_add_i32 s12, s9, 0xffffe2f4
	s_waitcnt lgkmcnt(0)
	v_fma_f32 v31, -v26, v43, v31
	v_mov_b32_e32 v40, s12
	s_add_i32 s12, s9, 0xffffe2ec
	ds_read2_b32 v[36:37], v36 offset1:1
	v_fma_f32 v31, -v25, v42, v31
	v_mov_b32_e32 v42, s12
	ds_read2_b32 v[38:39], v38 offset1:1
	ds_read2_b32 v[40:41], v40 offset1:1
	;; [unrolled: 1-line block ×3, first 2 shown]
	s_add_i32 s12, s9, 0xffffe2e4
	s_waitcnt lgkmcnt(3)
	v_fma_f32 v31, -v24, v37, v31
	s_waitcnt lgkmcnt(2)
	v_fma_f32 v30, -v3, v39, v30
	v_mul_f32_e32 v31, v36, v31
	v_fma_f32 v30, -v2, v38, v30
	v_mov_b32_e32 v36, s12
	s_waitcnt lgkmcnt(1)
	v_fma_f32 v30, -v1, v41, v30
	s_add_i32 s12, s9, 0xffffe2dc
	ds_read2_b32 v[36:37], v36 offset1:1
	v_fma_f32 v30, -v0, v40, v30
	v_mov_b32_e32 v38, s12
	s_add_i32 s12, s9, 0xffffe2d4
	s_waitcnt lgkmcnt(1)
	v_fma_f32 v30, -v7, v43, v30
	v_mov_b32_e32 v40, s12
	s_add_i32 s12, s9, 0xffffe2cc
	v_fma_f32 v30, -v6, v42, v30
	v_mov_b32_e32 v42, s12
	ds_read2_b32 v[38:39], v38 offset1:1
	ds_read2_b32 v[40:41], v40 offset1:1
	;; [unrolled: 1-line block ×3, first 2 shown]
	s_waitcnt lgkmcnt(3)
	v_fma_f32 v30, -v5, v37, v30
	v_fma_f32 v30, -v4, v36, v30
	s_waitcnt lgkmcnt(2)
	v_fma_f32 v30, -v11, v39, v30
	s_add_i32 s12, s9, 0xffffe2c4
	v_fma_f32 v30, -v10, v38, v30
	v_mov_b32_e32 v36, s12
	s_waitcnt lgkmcnt(1)
	v_fma_f32 v30, -v9, v41, v30
	s_add_i32 s12, s9, 0xffffe2bc
	ds_read2_b32 v[36:37], v36 offset1:1
	v_fma_f32 v30, -v8, v40, v30
	v_mov_b32_e32 v38, s12
	s_add_i32 s12, s9, 0xffffe2b4
	s_waitcnt lgkmcnt(1)
	v_fma_f32 v30, -v15, v43, v30
	v_mov_b32_e32 v40, s12
	s_add_i32 s12, s9, 0xffffe2ac
	v_fma_f32 v30, -v14, v42, v30
	v_mov_b32_e32 v42, s12
	ds_read2_b32 v[38:39], v38 offset1:1
	ds_read2_b32 v[40:41], v40 offset1:1
	;; [unrolled: 1-line block ×3, first 2 shown]
	s_waitcnt lgkmcnt(3)
	v_fma_f32 v30, -v13, v37, v30
	v_fma_f32 v30, -v12, v36, v30
	s_waitcnt lgkmcnt(2)
	v_fma_f32 v30, -v19, v39, v30
	s_add_i32 s12, s9, 0xffffe2a4
	v_fma_f32 v30, -v18, v38, v30
	v_mov_b32_e32 v36, s12
	s_waitcnt lgkmcnt(1)
	v_fma_f32 v30, -v17, v41, v30
	s_add_i32 s12, s9, 0xffffe29c
	ds_read2_b32 v[36:37], v36 offset1:1
	v_fma_f32 v30, -v16, v40, v30
	v_mov_b32_e32 v38, s12
	s_add_i32 s12, s9, 0xffffe294
	s_waitcnt lgkmcnt(1)
	v_fma_f32 v30, -v23, v43, v30
	v_mov_b32_e32 v40, s12
	s_add_i32 s12, s7, 0xffffe28c
	v_fma_f32 v30, -v22, v42, v30
	v_mov_b32_e32 v42, s12
	ds_read2_b32 v[38:39], v38 offset1:1
	ds_read2_b32 v[40:41], v40 offset1:1
	;; [unrolled: 1-line block ×3, first 2 shown]
	s_waitcnt lgkmcnt(3)
	v_fma_f32 v30, -v21, v37, v30
	v_fma_f32 v30, -v20, v36, v30
	s_waitcnt lgkmcnt(2)
	v_fma_f32 v30, -v27, v39, v30
	v_fma_f32 v30, -v26, v38, v30
	s_waitcnt lgkmcnt(1)
	v_fma_f32 v30, -v25, v41, v30
	s_add_i32 s12, s9, 0xffffe200
	v_fma_f32 v30, -v24, v40, v30
	v_mov_b32_e32 v36, s12
	s_add_i32 s12, s9, 0xffffe1f8
	s_waitcnt lgkmcnt(0)
	v_fma_f32 v30, -v31, v43, v30
	v_mov_b32_e32 v37, s12
	v_mul_f32_e32 v30, v42, v30
	s_add_i32 s12, s9, 0xffffe1f0
	ds_read_b32 v42, v36
	ds_read2_b32 v[36:37], v37 offset1:1
	v_mov_b32_e32 v38, s12
	s_add_i32 s12, s9, 0xffffe1e8
	v_mov_b32_e32 v40, s12
	ds_read2_b32 v[38:39], v38 offset1:1
	ds_read2_b32 v[40:41], v40 offset1:1
	s_waitcnt lgkmcnt(3)
	v_fma_f32 v29, -v3, v42, v29
	s_waitcnt lgkmcnt(2)
	v_fma_f32 v29, -v2, v37, v29
	v_fma_f32 v29, -v1, v36, v29
	s_add_i32 s12, s9, 0xffffe1e0
	s_waitcnt lgkmcnt(1)
	v_fma_f32 v29, -v0, v39, v29
	v_mov_b32_e32 v36, s12
	v_fma_f32 v29, -v7, v38, v29
	s_add_i32 s12, s9, 0xffffe1d8
	ds_read2_b32 v[36:37], v36 offset1:1
	s_waitcnt lgkmcnt(1)
	v_fma_f32 v29, -v6, v41, v29
	v_mov_b32_e32 v38, s12
	s_add_i32 s12, s9, 0xffffe1d0
	v_fma_f32 v29, -v5, v40, v29
	v_mov_b32_e32 v40, s12
	s_add_i32 s12, s9, 0xffffe1c8
	v_mov_b32_e32 v42, s12
	ds_read2_b32 v[38:39], v38 offset1:1
	ds_read2_b32 v[40:41], v40 offset1:1
	ds_read2_b32 v[42:43], v42 offset1:1
	s_waitcnt lgkmcnt(3)
	v_fma_f32 v29, -v4, v37, v29
	v_fma_f32 v29, -v11, v36, v29
	s_waitcnt lgkmcnt(2)
	v_fma_f32 v29, -v10, v39, v29
	s_add_i32 s12, s9, 0xffffe1c0
	v_fma_f32 v29, -v9, v38, v29
	v_mov_b32_e32 v36, s12
	s_waitcnt lgkmcnt(1)
	v_fma_f32 v29, -v8, v41, v29
	s_add_i32 s12, s9, 0xffffe1b8
	ds_read2_b32 v[36:37], v36 offset1:1
	v_fma_f32 v29, -v15, v40, v29
	v_mov_b32_e32 v38, s12
	s_add_i32 s12, s9, 0xffffe1b0
	s_waitcnt lgkmcnt(1)
	v_fma_f32 v29, -v14, v43, v29
	v_mov_b32_e32 v40, s12
	s_add_i32 s12, s9, 0xffffe1a8
	v_fma_f32 v29, -v13, v42, v29
	v_mov_b32_e32 v42, s12
	ds_read2_b32 v[38:39], v38 offset1:1
	ds_read2_b32 v[40:41], v40 offset1:1
	;; [unrolled: 1-line block ×3, first 2 shown]
	s_waitcnt lgkmcnt(3)
	v_fma_f32 v29, -v12, v37, v29
	v_fma_f32 v29, -v19, v36, v29
	s_waitcnt lgkmcnt(2)
	v_fma_f32 v29, -v18, v39, v29
	s_add_i32 s12, s9, 0xffffe1a0
	v_fma_f32 v29, -v17, v38, v29
	v_mov_b32_e32 v36, s12
	s_waitcnt lgkmcnt(1)
	v_fma_f32 v29, -v16, v41, v29
	ds_read2_b32 v[36:37], v36 offset1:1
	v_fma_f32 v29, -v23, v40, v29
	s_add_i32 s12, s9, 0xffffe198
	s_addk_i32 s9, 0xe190
	s_waitcnt lgkmcnt(1)
	v_fma_f32 v29, -v22, v43, v29
	v_mov_b32_e32 v40, s9
	s_add_i32 s9, s7, 0xffffe188
	v_fma_f32 v29, -v21, v42, v29
	v_mov_b32_e32 v38, s12
	v_mov_b32_e32 v42, s9
	s_sub_i32 s9, s8, 31
	ds_read2_b32 v[38:39], v38 offset1:1
	ds_read2_b32 v[40:41], v40 offset1:1
	ds_read2_b32 v[42:43], v42 offset1:1
	s_lshl_b32 s9, s9, 6
	s_waitcnt lgkmcnt(3)
	v_fma_f32 v29, -v20, v37, v29
	s_add_i32 s9, s9, s8
	v_fma_f32 v29, -v27, v36, v29
	s_lshl_b32 s9, s9, 2
	s_waitcnt lgkmcnt(2)
	v_fma_f32 v29, -v26, v39, v29
	s_add_i32 s12, s9, -4
	v_fma_f32 v29, -v25, v38, v29
	v_mov_b32_e32 v36, s12
	s_waitcnt lgkmcnt(1)
	v_fma_f32 v29, -v24, v41, v29
	s_add_i32 s12, s9, -12
	ds_read2_b32 v[36:37], v36 offset1:1
	v_fma_f32 v29, -v31, v40, v29
	v_mov_b32_e32 v38, s12
	s_sub_i32 s12, s9, 20
	s_waitcnt lgkmcnt(1)
	v_fma_f32 v29, -v30, v43, v29
	v_mov_b32_e32 v40, s12
	s_sub_i32 s12, s9, 28
	v_mul_f32_e32 v29, v42, v29
	v_mov_b32_e32 v42, s12
	ds_read2_b32 v[38:39], v38 offset1:1
	ds_read2_b32 v[40:41], v40 offset1:1
	;; [unrolled: 1-line block ×3, first 2 shown]
	s_waitcnt lgkmcnt(3)
	v_fma_f32 v3, -v3, v37, v28
	v_fma_f32 v2, -v2, v36, v3
	s_waitcnt lgkmcnt(2)
	v_fma_f32 v1, -v1, v39, v2
	v_fma_f32 v0, -v0, v38, v1
	;; [unrolled: 3-line block ×3, first 2 shown]
	s_waitcnt lgkmcnt(0)
	v_fma_f32 v0, -v5, v43, v0
	s_sub_i32 s12, s9, 36
	v_fma_f32 v28, -v4, v42, v0
	v_mov_b32_e32 v0, s12
	s_sub_i32 s12, s9, 44
	ds_read2_b32 v[0:1], v0 offset1:1
	v_mov_b32_e32 v2, s12
	s_sub_i32 s12, s9, 52
	v_mov_b32_e32 v4, s12
	s_sub_i32 s12, s9, 60
	v_mov_b32_e32 v6, s12
	ds_read2_b32 v[2:3], v2 offset1:1
	ds_read2_b32 v[4:5], v4 offset1:1
	;; [unrolled: 1-line block ×3, first 2 shown]
	s_waitcnt lgkmcnt(3)
	v_fma_f32 v1, -v11, v1, v28
	v_fma_f32 v0, -v10, v0, v1
	s_waitcnt lgkmcnt(2)
	v_fma_f32 v0, -v9, v3, v0
	v_fma_f32 v0, -v8, v2, v0
	;; [unrolled: 3-line block ×3, first 2 shown]
	s_waitcnt lgkmcnt(0)
	v_fma_f32 v0, -v13, v7, v0
	s_add_i32 s12, s9, 0xffffffbc
	v_fma_f32 v8, -v12, v6, v0
	v_mov_b32_e32 v0, s12
	s_add_i32 s12, s9, 0xffffffb4
	ds_read2_b32 v[0:1], v0 offset1:1
	v_mov_b32_e32 v2, s12
	s_add_i32 s12, s9, 0xffffffac
	v_mov_b32_e32 v4, s12
	s_add_i32 s12, s9, 0xffffffa4
	v_mov_b32_e32 v6, s12
	ds_read2_b32 v[2:3], v2 offset1:1
	ds_read2_b32 v[4:5], v4 offset1:1
	;; [unrolled: 1-line block ×3, first 2 shown]
	s_waitcnt lgkmcnt(3)
	v_fma_f32 v1, -v19, v1, v8
	v_fma_f32 v0, -v18, v0, v1
	s_waitcnt lgkmcnt(2)
	v_fma_f32 v0, -v17, v3, v0
	v_fma_f32 v0, -v16, v2, v0
	;; [unrolled: 3-line block ×3, first 2 shown]
	s_waitcnt lgkmcnt(0)
	v_fma_f32 v0, -v21, v7, v0
	s_add_i32 s12, s9, 0xffffff9c
	v_fma_f32 v8, -v20, v6, v0
	v_mov_b32_e32 v0, s12
	ds_read2_b32 v[0:1], v0 offset1:1
	s_add_i32 s12, s9, 0xffffff94
	s_addk_i32 s9, 0xff8c
	s_addk_i32 s7, 0xe084
	v_mov_b32_e32 v2, s12
	v_mov_b32_e32 v4, s9
	v_mov_b32_e32 v6, s7
	ds_read2_b32 v[2:3], v2 offset1:1
	ds_read2_b32 v[4:5], v4 offset1:1
	;; [unrolled: 1-line block ×3, first 2 shown]
	s_waitcnt lgkmcnt(3)
	v_fma_f32 v1, -v27, v1, v8
	v_fma_f32 v0, -v26, v0, v1
	s_waitcnt lgkmcnt(2)
	v_fma_f32 v0, -v25, v3, v0
	v_fma_f32 v0, -v24, v2, v0
	;; [unrolled: 3-line block ×3, first 2 shown]
	s_waitcnt lgkmcnt(0)
	v_fma_f32 v0, -v29, v7, v0
	s_sub_i32 s12, s8, 32
	s_addk_i32 s11, 0xe000
	v_mul_f32_e32 v28, v6, v0
	s_cmp_gt_i32 s8, 62
	global_store_dwordx4 v[34:35], v[28:31], off offset:-124
	s_cbranch_scc0 .LBB44_23
; %bb.22:                               ;   in Loop: Header=BB44_19 Depth=1
	s_mov_b32 s8, s12
	s_branch .LBB44_19
.LBB44_23:
	s_cmp_gt_i32 s12, -1
	s_cbranch_scc0 .LBB44_48
; %bb.24:
	s_cmp_lt_u32 s12, 3
	s_cbranch_scc1 .LBB44_30
; %bb.25:
	s_lshl_b32 s7, s12, 8
	s_lshl_b32 s8, s26, 2
	s_add_i32 s7, s7, s8
	s_add_i32 s8, s7, 0xfffffcfc
	s_ashr_i32 s7, s6, 31
	s_lshl_b64 s[14:15], s[6:7], 2
	s_add_u32 s7, s2, s14
	s_addc_u32 s9, s3, s15
	s_add_u32 s7, s7, s4
	s_addc_u32 s9, s9, s5
	;; [unrolled: 2-line block ×3, first 2 shown]
	v_mov_b32_e32 v1, s9
	v_add_co_u32_e32 v0, vcc, s7, v70
	s_mov_b32 s17, s16
	v_addc_co_u32_e32 v1, vcc, v1, v71, vcc
	s_mov_b32 s13, 0
.LBB44_26:                              ; =>This Loop Header: Depth=1
                                        ;     Child Loop BB44_27 Depth 2
	s_lshl_b64 s[14:15], s[12:13], 2
	v_mov_b32_e32 v3, s15
	v_add_co_u32_e32 v2, vcc, s14, v106
	v_addc_co_u32_e32 v3, vcc, v107, v3, vcc
	global_load_dwordx4 v[2:5], v[2:3], off offset:-12
	v_pk_mov_b32 v[6:7], v[0:1], v[0:1] op_sel:[0,1]
	s_mov_b32 s7, s8
	s_cmp_le_i32 s6, s12
	s_mov_b32 s9, s6
	s_waitcnt vmcnt(0)
	v_pk_mul_f32 v[4:5], v[4:5], s[16:17]
	v_pk_mul_f32 v[2:3], v[2:3], s[16:17]
	s_cbranch_scc1 .LBB44_28
.LBB44_27:                              ;   Parent Loop BB44_26 Depth=1
                                        ; =>  This Inner Loop Header: Depth=2
	global_load_dword v8, v[6:7], off
	v_mov_b32_e32 v9, s7
	ds_read2st64_b32 v[10:11], v9 offset0:2 offset1:3
	ds_read2st64_b32 v[12:13], v9 offset1:1
	s_add_i32 s9, s9, -1
	s_add_i32 s7, s7, -4
	v_add_co_u32_e32 v6, vcc, -4, v6
	v_addc_co_u32_e32 v7, vcc, -1, v7, vcc
	s_cmp_gt_i32 s9, s12
	s_waitcnt vmcnt(0) lgkmcnt(1)
	v_pk_fma_f32 v[4:5], v[8:9], v[10:11], v[4:5] op_sel_hi:[0,1,1] neg_lo:[1,0,0] neg_hi:[1,0,0]
	s_waitcnt lgkmcnt(0)
	v_pk_fma_f32 v[2:3], v[8:9], v[12:13], v[2:3] op_sel_hi:[0,1,1] neg_lo:[1,0,0] neg_hi:[1,0,0]
	s_cbranch_scc1 .LBB44_27
.LBB44_28:                              ;   in Loop: Header=BB44_26 Depth=1
	s_mul_i32 s7, s12, 0x104
	s_add_i32 s9, s7, 0xfffffefc
	v_mov_b32_e32 v7, s9
	s_lshl_b32 s9, s12, 6
	s_add_i32 s9, s9, s12
	v_mov_b32_e32 v6, s7
	s_lshl_b32 s9, s9, 2
	s_add_i32 s11, s9, 0xfffffe00
	ds_read_b32 v10, v6
	v_mov_b32_e32 v8, s11
	s_add_i32 s11, s7, 0xfffffdf8
	v_mov_b32_e32 v9, s11
	ds_read2_b32 v[6:7], v7 offset1:1
	ds_read_b32 v12, v8
	ds_read2_b32 v[8:9], v9 offset1:1
	s_waitcnt lgkmcnt(3)
	v_mul_f32_e32 v5, v10, v5
	s_addk_i32 s9, 0xfcfc
	s_waitcnt lgkmcnt(2)
	v_fma_f32 v4, -v5, v7, v4
	v_mul_f32_e32 v4, v6, v4
	v_mov_b32_e32 v6, s9
	s_addk_i32 s7, 0xfcf4
	ds_read2_b32 v[6:7], v6 offset1:1
	s_waitcnt lgkmcnt(2)
	v_fma_f32 v3, -v5, v12, v3
	v_mov_b32_e32 v12, s7
	ds_read2_b32 v[12:13], v12 offset1:1
	s_ashr_i32 s15, s12, 31
	s_mov_b32 s14, s12
	s_waitcnt lgkmcnt(2)
	v_fma_f32 v3, -v4, v9, v3
	s_waitcnt lgkmcnt(1)
	v_fma_f32 v2, -v5, v7, v2
	s_lshl_b64 s[14:15], s[14:15], 2
	v_mul_f32_e32 v3, v8, v3
	v_fma_f32 v2, -v4, v6, v2
	v_mov_b32_e32 v11, s15
	v_add_co_u32_e32 v10, vcc, s14, v106
	s_waitcnt lgkmcnt(0)
	v_fma_f32 v2, -v3, v13, v2
	s_add_i32 s11, s12, -4
	s_addk_i32 s8, 0xfc00
	v_addc_co_u32_e32 v11, vcc, v107, v11, vcc
	v_mul_f32_e32 v2, v12, v2
	s_cmp_gt_i32 s12, 6
	global_store_dwordx4 v[10:11], v[2:5], off offset:-12
	s_cbranch_scc0 .LBB44_31
; %bb.29:                               ;   in Loop: Header=BB44_26 Depth=1
	s_mov_b32 s12, s11
	s_branch .LBB44_26
.LBB44_30:
	s_mov_b32 s11, s12
.LBB44_31:
	s_cmp_lt_i32 s11, 0
	s_cbranch_scc1 .LBB44_48
; %bb.32:
	s_add_i32 s7, s11, 1
	s_and_b32 s12, s7, 3
	s_cmp_eq_u32 s12, 0
	s_mov_b32 s8, s11
	s_cbranch_scc1 .LBB44_37
; %bb.33:
	s_lshl_b32 s7, s11, 8
	s_lshl_b32 s8, s26, 2
	s_add_i32 s7, s7, s8
	s_add_i32 s13, s7, -4
	s_ashr_i32 s7, s6, 31
	s_lshl_b64 s[8:9], s[6:7], 2
	s_add_u32 s7, s2, s8
	s_addc_u32 s8, s3, s9
	s_add_u32 s7, s7, s4
	s_addc_u32 s8, s8, s5
	;; [unrolled: 2-line block ×3, first 2 shown]
	v_mov_b32_e32 v1, s8
	v_add_co_u32_e32 v0, vcc, s7, v70
	s_mov_b32 s9, 0
	v_addc_co_u32_e32 v1, vcc, v1, v71, vcc
	s_mov_b32 s8, s11
	s_mov_b32 s7, s9
	s_branch .LBB44_35
.LBB44_34:                              ;   in Loop: Header=BB44_35 Depth=1
	s_mul_i32 s14, s8, 0x104
	v_mov_b32_e32 v2, s14
	ds_read_b32 v2, v2
	s_ashr_i32 s15, s8, 31
	s_mov_b32 s14, s8
	s_lshl_b64 s[14:15], s[14:15], 2
	v_mov_b32_e32 v3, s15
	s_waitcnt lgkmcnt(0)
	v_mul_f32_e32 v4, v2, v4
	v_add_co_u32_e32 v2, vcc, s14, v106
	s_add_i32 s8, s8, -1
	s_add_i32 s7, s7, 1
	s_addk_i32 s13, 0xff00
	v_addc_co_u32_e32 v3, vcc, v107, v3, vcc
	s_cmp_lg_u32 s7, s12
	global_store_dword v[2:3], v4, off
	s_cbranch_scc0 .LBB44_37
.LBB44_35:                              ; =>This Loop Header: Depth=1
                                        ;     Child Loop BB44_36 Depth 2
	s_lshl_b64 s[14:15], s[8:9], 2
	v_mov_b32_e32 v3, s15
	v_add_co_u32_e32 v2, vcc, s14, v106
	v_addc_co_u32_e32 v3, vcc, v107, v3, vcc
	global_load_dword v4, v[2:3], off
	v_pk_mov_b32 v[2:3], v[0:1], v[0:1] op_sel:[0,1]
	s_mov_b32 s14, s13
	s_cmp_le_i32 s6, s8
	s_mov_b32 s15, s6
	s_waitcnt vmcnt(0)
	v_mul_f32_e32 v4, s16, v4
	s_cbranch_scc1 .LBB44_34
.LBB44_36:                              ;   Parent Loop BB44_35 Depth=1
                                        ; =>  This Inner Loop Header: Depth=2
	global_load_dword v5, v[2:3], off
	v_mov_b32_e32 v6, s14
	ds_read_b32 v6, v6
	s_add_i32 s15, s15, -1
	s_add_i32 s14, s14, -4
	v_add_co_u32_e32 v2, vcc, -4, v2
	v_addc_co_u32_e32 v3, vcc, -1, v3, vcc
	s_cmp_gt_i32 s15, s8
	s_waitcnt vmcnt(0) lgkmcnt(0)
	v_fma_f32 v4, -v5, v6, v4
	s_cbranch_scc1 .LBB44_36
	s_branch .LBB44_34
.LBB44_37:
	s_cmp_lt_u32 s11, 3
	s_cbranch_scc1 .LBB44_48
; %bb.38:
	s_lshl_b32 s7, s8, 8
	s_lshl_b32 s9, s26, 2
	s_add_i32 s15, s7, s9
	s_add_i32 s14, s15, -4
	s_add_u32 s7, s4, s0
	s_addc_u32 s9, s5, s1
	v_add_co_u32_e32 v2, vcc, s7, v70
	s_ashr_i32 s7, s6, 31
	s_lshl_b64 s[12:13], s[6:7], 2
	v_mov_b32_e32 v0, s9
	s_add_u32 s7, s2, s12
	v_addc_co_u32_e32 v3, vcc, v0, v71, vcc
	s_addc_u32 s9, s3, s13
	s_ashr_i32 s11, s10, 31
	v_add_co_u32_e32 v0, vcc, s7, v2
	s_add_i32 s7, s15, 0xfffffefc
	v_cmp_lt_i64_e64 s[12:13], s[10:11], 64
	s_and_b64 s[12:13], s[12:13], exec
	s_cselect_b32 s13, s11, 0
	s_cselect_b32 s12, s10, 64
	s_lshl_b64 s[12:13], s[12:13], 2
	v_mov_b32_e32 v1, s9
	s_add_u32 s11, s2, s12
	v_addc_co_u32_e32 v1, vcc, v1, v3, vcc
	s_addc_u32 s12, s3, s13
	v_mov_b32_e32 v4, s12
	v_add_co_u32_e32 v2, vcc, s11, v2
	v_addc_co_u32_e32 v3, vcc, v4, v3, vcc
	v_add_co_u32_e32 v2, vcc, -4, v2
	s_mov_b32 s9, 0
	v_addc_co_u32_e32 v3, vcc, -1, v3, vcc
	s_add_i32 s11, s15, 0xfffffdfc
	s_addk_i32 s15, 0xfcfc
	s_branch .LBB44_40
.LBB44_39:                              ;   in Loop: Header=BB44_40 Depth=1
	s_add_i32 s12, s13, 0xfffffefc
	v_mov_b32_e32 v6, s12
	ds_read_b32 v6, v6
	s_add_i32 s12, s8, -4
	s_addk_i32 s14, 0xfc00
	s_addk_i32 s7, 0xfc00
	;; [unrolled: 1-line block ×4, first 2 shown]
	s_waitcnt lgkmcnt(0)
	v_mul_f32_e32 v6, v6, v8
	s_cmp_lt_i32 s8, 4
	s_mov_b32 s8, s12
	global_store_dword v[4:5], v6, off offset:-12
	s_cbranch_scc1 .LBB44_48
.LBB44_40:                              ; =>This Loop Header: Depth=1
                                        ;     Child Loop BB44_41 Depth 2
                                        ;     Child Loop BB44_43 Depth 2
	;; [unrolled: 1-line block ×4, first 2 shown]
	s_lshl_b64 s[12:13], s[8:9], 2
	v_mov_b32_e32 v5, s13
	v_add_co_u32_e32 v4, vcc, s12, v106
	v_addc_co_u32_e32 v5, vcc, v107, v5, vcc
	global_load_dword v6, v[4:5], off
	v_pk_mov_b32 v[4:5], v[0:1], v[0:1] op_sel:[0,1]
	s_mov_b32 s12, s14
	s_cmp_le_i32 s6, s8
	s_mov_b32 s13, s6
	s_waitcnt vmcnt(0)
	v_mul_f32_e32 v8, s16, v6
	s_cbranch_scc1 .LBB44_42
.LBB44_41:                              ;   Parent Loop BB44_40 Depth=1
                                        ; =>  This Inner Loop Header: Depth=2
	global_load_dword v6, v[4:5], off
	v_mov_b32_e32 v7, s12
	ds_read_b32 v7, v7
	s_add_i32 s13, s13, -1
	s_add_i32 s12, s12, -4
	v_add_co_u32_e32 v4, vcc, -4, v4
	v_addc_co_u32_e32 v5, vcc, -1, v5, vcc
	s_cmp_gt_i32 s13, s8
	s_waitcnt vmcnt(0) lgkmcnt(0)
	v_fma_f32 v8, -v6, v7, v8
	s_cbranch_scc1 .LBB44_41
.LBB44_42:                              ;   in Loop: Header=BB44_40 Depth=1
	s_add_i32 s12, s8, -1
	s_mov_b32 s13, s9
	s_lshl_b64 s[12:13], s[12:13], 2
	v_mov_b32_e32 v5, s13
	v_add_co_u32_e32 v4, vcc, s12, v106
	v_addc_co_u32_e32 v5, vcc, v107, v5, vcc
	global_load_dword v9, v[4:5], off
	s_mul_i32 s17, s8, 0x104
	v_mov_b32_e32 v4, s17
	ds_read_b32 v10, v4
	s_ashr_i32 s19, s8, 31
	s_mov_b32 s18, s8
	s_lshl_b64 s[18:19], s[18:19], 2
	v_mov_b32_e32 v5, s19
	v_add_co_u32_e32 v4, vcc, s18, v106
	v_addc_co_u32_e32 v5, vcc, v107, v5, vcc
	s_waitcnt lgkmcnt(0)
	v_mul_f32_e32 v8, v10, v8
	v_pk_mov_b32 v[6:7], v[2:3], v[2:3] op_sel:[0,1]
	s_mov_b32 s12, s7
	s_cmp_le_i32 s26, s8
	global_store_dword v[4:5], v8, off
	s_mov_b32 s13, s26
	s_waitcnt vmcnt(1)
	v_mul_f32_e32 v8, s16, v9
	s_cbranch_scc1 .LBB44_44
.LBB44_43:                              ;   Parent Loop BB44_40 Depth=1
                                        ; =>  This Inner Loop Header: Depth=2
	global_load_dword v9, v[6:7], off
	v_mov_b32_e32 v10, s12
	ds_read_b32 v10, v10
	s_add_i32 s13, s13, -1
	s_add_i32 s12, s12, -4
	v_add_co_u32_e32 v6, vcc, -4, v6
	v_addc_co_u32_e32 v7, vcc, -1, v7, vcc
	s_cmp_gt_i32 s13, s8
	s_waitcnt vmcnt(0) lgkmcnt(0)
	v_fma_f32 v8, -v9, v10, v8
	s_cbranch_scc1 .LBB44_43
.LBB44_44:                              ;   in Loop: Header=BB44_40 Depth=1
	s_add_i32 s12, s8, -2
	s_mov_b32 s13, s9
	s_lshl_b64 s[18:19], s[12:13], 2
	v_mov_b32_e32 v7, s19
	v_add_co_u32_e32 v6, vcc, s18, v106
	v_addc_co_u32_e32 v7, vcc, v107, v7, vcc
	global_load_dword v9, v[6:7], off
	s_addk_i32 s17, 0xfefc
	v_mov_b32_e32 v6, s17
	ds_read_b32 v10, v6
	v_pk_mov_b32 v[6:7], v[0:1], v[0:1] op_sel:[0,1]
	s_mov_b32 s13, s11
	s_cmp_le_i32 s6, s12
	s_mov_b32 s18, s6
	s_waitcnt lgkmcnt(0)
	v_mul_f32_e32 v8, v10, v8
	global_store_dword v[4:5], v8, off offset:-4
	s_waitcnt vmcnt(1)
	v_mul_f32_e32 v8, s16, v9
	s_cbranch_scc1 .LBB44_46
.LBB44_45:                              ;   Parent Loop BB44_40 Depth=1
                                        ; =>  This Inner Loop Header: Depth=2
	global_load_dword v9, v[6:7], off
	v_mov_b32_e32 v10, s13
	ds_read_b32 v10, v10
	s_add_i32 s18, s18, -1
	s_add_i32 s13, s13, -4
	v_add_co_u32_e32 v6, vcc, -4, v6
	v_addc_co_u32_e32 v7, vcc, -1, v7, vcc
	s_cmp_gt_i32 s18, s12
	s_waitcnt vmcnt(0) lgkmcnt(0)
	v_fma_f32 v8, -v9, v10, v8
	s_cbranch_scc1 .LBB44_45
.LBB44_46:                              ;   in Loop: Header=BB44_40 Depth=1
	s_add_i32 s12, s8, -3
	s_mov_b32 s13, s9
	s_lshl_b64 s[18:19], s[12:13], 2
	v_mov_b32_e32 v7, s19
	v_add_co_u32_e32 v6, vcc, s18, v106
	v_addc_co_u32_e32 v7, vcc, v107, v7, vcc
	global_load_dword v9, v[6:7], off
	s_add_i32 s13, s17, 0xfffffefc
	v_mov_b32_e32 v6, s13
	ds_read_b32 v10, v6
	v_pk_mov_b32 v[6:7], v[0:1], v[0:1] op_sel:[0,1]
	s_mov_b32 s17, s15
	s_cmp_le_i32 s6, s12
	s_mov_b32 s18, s6
	s_waitcnt lgkmcnt(0)
	v_mul_f32_e32 v8, v10, v8
	global_store_dword v[4:5], v8, off offset:-8
	s_waitcnt vmcnt(1)
	v_mul_f32_e32 v8, s16, v9
	s_cbranch_scc1 .LBB44_39
.LBB44_47:                              ;   Parent Loop BB44_40 Depth=1
                                        ; =>  This Inner Loop Header: Depth=2
	global_load_dword v9, v[6:7], off
	v_mov_b32_e32 v10, s17
	ds_read_b32 v10, v10
	s_add_i32 s18, s18, -1
	s_add_i32 s17, s17, -4
	v_add_co_u32_e32 v6, vcc, -4, v6
	v_addc_co_u32_e32 v7, vcc, -1, v7, vcc
	s_cmp_gt_i32 s18, s12
	s_waitcnt vmcnt(0) lgkmcnt(0)
	v_fma_f32 v8, -v9, v10, v8
	s_cbranch_scc1 .LBB44_47
	s_branch .LBB44_39
.LBB44_48:
	s_mov_b64 s[6:7], 0
.LBB44_49:
	s_and_b64 vcc, exec, s[6:7]
	s_cbranch_vccz .LBB44_82
; %bb.50:
	s_cmp_lt_i32 s10, 32
	s_mov_b32 s8, 0
	s_cbranch_scc1 .LBB44_57
; %bb.51:
	s_add_u32 s6, s2, s4
	s_addc_u32 s7, s3, s5
	s_add_u32 s6, s6, s0
	s_addc_u32 s7, s7, s1
	v_mov_b32_e32 v0, s7
	v_add_co_u32_e32 v1, vcc, s6, v70
	v_addc_co_u32_e32 v0, vcc, v0, v71, vcc
	v_add_co_u32_e32 v72, vcc, 4, v1
	s_mov_b32 s17, s16
	v_addc_co_u32_e32 v73, vcc, 0, v0, vcc
	s_mov_b32 s7, 0
	s_mov_b32 s6, 0
	;; [unrolled: 1-line block ×3, first 2 shown]
.LBB44_52:                              ; =>This Loop Header: Depth=1
                                        ;     Child Loop BB44_54 Depth 2
	s_lshl_b64 s[10:11], s[6:7], 2
	v_mov_b32_e32 v0, s11
	v_add_co_u32_e32 v74, vcc, s10, v106
	v_addc_co_u32_e32 v75, vcc, v107, v0, vcc
	global_load_dwordx4 v[0:3], v[74:75], off
	global_load_dwordx4 v[4:7], v[74:75], off offset:16
	global_load_dwordx4 v[8:11], v[74:75], off offset:32
	;; [unrolled: 1-line block ×7, first 2 shown]
	s_cmp_eq_u32 s6, 0
	s_waitcnt vmcnt(7)
	v_pk_mul_f32 v[0:1], v[0:1], s[16:17]
	v_pk_mul_f32 v[2:3], v[2:3], s[16:17]
	s_waitcnt vmcnt(6)
	v_pk_mul_f32 v[36:37], v[4:5], s[16:17]
	v_pk_mul_f32 v[32:33], v[6:7], s[16:17]
	;; [unrolled: 3-line block ×8, first 2 shown]
	s_cbranch_scc1 .LBB44_55
; %bb.53:                               ;   in Loop: Header=BB44_52 Depth=1
	s_mov_b32 s8, 0
	v_pk_mov_b32 v[4:5], v[72:73], v[72:73] op_sel:[0,1]
	s_mov_b32 s10, s9
.LBB44_54:                              ;   Parent Loop BB44_52 Depth=1
                                        ; =>  This Inner Loop Header: Depth=2
	global_load_dwordx2 v[18:19], v[4:5], off offset:-4
	v_mov_b32_e32 v68, s10
	ds_read_b128 v[6:9], v68
	ds_read_b128 v[10:13], v68 offset:16
	ds_read_b128 v[14:17], v68 offset:32
	;; [unrolled: 1-line block ×15, first 2 shown]
	s_add_i32 s8, s8, 2
	s_addk_i32 s10, 0x200
	v_add_co_u32_e32 v4, vcc, 8, v4
	v_addc_co_u32_e32 v5, vcc, 0, v5, vcc
	s_cmp_lt_u32 s8, s6
	s_waitcnt vmcnt(0) lgkmcnt(14)
	v_pk_fma_f32 v[0:1], v[18:19], v[6:7], v[0:1] op_sel_hi:[0,1,1] neg_lo:[1,0,0] neg_hi:[1,0,0]
	v_pk_fma_f32 v[2:3], v[18:19], v[8:9], v[2:3] op_sel_hi:[0,1,1] neg_lo:[1,0,0] neg_hi:[1,0,0]
	;; [unrolled: 1-line block ×4, first 2 shown]
	s_waitcnt lgkmcnt(13)
	v_pk_fma_f32 v[10:11], v[18:19], v[14:15], v[30:31] op_sel_hi:[0,1,1] neg_lo:[1,0,0] neg_hi:[1,0,0]
	v_pk_fma_f32 v[12:13], v[18:19], v[16:17], v[28:29] op_sel_hi:[0,1,1] neg_lo:[1,0,0] neg_hi:[1,0,0]
	s_waitcnt lgkmcnt(12)
	v_pk_fma_f32 v[14:15], v[18:19], v[38:39], v[26:27] op_sel_hi:[0,1,1] neg_lo:[1,0,0] neg_hi:[1,0,0]
	v_pk_fma_f32 v[16:17], v[18:19], v[40:41], v[24:25] op_sel_hi:[0,1,1] neg_lo:[1,0,0] neg_hi:[1,0,0]
	;; [unrolled: 3-line block ×6, first 2 shown]
	s_waitcnt lgkmcnt(7)
	v_pk_fma_f32 v[0:1], v[18:19], v[60:61], v[0:1] op_sel:[1,0,0] neg_lo:[1,0,0] neg_hi:[1,0,0]
	v_pk_fma_f32 v[2:3], v[18:19], v[62:63], v[2:3] op_sel:[1,0,0] neg_lo:[1,0,0] neg_hi:[1,0,0]
	s_waitcnt lgkmcnt(6)
	v_pk_fma_f32 v[36:37], v[18:19], v[64:65], v[6:7] op_sel:[1,0,0] neg_lo:[1,0,0] neg_hi:[1,0,0]
	v_pk_fma_f32 v[32:33], v[18:19], v[66:67], v[8:9] op_sel:[1,0,0] neg_lo:[1,0,0] neg_hi:[1,0,0]
	;; [unrolled: 3-line block ×8, first 2 shown]
	s_cbranch_scc1 .LBB44_54
.LBB44_55:                              ;   in Loop: Header=BB44_52 Depth=1
	s_mul_i32 s10, s6, 0x104
	v_mov_b32_e32 v42, s10
	ds_read_b128 v[4:7], v42
	ds_read_b128 v[8:11], v42 offset:16
	ds_read2_b32 v[16:17], v42 offset0:65 offset1:66
	ds_read_b128 v[12:15], v42 offset:32
	s_lshl_b32 s8, s6, 6
	s_waitcnt lgkmcnt(3)
	v_mul_f32_e32 v0, v4, v0
	v_fma_f32 v1, -v0, v5, v1
	s_add_i32 s8, s6, s8
	v_fma_f32 v2, -v0, v6, v2
	s_waitcnt lgkmcnt(1)
	v_mul_f32_e32 v1, v16, v1
	s_lshl_b32 s8, s8, 2
	v_fma_f32 v2, -v1, v17, v2
	ds_read2_b64 v[16:19], v42 offset0:65 offset1:66
	v_mov_b32_e32 v108, s8
	ds_read2_b32 v[40:41], v108 offset0:67 offset1:68
	ds_read2_b32 v[38:39], v42 offset0:195 offset1:196
	v_fma_f32 v3, -v0, v7, v3
	v_fma_f32 v8, -v0, v8, v36
	s_waitcnt lgkmcnt(2)
	v_mul_f32_e32 v2, v16, v2
	s_waitcnt lgkmcnt(1)
	v_fma_f32 v3, -v1, v40, v3
	v_fma_f32 v3, -v2, v17, v3
	ds_read_b128 v[4:7], v108 offset:112
	s_waitcnt lgkmcnt(1)
	v_mul_f32_e32 v3, v38, v3
	v_fma_f32 v8, -v1, v41, v8
	ds_read2_b32 v[40:41], v108 offset0:69 offset1:70
	global_store_dwordx4 v[74:75], v[0:3], off
	ds_read_b128 v[48:51], v42 offset:1040
	ds_read_b32 v86, v42 offset:2080
	ds_read2_b32 v[44:45], v108 offset0:71 offset1:72
	ds_read2_b32 v[64:65], v108 offset0:73 offset1:74
	;; [unrolled: 1-line block ×4, first 2 shown]
	v_fma_f32 v9, -v0, v9, v37
	s_addk_i32 s10, 0x514
	v_fma_f32 v8, -v2, v18, v8
	s_waitcnt lgkmcnt(6)
	v_fma_f32 v9, -v1, v40, v9
	v_mov_b32_e32 v36, s10
	s_add_i32 s10, s8, 0x51c
	v_fma_f32 v8, -v3, v39, v8
	v_fma_f32 v9, -v2, v19, v9
	v_mov_b32_e32 v37, s10
	s_add_i32 s10, s8, 0x61c
	s_waitcnt lgkmcnt(5)
	v_mul_f32_e32 v8, v48, v8
	s_waitcnt lgkmcnt(0)
	v_fma_f32 v9, -v3, v52, v9
	v_mov_b32_e32 v38, s10
	s_add_i32 s10, s8, 0x524
	ds_read2_b32 v[18:19], v108 offset0:199 offset1:200
	ds_read2_b32 v[66:67], v108 offset0:201 offset1:202
	ds_read_b64 v[84:85], v108 offset:632
	v_fma_f32 v9, -v8, v49, v9
	ds_read2_b32 v[48:49], v36 offset1:1
	v_mov_b32_e32 v36, s10
	ds_read2_b32 v[60:61], v37 offset1:1
	ds_read2_b32 v[62:63], v38 offset1:1
	;; [unrolled: 1-line block ×3, first 2 shown]
	ds_read2_b64 v[36:39], v108 offset0:67 offset1:68
	v_fma_f32 v10, -v0, v10, v32
	v_fma_f32 v10, -v1, v41, v10
	;; [unrolled: 1-line block ×4, first 2 shown]
	s_waitcnt lgkmcnt(0)
	v_fma_f32 v10, -v2, v36, v10
	v_add_u32_e32 v32, 0x400, v42
	v_fma_f32 v10, -v3, v53, v10
	v_fma_f32 v11, -v2, v37, v11
	v_mul_f32_e32 v9, v48, v9
	ds_read2_b32 v[54:55], v32 offset0:134 offset1:199
	ds_read2_b64 v[40:43], v108 offset0:69 offset1:70
	v_fma_f32 v10, -v8, v50, v10
	v_fma_f32 v11, -v3, v18, v11
	;; [unrolled: 1-line block ×4, first 2 shown]
	ds_read_b128 v[48:51], v108 offset:1056
	v_fma_f32 v12, -v0, v12, v30
	v_fma_f32 v12, -v1, v45, v12
	s_waitcnt lgkmcnt(2)
	v_mul_f32_e32 v10, v54, v10
	v_fma_f32 v11, -v9, v60, v11
	v_fma_f32 v12, -v2, v38, v12
	;; [unrolled: 1-line block ×4, first 2 shown]
	v_mul_f32_e32 v11, v55, v11
	s_waitcnt lgkmcnt(0)
	v_fma_f32 v12, -v8, v48, v12
	s_add_i32 s11, s8, 0x624
	global_store_dwordx4 v[74:75], v[8:11], off offset:16
	v_fma_f32 v12, -v9, v61, v12
	v_fma_f32 v13, -v0, v13, v31
	v_mov_b32_e32 v18, s11
	v_fma_f32 v14, -v0, v14, v28
	ds_read_b128 v[52:55], v108 offset:1072
	ds_read_b128 v[56:59], v108 offset:1824
	v_fma_f32 v12, -v10, v63, v12
	ds_read_b128 v[60:63], v108 offset:1840
	ds_read2_b32 v[18:19], v18 offset1:1
	v_fma_f32 v13, -v1, v64, v13
	v_fma_f32 v14, -v1, v65, v14
	s_or_b32 s10, s6, 9
	v_fma_f32 v13, -v2, v39, v13
	s_add_i32 s11, s8, 0x824
	v_fma_f32 v14, -v2, v40, v14
	v_fma_f32 v13, -v3, v66, v13
	v_mov_b32_e32 v30, s11
	s_mul_i32 s11, s10, 0x104
	v_fma_f32 v14, -v3, v67, v14
	v_fma_f32 v13, -v8, v49, v13
	v_mov_b32_e32 v32, s11
	ds_read2_b32 v[30:31], v30 offset1:1
	ds_read2_b32 v[36:37], v32 offset1:1
	v_fma_f32 v14, -v8, v50, v14
	v_fma_f32 v13, -v9, v68, v13
	s_or_b32 s11, s6, 10
	v_fma_f32 v14, -v9, v69, v14
	s_waitcnt lgkmcnt(4)
	v_fma_f32 v12, -v11, v56, v12
	s_waitcnt lgkmcnt(2)
	v_fma_f32 v13, -v10, v18, v13
	v_fma_f32 v14, -v10, v19, v14
	s_mul_i32 s12, s11, 0x104
	v_mul_f32_e32 v12, v86, v12
	v_fma_f32 v13, -v11, v57, v13
	v_fma_f32 v14, -v11, v58, v14
	v_mov_b32_e32 v18, s12
	s_waitcnt lgkmcnt(1)
	v_fma_f32 v13, -v12, v30, v13
	v_fma_f32 v14, -v12, v31, v14
	ds_read2_b64 v[30:33], v18 offset1:1
	ds_read2_b32 v[44:45], v108 offset0:203 offset1:204
	s_add_i32 s12, s8, 0x52c
	v_mov_b32_e32 v18, s12
	v_fma_f32 v15, -v0, v15, v29
	s_add_i32 s13, s8, 0x62c
	ds_read2_b32 v[18:19], v18 offset1:1
	v_fma_f32 v15, -v1, v16, v15
	v_mov_b32_e32 v16, s13
	v_fma_f32 v15, -v2, v41, v15
	ds_read2_b32 v[40:41], v108 offset0:205 offset1:206
	ds_read2_b32 v[64:65], v108 offset0:207 offset1:208
	;; [unrolled: 1-line block ×3, first 2 shown]
	ds_read2_b32 v[56:57], v16 offset1:1
	s_lshl_b32 s10, s10, 6
	s_add_i32 s10, s6, s10
	s_waitcnt lgkmcnt(5)
	v_fma_f32 v15, -v3, v44, v15
	s_lshl_b32 s10, s10, 2
	s_or_b32 s12, s6, 11
	v_fma_f32 v15, -v8, v51, v15
	s_waitcnt lgkmcnt(4)
	v_fma_f32 v15, -v9, v18, v15
	s_add_i32 s13, s8, 0x82c
	v_mov_b32_e32 v154, s10
	s_lshl_b32 s10, s11, 6
	s_mul_i32 s11, s12, 0x104
	v_mul_f32_e32 v13, v36, v13
	v_mov_b32_e32 v18, s13
	s_waitcnt lgkmcnt(0)
	v_fma_f32 v15, -v10, v56, v15
	v_mov_b32_e32 v16, s11
	v_fma_f32 v14, -v13, v37, v14
	ds_read2_b32 v[66:67], v18 offset1:1
	ds_read2_b32 v[68:69], v154 offset0:11 offset1:12
	ds_read2_b32 v[86:87], v154 offset0:13 offset1:14
	v_fma_f32 v15, -v11, v59, v15
	ds_read2_b32 v[58:59], v16 offset1:1
	ds_read_b32 v109, v154 offset:124
	ds_read_b128 v[36:39], v108 offset:48
	s_or_b32 s11, s6, 12
	v_mul_f32_e32 v14, v30, v14
	s_mul_i32 s13, s11, 0x104
	s_waitcnt lgkmcnt(5)
	v_fma_f32 v15, -v12, v66, v15
	s_waitcnt lgkmcnt(0)
	v_fma_f32 v16, -v0, v36, v26
	v_fma_f32 v16, -v1, v17, v16
	v_fma_f32 v16, -v2, v42, v16
	v_fma_f32 v16, -v3, v45, v16
	v_fma_f32 v16, -v8, v52, v16
	v_fma_f32 v16, -v9, v19, v16
	v_fma_f32 v16, -v10, v57, v16
	v_fma_f32 v16, -v11, v60, v16
	v_fma_f32 v16, -v12, v67, v16
	v_fma_f32 v16, -v13, v69, v16
	v_fma_f32 v26, -v14, v32, v16
	v_mov_b32_e32 v16, s13
	s_add_i32 s13, s8, 0x534
	v_fma_f32 v15, -v13, v68, v15
	v_mov_b32_e32 v30, s13
	v_fma_f32 v15, -v14, v31, v15
	ds_read_b128 v[48:51], v108 offset:64
	ds_read_b128 v[16:19], v16
	ds_read2_b32 v[44:45], v30 offset1:1
	ds_read2_b32 v[30:31], v108 offset0:77 offset1:78
	v_fma_f32 v32, -v0, v37, v27
	s_add_i32 s10, s6, s10
	s_lshl_b32 s12, s12, 6
	s_add_i32 s14, s8, 0x634
	s_waitcnt lgkmcnt(0)
	v_fma_f32 v30, -v1, v30, v32
	s_lshl_b32 s10, s10, 2
	v_mul_f32_e32 v15, v58, v15
	s_add_i32 s12, s6, s12
	v_fma_f32 v30, -v2, v43, v30
	v_mov_b32_e32 v32, s14
	s_add_i32 s14, s8, 0x834
	global_store_dwordx4 v[74:75], v[12:15], off offset:32
	s_lshl_b32 s12, s12, 2
	v_fma_f32 v26, -v15, v59, v26
	v_fma_f32 v30, -v3, v40, v30
	v_mov_b32_e32 v40, s14
	v_mov_b32_e32 v113, s10
	v_mul_f32_e32 v16, v16, v26
	ds_read2_b32 v[26:27], v108 offset0:79 offset1:80
	ds_read2_b32 v[96:97], v108 offset0:81 offset1:82
	;; [unrolled: 1-line block ×3, first 2 shown]
	v_fma_f32 v30, -v8, v53, v30
	ds_read2_b32 v[42:43], v32 offset1:1
	v_mov_b32_e32 v166, s12
	ds_read2_b32 v[52:53], v40 offset1:1
	ds_read2_b32 v[88:89], v166 offset0:13 offset1:14
	ds_read2_b32 v[102:103], v166 offset0:15 offset1:16
	ds_read2_b64 v[56:59], v113 offset0:7 offset1:8
	ds_read2_b64 v[66:69], v108 offset0:71 offset1:72
	v_fma_f32 v24, -v0, v38, v24
	v_fma_f32 v24, -v1, v31, v24
	;; [unrolled: 1-line block ×3, first 2 shown]
	s_waitcnt lgkmcnt(5)
	v_fma_f32 v30, -v10, v42, v30
	s_waitcnt lgkmcnt(0)
	v_fma_f32 v24, -v2, v66, v24
	v_fma_f32 v24, -v3, v41, v24
	;; [unrolled: 1-line block ×7, first 2 shown]
	s_or_b32 s13, s6, 13
	v_fma_f32 v30, -v11, v61, v30
	v_fma_f32 v24, -v13, v87, v24
	;; [unrolled: 1-line block ×3, first 2 shown]
	s_mul_i32 s12, s13, 0x104
	s_or_b32 s10, s6, 14
	v_fma_f32 v24, -v14, v56, v24
	v_fma_f32 v30, -v13, v86, v30
	v_mov_b32_e32 v32, s12
	v_fma_f32 v24, -v15, v89, v24
	s_lshl_b32 s12, s13, 6
	s_mul_i32 s13, s10, 0x104
	v_fma_f32 v30, -v14, v33, v30
	v_fma_f32 v18, -v16, v18, v24
	v_mov_b32_e32 v24, s13
	s_add_i32 s13, s8, 0x53c
	v_fma_f32 v30, -v15, v88, v30
	ds_read2_b32 v[60:61], v32 offset1:1
	ds_read2_b64 v[86:89], v24 offset1:1
	v_mov_b32_e32 v24, s13
	v_fma_f32 v17, -v16, v17, v30
	ds_read2_b64 v[30:33], v108 offset0:73 offset1:74
	ds_read2_b32 v[42:43], v24 offset1:1
	v_fma_f32 v24, -v0, v39, v25
	v_fma_f32 v24, -v1, v26, v24
	;; [unrolled: 1-line block ×5, first 2 shown]
	s_add_i32 s14, s8, 0x63c
	s_waitcnt lgkmcnt(0)
	v_fma_f32 v26, -v9, v42, v24
	v_mov_b32_e32 v24, s14
	ds_read2_b32 v[24:25], v24 offset1:1
	s_add_i32 s12, s6, s12
	s_add_i32 s14, s8, 0x83c
	v_mul_f32_e32 v17, v60, v17
	s_lshl_b32 s12, s12, 2
	v_mov_b32_e32 v38, s14
	s_waitcnt lgkmcnt(0)
	v_fma_f32 v24, -v10, v24, v26
	v_fma_f32 v18, -v17, v61, v18
	v_mov_b32_e32 v112, s12
	ds_read2_b32 v[60:61], v38 offset1:1
	ds_read2_b32 v[104:105], v112 offset0:15 offset1:16
	ds_read2_b32 v[126:127], v112 offset0:17 offset1:18
	v_fma_f32 v24, -v11, v63, v24
	ds_read2_b32 v[62:63], v154 offset0:15 offset1:16
	s_waitcnt lgkmcnt(3)
	v_fma_f32 v24, -v12, v60, v24
	s_or_b32 s13, s6, 15
	s_mul_i32 s12, s13, 0x104
	ds_read2_b32 v[122:123], v154 offset0:17 offset1:18
	ds_read2_b32 v[130:131], v154 offset0:19 offset1:20
	;; [unrolled: 1-line block ×3, first 2 shown]
	s_waitcnt lgkmcnt(3)
	v_fma_f32 v24, -v13, v62, v24
	v_fma_f32 v24, -v14, v57, v24
	;; [unrolled: 1-line block ×4, first 2 shown]
	v_mov_b32_e32 v24, s12
	ds_read2_b32 v[56:57], v24 offset1:1
	v_mul_f32_e32 v18, v86, v18
	v_fma_f32 v19, -v17, v104, v19
	v_fma_f32 v19, -v18, v87, v19
	ds_read2_b32 v[90:91], v112 offset0:27 offset1:28
	ds_read2_b32 v[86:87], v112 offset0:29 offset1:30
	ds_read_b32 v110, v112 offset:124
	ds_read_b128 v[38:41], v108 offset:1088
	s_waitcnt lgkmcnt(4)
	v_mul_f32_e32 v19, v56, v19
	v_fma_f32 v20, -v0, v48, v20
	global_store_dwordx4 v[74:75], v[16:19], off offset:48
	v_fma_f32 v20, -v1, v27, v20
	s_lshl_b32 s11, s11, 6
	v_fma_f32 v20, -v2, v68, v20
	ds_read_b128 v[52:55], v108 offset:1104
	ds_read_b128 v[92:95], v108 offset:1856
	s_add_i32 s11, s6, s11
	v_fma_f32 v20, -v3, v65, v20
	s_lshl_b32 s11, s11, 2
	s_or_b32 s12, s6, 16
	s_waitcnt lgkmcnt(2)
	v_fma_f32 v20, -v8, v38, v20
	v_fma_f32 v20, -v9, v43, v20
	v_mov_b32_e32 v167, s11
	s_lshl_b32 s11, s13, 6
	s_mul_i32 s13, s12, 0x104
	v_fma_f32 v21, -v0, v49, v21
	v_fma_f32 v20, -v10, v25, v20
	v_mov_b32_e32 v38, s13
	s_add_i32 s13, s8, 0x544
	v_fma_f32 v21, -v1, v96, v21
	s_waitcnt lgkmcnt(0)
	v_fma_f32 v20, -v11, v92, v20
	ds_read_b128 v[98:101], v167 offset:64
	ds_read_b128 v[114:117], v38
	v_mov_b32_e32 v38, s13
	v_fma_f32 v21, -v2, v69, v21
	s_add_i32 s14, s8, 0x644
	v_fma_f32 v20, -v12, v61, v20
	ds_read_b128 v[24:27], v167 offset:80
	ds_read2_b32 v[60:61], v38 offset1:1
	v_fma_f32 v21, -v3, v28, v21
	v_mov_b32_e32 v28, s14
	ds_read_b128 v[42:45], v108 offset:1872
	v_fma_f32 v21, -v8, v39, v21
	ds_read2_b32 v[38:39], v28 offset1:1
	v_fma_f32 v20, -v13, v63, v20
	s_add_i32 s11, s6, s11
	s_add_i32 s14, s8, 0x844
	v_fma_f32 v20, -v14, v58, v20
	s_lshl_b32 s11, s11, 2
	v_mov_b32_e32 v48, s14
	v_fma_f32 v20, -v15, v103, v20
	s_waitcnt lgkmcnt(2)
	v_fma_f32 v21, -v9, v60, v21
	v_mov_b32_e32 v150, s11
	ds_read2_b32 v[48:49], v48 offset1:1
	ds_read2_b32 v[68:69], v150 offset0:17 offset1:18
	ds_read2_b32 v[102:103], v150 offset0:19 offset1:20
	s_waitcnt lgkmcnt(3)
	v_fma_f32 v21, -v10, v38, v21
	ds_read2_b32 v[62:63], v166 offset0:17 offset1:18
	v_fma_f32 v21, -v11, v93, v21
	s_waitcnt lgkmcnt(3)
	v_fma_f32 v21, -v12, v48, v21
	v_fma_f32 v21, -v13, v122, v21
	;; [unrolled: 1-line block ×6, first 2 shown]
	s_or_b32 s13, s6, 17
	s_waitcnt lgkmcnt(0)
	v_fma_f32 v21, -v15, v62, v21
	v_fma_f32 v22, -v2, v30, v22
	;; [unrolled: 1-line block ×4, first 2 shown]
	s_lshl_b32 s11, s12, 6
	s_mul_i32 s12, s13, 0x104
	v_fma_f32 v22, -v3, v29, v22
	v_fma_f32 v20, -v18, v88, v20
	;; [unrolled: 1-line block ×3, first 2 shown]
	v_mov_b32_e32 v28, s12
	v_fma_f32 v22, -v8, v40, v22
	v_fma_f32 v20, -v19, v57, v20
	ds_read2_b32 v[92:93], v166 offset0:19 offset1:20
	ds_read2_b32 v[134:135], v166 offset0:21 offset1:22
	;; [unrolled: 1-line block ×3, first 2 shown]
	v_fma_f32 v21, -v18, v89, v21
	ds_read2_b32 v[98:99], v28 offset1:1
	ds_read2_b32 v[88:89], v150 offset0:29 offset1:30
	ds_read_b32 v111, v150 offset:124
	v_fma_f32 v22, -v9, v61, v22
	ds_read2_b64 v[118:121], v113 offset0:9 offset1:10
	s_lshl_b32 s10, s10, 6
	v_fma_f32 v22, -v10, v39, v22
	s_add_i32 s10, s6, s10
	v_fma_f32 v22, -v11, v94, v22
	s_lshl_b32 s10, s10, 2
	v_fma_f32 v22, -v12, v49, v22
	v_fma_f32 v22, -v13, v123, v22
	v_mov_b32_e32 v168, s10
	ds_read2_b64 v[122:125], v168 offset0:9 offset1:10
	s_or_b32 s12, s6, 18
	s_waitcnt lgkmcnt(1)
	v_fma_f32 v22, -v14, v118, v22
	v_fma_f32 v22, -v15, v63, v22
	s_lshl_b32 s10, s13, 6
	s_mul_i32 s13, s12, 0x104
	v_fma_f32 v22, -v16, v100, v22
	v_mov_b32_e32 v28, s13
	v_fma_f32 v22, -v17, v127, v22
	ds_read2_b64 v[126:129], v28 offset1:1
	ds_read2_b32 v[38:39], v108 offset0:211 offset1:212
	s_add_i32 s13, s8, 0x54c
	v_mov_b32_e32 v28, s13
	ds_read2_b64 v[58:61], v113 offset0:11 offset1:12
	ds_read2_b32 v[28:29], v28 offset1:1
	v_fma_f32 v23, -v0, v51, v23
	v_fma_f32 v23, -v1, v36, v23
	;; [unrolled: 1-line block ×3, first 2 shown]
	v_mul_f32_e32 v20, v114, v20
	v_fma_f32 v21, -v19, v68, v21
	s_waitcnt lgkmcnt(4)
	v_fma_f32 v22, -v18, v122, v22
	s_waitcnt lgkmcnt(2)
	v_fma_f32 v23, -v3, v38, v23
	v_fma_f32 v21, -v20, v115, v21
	;; [unrolled: 1-line block ×4, first 2 shown]
	s_add_i32 s14, s8, 0x64c
	v_mul_f32_e32 v21, v98, v21
	v_fma_f32 v22, -v20, v116, v22
	s_waitcnt lgkmcnt(0)
	v_fma_f32 v23, -v9, v28, v23
	v_mov_b32_e32 v28, s14
	ds_read2_b64 v[62:65], v168 offset0:11 offset1:12
	v_fma_f32 v22, -v21, v99, v22
	ds_read2_b32 v[68:69], v108 offset0:213 offset1:214
	ds_read2_b32 v[136:137], v108 offset0:215 offset1:216
	;; [unrolled: 1-line block ×3, first 2 shown]
	ds_read2_b32 v[30:31], v28 offset1:1
	s_add_i32 s10, s6, s10
	s_add_i32 s14, s8, 0x84c
	s_lshl_b32 s10, s10, 2
	v_mov_b32_e32 v36, s14
	v_mov_b32_e32 v160, s10
	ds_read2_b32 v[40:41], v36 offset1:1
	ds_read2_b32 v[132:133], v160 offset0:19 offset1:20
	ds_read2_b32 v[138:139], v160 offset0:21 offset1:22
	s_waitcnt lgkmcnt(3)
	v_fma_f32 v23, -v10, v30, v23
	v_fma_f32 v23, -v11, v95, v23
	s_waitcnt lgkmcnt(2)
	v_fma_f32 v23, -v12, v40, v23
	v_fma_f32 v23, -v13, v130, v23
	;; [unrolled: 1-line block ×3, first 2 shown]
	ds_read2_b32 v[118:119], v112 offset0:19 offset1:20
	s_or_b32 s13, s6, 19
	v_fma_f32 v23, -v15, v92, v23
	v_fma_f32 v23, -v16, v101, v23
	s_lshl_b32 s10, s12, 6
	s_mul_i32 s12, s13, 0x104
	s_waitcnt lgkmcnt(0)
	v_fma_f32 v23, -v17, v118, v23
	v_mov_b32_e32 v28, s12
	ds_read2_b32 v[100:101], v112 offset0:21 offset1:22
	ds_read2_b32 v[142:143], v112 offset0:23 offset1:24
	;; [unrolled: 1-line block ×3, first 2 shown]
	v_fma_f32 v23, -v18, v123, v23
	ds_read2_b32 v[122:123], v28 offset1:1
	ds_read_b32 v112, v160 offset:124
	ds_read_b128 v[94:97], v108 offset:80
	s_add_i32 s11, s6, s11
	s_lshl_b32 s11, s11, 2
	v_fma_f32 v23, -v19, v102, v23
	v_fma_f32 v23, -v20, v117, v23
	s_waitcnt lgkmcnt(0)
	v_fma_f32 v28, -v0, v94, v34
	v_fma_f32 v28, -v1, v37, v28
	;; [unrolled: 1-line block ×13, first 2 shown]
	v_mov_b32_e32 v28, s11
	ds_read_b128 v[114:117], v28 offset:80
	ds_read_b128 v[36:39], v28 offset:96
	v_fma_f32 v24, -v17, v119, v24
	s_or_b32 s12, s6, 20
	v_fma_f32 v24, -v18, v124, v24
	v_fma_f32 v24, -v19, v103, v24
	s_lshl_b32 s11, s13, 6
	s_mul_i32 s13, s12, 0x104
	s_waitcnt lgkmcnt(1)
	v_fma_f32 v24, -v20, v114, v24
	v_mov_b32_e32 v29, s13
	v_fma_f32 v23, -v21, v132, v23
	v_fma_f32 v24, -v21, v133, v24
	ds_read_b128 v[130:133], v29
	ds_read2_b32 v[40:41], v108 offset0:85 offset1:86
	v_fma_f32 v32, -v0, v95, v35
	v_mul_f32_e32 v22, v126, v22
	v_fma_f32 v23, -v22, v127, v23
	s_add_i32 s14, s8, 0x554
	s_waitcnt lgkmcnt(0)
	v_fma_f32 v32, -v1, v40, v32
	v_fma_f32 v32, -v2, v33, v32
	;; [unrolled: 1-line block ×3, first 2 shown]
	v_mul_f32_e32 v23, v122, v23
	v_fma_f32 v40, -v8, v53, v32
	v_mov_b32_e32 v32, s14
	s_add_i32 s14, s8, 0x654
	global_store_dwordx4 v[74:75], v[20:23], off offset:64
	v_mov_b32_e32 v34, s14
	ds_read_b128 v[48:51], v108 offset:96
	ds_read_b128 v[28:31], v28 offset:112
	ds_read2_b32 v[140:141], v108 offset0:87 offset1:88
	ds_read2_b32 v[146:147], v108 offset0:89 offset1:90
	;; [unrolled: 1-line block ×3, first 2 shown]
	ds_read2_b32 v[32:33], v32 offset1:1
	ds_read2_b32 v[34:35], v34 offset1:1
	v_fma_f32 v24, -v22, v128, v24
	s_add_i32 s11, s6, s11
	s_add_i32 s14, s8, 0x854
	s_lshl_b32 s11, s11, 2
	v_fma_f32 v24, -v23, v123, v24
	v_mov_b32_e32 v42, s14
	v_mul_f32_e32 v24, v130, v24
	v_mov_b32_e32 v130, s11
	ds_read2_b32 v[52:53], v42 offset1:1
	ds_read2_b32 v[92:93], v130 offset0:21 offset1:22
	s_waitcnt lgkmcnt(3)
	v_fma_f32 v32, -v9, v32, v40
	s_waitcnt lgkmcnt(2)
	v_fma_f32 v32, -v10, v34, v32
	v_fma_f32 v32, -v11, v43, v32
	s_waitcnt lgkmcnt(1)
	v_fma_f32 v32, -v12, v52, v32
	v_fma_f32 v32, -v13, v66, v32
	;; [unrolled: 1-line block ×3, first 2 shown]
	ds_read2_b32 v[126:127], v150 offset0:21 offset1:22
	v_fma_f32 v32, -v15, v134, v32
	v_fma_f32 v25, -v16, v25, v32
	s_or_b32 s13, s6, 21
	v_fma_f32 v25, -v17, v100, v25
	v_fma_f32 v25, -v18, v125, v25
	s_lshl_b32 s11, s12, 6
	s_mul_i32 s12, s13, 0x104
	s_waitcnt lgkmcnt(0)
	v_fma_f32 v25, -v19, v126, v25
	v_mov_b32_e32 v32, s12
	ds_read2_b32 v[144:145], v150 offset0:23 offset1:24
	ds_read2_b32 v[148:149], v150 offset0:25 offset1:26
	;; [unrolled: 1-line block ×3, first 2 shown]
	v_fma_f32 v25, -v20, v115, v25
	ds_read2_b32 v[114:115], v32 offset1:1
	ds_read2_b64 v[118:121], v108 offset0:75 offset1:76
	v_fma_f32 v32, -v0, v96, v46
	v_fma_f32 v32, -v1, v41, v32
	s_add_i32 s10, s6, s10
	s_lshl_b32 s10, s10, 2
	s_waitcnt lgkmcnt(0)
	v_fma_f32 v32, -v2, v118, v32
	v_fma_f32 v32, -v3, v69, v32
	v_fma_f32 v32, -v8, v54, v32
	v_fma_f32 v32, -v9, v33, v32
	v_fma_f32 v32, -v10, v35, v32
	v_fma_f32 v32, -v11, v44, v32
	v_fma_f32 v32, -v12, v53, v32
	v_fma_f32 v32, -v13, v67, v32
	v_fma_f32 v32, -v14, v58, v32
	v_fma_f32 v32, -v15, v135, v32
	v_fma_f32 v26, -v16, v26, v32
	v_mov_b32_e32 v44, s10
	v_fma_f32 v26, -v17, v101, v26
	ds_read2_b64 v[122:125], v44 offset0:11 offset1:12
	ds_read2_b64 v[32:35], v44 offset0:13 offset1:14
	v_fma_f32 v26, -v18, v62, v26
	v_fma_f32 v26, -v19, v127, v26
	s_or_b32 s12, s6, 22
	v_fma_f32 v26, -v20, v116, v26
	v_fma_f32 v25, -v21, v138, v25
	;; [unrolled: 1-line block ×3, first 2 shown]
	s_lshl_b32 s10, s13, 6
	s_mul_i32 s13, s12, 0x104
	v_fma_f32 v25, -v22, v129, v25
	s_waitcnt lgkmcnt(1)
	v_fma_f32 v26, -v22, v122, v26
	v_mov_b32_e32 v46, s13
	v_fma_f32 v25, -v23, v92, v25
	v_fma_f32 v26, -v23, v93, v26
	ds_read2_b64 v[126:129], v46 offset1:1
	ds_read_b64 v[92:93], v44 offset:120
	v_fma_f32 v44, -v0, v97, v47
	v_fma_f32 v44, -v1, v140, v44
	v_fma_f32 v44, -v2, v119, v44
	s_add_i32 s14, s8, 0x55c
	v_fma_f32 v44, -v3, v136, v44
	v_mov_b32_e32 v46, s14
	s_add_i32 s14, s8, 0x65c
	ds_read_b32 v169, v130 offset:124
	ds_read2_b64 v[40:43], v108 offset0:77 offset1:78
	v_fma_f32 v44, -v8, v55, v44
	v_mov_b32_e32 v47, s14
	ds_read2_b32 v[52:53], v46 offset1:1
	ds_read2_b32 v[54:55], v47 offset1:1
	s_add_i32 s10, s6, s10
	s_add_i32 s14, s8, 0x85c
	s_lshl_b32 s10, s10, 2
	v_mov_b32_e32 v58, s14
	v_mov_b32_e32 v170, s10
	ds_read2_b32 v[66:67], v58 offset1:1
	ds_read2_b32 v[68:69], v170 offset0:23 offset1:24
	ds_read2_b32 v[118:119], v154 offset0:23 offset1:24
	s_waitcnt lgkmcnt(4)
	v_fma_f32 v44, -v9, v52, v44
	s_waitcnt lgkmcnt(3)
	v_fma_f32 v44, -v10, v54, v44
	v_fma_f32 v44, -v11, v45, v44
	s_waitcnt lgkmcnt(2)
	v_fma_f32 v44, -v12, v66, v44
	s_waitcnt lgkmcnt(0)
	v_fma_f32 v44, -v13, v118, v44
	v_fma_f32 v44, -v14, v59, v44
	;; [unrolled: 1-line block ×3, first 2 shown]
	ds_read2_b32 v[150:151], v154 offset0:25 offset1:26
	ds_read2_b32 v[152:153], v154 offset0:27 offset1:28
	;; [unrolled: 1-line block ×3, first 2 shown]
	v_fma_f32 v27, -v16, v27, v44
	ds_read2_b32 v[154:155], v160 offset0:23 offset1:24
	v_fma_f32 v27, -v17, v142, v27
	v_fma_f32 v27, -v18, v63, v27
	ds_read2_b32 v[156:157], v160 offset0:25 offset1:26
	ds_read2_b32 v[158:159], v160 offset0:27 offset1:28
	;; [unrolled: 1-line block ×4, first 2 shown]
	s_or_b32 s13, s6, 23
	v_fma_f32 v27, -v19, v144, v27
	v_fma_f32 v27, -v20, v117, v27
	s_lshl_b32 s10, s12, 6
	s_mul_i32 s12, s13, 0x104
	s_waitcnt lgkmcnt(4)
	v_fma_f32 v27, -v21, v154, v27
	v_mov_b32_e32 v44, s12
	v_fma_f32 v25, -v24, v131, v25
	v_fma_f32 v27, -v22, v123, v27
	ds_read2_b32 v[162:163], v130 offset0:25 offset1:26
	ds_read2_b32 v[164:165], v130 offset0:27 offset1:28
	;; [unrolled: 1-line block ×3, first 2 shown]
	ds_read2_b32 v[122:123], v44 offset1:1
	s_add_i32 s11, s6, s11
	v_mul_f32_e32 v25, v114, v25
	v_fma_f32 v26, -v24, v132, v26
	s_waitcnt lgkmcnt(4)
	v_fma_f32 v27, -v23, v160, v27
	s_lshl_b32 s11, s11, 2
	v_fma_f32 v26, -v25, v115, v26
	v_fma_f32 v27, -v24, v133, v27
	v_mul_f32_e32 v26, v126, v26
	v_fma_f32 v27, -v25, v68, v27
	v_mov_b32_e32 v66, s11
	ds_read_b128 v[114:117], v66 offset:96
	v_fma_f32 v27, -v26, v127, v27
	v_fma_f32 v44, -v0, v48, v82
	ds_read_b128 v[130:133], v108 offset:1120
	s_waitcnt lgkmcnt(2)
	v_mul_f32_e32 v27, v122, v27
	v_fma_f32 v44, -v1, v141, v44
	global_store_dwordx4 v[74:75], v[24:27], off offset:80
	v_fma_f32 v44, -v2, v120, v44
	v_fma_f32 v48, -v3, v137, v44
	ds_read_b128 v[44:47], v108 offset:1136
	ds_read_b128 v[134:137], v108 offset:1888
	s_waitcnt lgkmcnt(2)
	v_fma_f32 v48, -v8, v130, v48
	v_fma_f32 v48, -v9, v53, v48
	;; [unrolled: 1-line block ×3, first 2 shown]
	ds_read_b128 v[52:55], v108 offset:1904
	ds_read_b128 v[138:141], v167 offset:96
	s_waitcnt lgkmcnt(2)
	v_fma_f32 v48, -v11, v134, v48
	v_fma_f32 v48, -v12, v67, v48
	;; [unrolled: 1-line block ×5, first 2 shown]
	s_waitcnt lgkmcnt(0)
	v_fma_f32 v48, -v16, v138, v48
	v_fma_f32 v48, -v17, v143, v48
	;; [unrolled: 1-line block ×6, first 2 shown]
	s_or_b32 s11, s6, 24
	v_fma_f32 v36, -v22, v124, v36
	v_fma_f32 v36, -v23, v161, v36
	s_lshl_b32 s12, s13, 6
	s_mul_i32 s13, s11, 0x104
	v_fma_f32 v36, -v24, v114, v36
	v_mov_b32_e32 v48, s13
	v_fma_f32 v36, -v25, v69, v36
	ds_read_b128 v[142:145], v48
	ds_read_b128 v[66:69], v66 offset:112
	v_fma_f32 v48, -v0, v49, v83
	v_fma_f32 v48, -v1, v146, v48
	;; [unrolled: 1-line block ×4, first 2 shown]
	s_add_i32 s14, s8, 0x564
	v_fma_f32 v60, -v8, v131, v48
	v_mov_b32_e32 v48, s14
	s_add_i32 s14, s8, 0x664
	ds_read_b128 v[56:59], v167 offset:112
	v_mov_b32_e32 v64, s14
	ds_read2_b32 v[48:49], v48 offset1:1
	ds_read2_b32 v[82:83], v64 offset1:1
	s_add_i32 s12, s6, s12
	s_add_i32 s14, s8, 0x864
	v_fma_f32 v36, -v26, v128, v36
	s_lshl_b32 s12, s12, 2
	v_mov_b32_e32 v98, s14
	v_fma_f32 v36, -v27, v123, v36
	v_mov_b32_e32 v118, s12
	ds_read2_b32 v[122:123], v98 offset1:1
	ds_read2_b32 v[130:131], v118 offset0:25 offset1:26
	s_waitcnt lgkmcnt(3)
	v_fma_f32 v48, -v9, v48, v60
	s_waitcnt lgkmcnt(2)
	v_fma_f32 v48, -v10, v82, v48
	ds_read2_b32 v[126:127], v166 offset0:25 offset1:26
	v_fma_f32 v48, -v11, v135, v48
	s_waitcnt lgkmcnt(2)
	v_fma_f32 v48, -v12, v122, v48
	v_fma_f32 v48, -v13, v150, v48
	;; [unrolled: 1-line block ×3, first 2 shown]
	s_waitcnt lgkmcnt(0)
	v_fma_f32 v48, -v15, v126, v48
	v_fma_f32 v48, -v16, v139, v48
	;; [unrolled: 1-line block ×6, first 2 shown]
	s_or_b32 s13, s6, 25
	ds_read2_b32 v[60:61], v166 offset0:27 offset1:28
	ds_read2_b32 v[134:135], v166 offset0:29 offset1:30
	ds_read_b32 v150, v166 offset:124
	v_fma_f32 v37, -v21, v156, v37
	ds_read2_b32 v[64:65], v170 offset0:25 offset1:26
	v_fma_f32 v37, -v22, v125, v37
	s_mul_i32 s12, s13, 0x104
	v_fma_f32 v37, -v23, v162, v37
	v_mov_b32_e32 v48, s12
	v_fma_f32 v37, -v24, v115, v37
	ds_read2_b32 v[114:115], v170 offset0:27 offset1:28
	ds_read2_b32 v[138:139], v170 offset0:29 offset1:30
	ds_read_b32 v156, v170 offset:124
	ds_read2_b32 v[154:155], v48 offset1:1
	v_fma_f32 v48, -v0, v50, v80
	v_fma_f32 v48, -v1, v147, v48
	s_waitcnt lgkmcnt(4)
	v_fma_f32 v37, -v25, v64, v37
	v_fma_f32 v40, -v2, v40, v48
	v_fma_f32 v37, -v26, v129, v37
	v_fma_f32 v40, -v3, v99, v40
	v_mul_f32_e32 v36, v142, v36
	v_fma_f32 v37, -v27, v130, v37
	v_fma_f32 v40, -v8, v132, v40
	;; [unrolled: 1-line block ×3, first 2 shown]
	ds_read2_b32 v[142:143], v118 offset0:27 offset1:28
	ds_read2_b32 v[160:161], v118 offset0:29 offset1:30
	ds_read_b32 v162, v118 offset:124
	v_fma_f32 v40, -v9, v49, v40
	ds_read2_b64 v[118:121], v113 offset0:13 offset1:14
	v_fma_f32 v40, -v10, v83, v40
	v_fma_f32 v40, -v11, v136, v40
	;; [unrolled: 1-line block ×3, first 2 shown]
	ds_read2_b64 v[122:125], v168 offset0:13 offset1:14
	v_fma_f32 v40, -v13, v151, v40
	s_waitcnt lgkmcnt(1)
	v_fma_f32 v40, -v14, v118, v40
	v_fma_f32 v40, -v15, v127, v40
	;; [unrolled: 1-line block ×4, first 2 shown]
	s_waitcnt lgkmcnt(0)
	v_fma_f32 v40, -v18, v122, v40
	v_fma_f32 v40, -v19, v149, v40
	s_add_i32 s10, s6, s10
	v_fma_f32 v38, -v20, v38, v40
	s_lshl_b32 s10, s10, 2
	v_fma_f32 v38, -v21, v157, v38
	v_fma_f32 v32, -v22, v32, v38
	v_mov_b32_e32 v38, s10
	ds_read2_b64 v[126:129], v38 offset0:13 offset1:14
	s_or_b32 s12, s6, 26
	v_fma_f32 v32, -v23, v163, v32
	v_fma_f32 v32, -v24, v116, v32
	s_lshl_b32 s10, s13, 6
	s_mul_i32 s13, s12, 0x104
	v_fma_f32 v32, -v25, v65, v32
	ds_read_b64 v[64:65], v38 offset:120
	v_mov_b32_e32 v38, s13
	ds_read2_b64 v[146:149], v38 offset1:1
	ds_read2_b32 v[82:83], v108 offset0:219 offset1:220
	s_waitcnt lgkmcnt(3)
	v_fma_f32 v32, -v26, v126, v32
	v_fma_f32 v32, -v27, v131, v32
	v_mul_f32_e32 v37, v154, v37
	v_fma_f32 v32, -v36, v144, v32
	s_add_i32 s13, s8, 0x56c
	v_fma_f32 v32, -v37, v155, v32
	v_mov_b32_e32 v38, s13
	ds_read_b64 v[98:99], v113 offset:120
	ds_read2_b32 v[48:49], v38 offset1:1
	s_waitcnt lgkmcnt(3)
	v_mul_f32_e32 v38, v146, v32
	v_fma_f32 v32, -v0, v51, v81
	v_fma_f32 v32, -v1, v94, v32
	;; [unrolled: 1-line block ×3, first 2 shown]
	s_waitcnt lgkmcnt(2)
	v_fma_f32 v32, -v3, v82, v32
	v_fma_f32 v32, -v8, v133, v32
	s_add_i32 s14, s8, 0x66c
	s_waitcnt lgkmcnt(0)
	v_fma_f32 v32, -v9, v48, v32
	v_mov_b32_e32 v48, s14
	ds_read_b64 v[104:105], v168 offset:120
	ds_read2_b32 v[40:41], v108 offset0:221 offset1:222
	ds_read2_b32 v[50:51], v48 offset1:1
	s_add_i32 s10, s6, s10
	s_add_i32 s14, s8, 0x86c
	s_lshl_b32 s10, s10, 2
	v_mov_b32_e32 v80, s14
	v_mov_b32_e32 v48, s10
	ds_read2_b32 v[80:81], v80 offset1:1
	ds_read2_b32 v[130:131], v48 offset0:27 offset1:28
	ds_read2_b32 v[132:133], v48 offset0:29 offset1:30
	v_fma_f32 v4, -v0, v4, v78
	s_waitcnt lgkmcnt(3)
	v_fma_f32 v32, -v10, v50, v32
	v_fma_f32 v4, -v1, v95, v4
	v_fma_f32 v32, -v11, v137, v32
	v_fma_f32 v4, -v2, v42, v4
	s_waitcnt lgkmcnt(2)
	v_fma_f32 v32, -v12, v80, v32
	v_fma_f32 v4, -v3, v83, v4
	;; [unrolled: 1-line block ×24, first 2 shown]
	s_lshl_b32 s11, s11, 6
	v_fma_f32 v32, -v24, v117, v32
	v_fma_f32 v4, -v19, v103, v4
	s_add_i32 s11, s6, s11
	v_fma_f32 v32, -v25, v114, v32
	v_fma_f32 v4, -v20, v28, v4
	s_lshl_b32 s11, s11, 2
	v_fma_f32 v32, -v26, v127, v32
	v_fma_f32 v4, -v21, v159, v4
	s_or_b32 s13, s6, 27
	v_fma_f32 v32, -v27, v142, v32
	v_fma_f32 v4, -v22, v34, v4
	v_mov_b32_e32 v28, s11
	v_fma_f32 v32, -v36, v145, v32
	s_lshl_b32 s10, s12, 6
	s_mul_i32 s12, s13, 0x104
	ds_read_b32 v90, v48 offset:124
	v_fma_f32 v4, -v23, v165, v4
	ds_read_b128 v[48:51], v28 offset:112
	ds_read_b32 v52, v108 offset:380
	s_waitcnt lgkmcnt(4)
	v_fma_f32 v39, -v37, v130, v32
	v_mov_b32_e32 v32, s12
	v_fma_f32 v4, -v24, v66, v4
	ds_read2_b32 v[32:33], v32 offset1:1
	v_fma_f32 v4, -v25, v115, v4
	v_fma_f32 v4, -v26, v128, v4
	s_or_b32 s12, s6, 28
	v_fma_f32 v4, -v27, v143, v4
	s_mul_i32 s11, s12, 0x104
	s_waitcnt lgkmcnt(2)
	v_fma_f32 v4, -v36, v48, v4
	v_fma_f32 v39, -v38, v147, v39
	v_mov_b32_e32 v28, s11
	ds_read_b128 v[80:83], v28
	v_fma_f32 v4, -v37, v131, v4
	s_waitcnt lgkmcnt(1)
	v_mul_f32_e32 v39, v32, v39
	v_fma_f32 v4, -v38, v148, v4
	v_fma_f32 v4, -v39, v33, v4
	ds_read2_b32 v[32:33], v108 offset0:93 offset1:94
	v_fma_f32 v5, -v0, v5, v79
	s_lshl_b32 s11, s13, 6
	s_add_i32 s13, s8, 0x574
	global_store_dwordx4 v[74:75], v[36:39], off offset:96
	s_waitcnt lgkmcnt(0)
	v_fma_f32 v5, -v1, v32, v5
	v_fma_f32 v5, -v2, v43, v5
	;; [unrolled: 1-line block ×3, first 2 shown]
	v_mov_b32_e32 v28, s13
	s_add_i32 s13, s8, 0x674
	v_fma_f32 v5, -v8, v45, v5
	v_mov_b32_e32 v32, s13
	ds_read2_b32 v[42:43], v28 offset1:1
	ds_read2_b32 v[44:45], v32 offset1:1
	v_fma_f32 v6, -v0, v6, v76
	s_add_i32 s11, s6, s11
	s_addk_i32 s8, 0x874
	v_fma_f32 v6, -v1, v33, v6
	s_lshl_b32 s11, s11, 2
	v_mov_b32_e32 v34, s8
	v_fma_f32 v6, -v2, v84, v6
	v_mov_b32_e32 v32, s11
	ds_read2_b32 v[60:61], v34 offset1:1
	ds_read2_b32 v[78:79], v32 offset0:29 offset1:30
	v_fma_f32 v6, -v3, v41, v6
	s_waitcnt lgkmcnt(3)
	v_fma_f32 v5, -v9, v42, v5
	v_fma_f32 v6, -v8, v46, v6
	s_waitcnt lgkmcnt(2)
	v_fma_f32 v5, -v10, v44, v5
	v_fma_f32 v6, -v9, v43, v6
	;; [unrolled: 1-line block ×4, first 2 shown]
	s_waitcnt lgkmcnt(1)
	v_fma_f32 v5, -v12, v60, v5
	v_fma_f32 v6, -v11, v54, v6
	;; [unrolled: 1-line block ×24, first 2 shown]
	s_or_b32 s12, s6, 29
	v_fma_f32 v5, -v24, v67, v5
	v_fma_f32 v6, -v23, v101, v6
	s_add_i32 s10, s6, s10
	v_fma_f32 v5, -v25, v138, v5
	s_mul_i32 s8, s12, 0x104
	v_fma_f32 v6, -v24, v68, v6
	s_lshl_b32 s10, s10, 2
	v_fma_f32 v5, -v26, v129, v5
	v_mov_b32_e32 v28, s8
	s_or_b32 s8, s6, 30
	v_fma_f32 v6, -v25, v139, v6
	v_fma_f32 v5, -v27, v160, v5
	v_mov_b32_e32 v34, s10
	s_mulk_i32 s8, 0x104
	v_fma_f32 v6, -v26, v64, v6
	v_fma_f32 v5, -v36, v49, v5
	ds_read2_b32 v[28:29], v28 offset1:1
	v_mov_b32_e32 v40, s8
	ds_read_b64 v[34:35], v34 offset:120
	ds_read_b64 v[48:49], v40
	ds_read_b32 v32, v32 offset:124
	v_fma_f32 v6, -v27, v161, v6
	v_fma_f32 v5, -v37, v132, v5
	;; [unrolled: 1-line block ×5, first 2 shown]
	v_mul_f32_e32 v4, v80, v4
	s_waitcnt lgkmcnt(4)
	v_fma_f32 v5, -v39, v78, v5
	s_waitcnt lgkmcnt(2)
	v_fma_f32 v6, -v38, v34, v6
	v_fma_f32 v5, -v4, v81, v5
	;; [unrolled: 1-line block ×3, first 2 shown]
	v_mul_f32_e32 v5, v28, v5
	v_fma_f32 v6, -v4, v82, v6
	v_add_u32_e32 v30, 0x7c, v108
	v_fma_f32 v6, -v5, v29, v6
	ds_read2st64_b32 v[28:29], v30 offset0:3 offset1:5
	v_fma_f32 v0, -v0, v7, v77
	v_fma_f32 v7, -v1, v52, v0
	ds_read2st64_b32 v[0:1], v30 offset0:6 offset1:8
	v_fma_f32 v2, -v2, v85, v7
	s_waitcnt lgkmcnt(1)
	v_fma_f32 v2, -v3, v28, v2
	v_fma_f32 v2, -v8, v47, v2
	;; [unrolled: 1-line block ×3, first 2 shown]
	s_waitcnt lgkmcnt(0)
	v_fma_f32 v0, -v10, v0, v2
	v_fma_f32 v0, -v11, v55, v0
	v_fma_f32 v0, -v12, v1, v0
	v_fma_f32 v0, -v13, v109, v0
	v_fma_f32 v0, -v14, v99, v0
	v_fma_f32 v0, -v15, v150, v0
	v_fma_f32 v0, -v16, v59, v0
	v_fma_f32 v0, -v17, v110, v0
	v_fma_f32 v0, -v18, v105, v0
	v_fma_f32 v0, -v19, v111, v0
	v_fma_f32 v0, -v20, v31, v0
	v_fma_f32 v0, -v21, v112, v0
	v_fma_f32 v0, -v22, v93, v0
	v_fma_f32 v0, -v23, v169, v0
	s_lshl_b32 s8, s12, 6
	v_fma_f32 v0, -v24, v69, v0
	s_add_i32 s8, s6, s8
	v_fma_f32 v0, -v25, v156, v0
	s_lshl_b32 s8, s8, 2
	v_fma_f32 v0, -v26, v65, v0
	s_or_b32 s10, s6, 31
	v_fma_f32 v0, -v27, v162, v0
	v_mov_b32_e32 v1, s8
	v_fma_f32 v0, -v36, v51, v0
	s_mul_i32 s8, s10, 0x104
	ds_read_b32 v1, v1 offset:124
	v_fma_f32 v0, -v37, v90, v0
	v_mov_b32_e32 v2, s8
	ds_read_b32 v2, v2
	v_fma_f32 v0, -v38, v35, v0
	v_fma_f32 v0, -v39, v32, v0
	;; [unrolled: 1-line block ×3, first 2 shown]
	v_mul_f32_e32 v6, v48, v6
	s_waitcnt lgkmcnt(1)
	v_fma_f32 v0, -v5, v1, v0
	v_fma_f32 v0, -v6, v49, v0
	s_add_i32 s8, s6, 32
	s_add_i32 s6, s6, 63
	s_addk_i32 s9, 0x80
	s_waitcnt lgkmcnt(0)
	v_mul_f32_e32 v7, v2, v0
	s_cmp_lt_i32 s6, s26
	global_store_dwordx4 v[74:75], v[4:7], off offset:112
	s_cbranch_scc0 .LBB44_57
; %bb.56:                               ;   in Loop: Header=BB44_52 Depth=1
	s_mov_b32 s6, s8
	s_branch .LBB44_52
.LBB44_57:
	s_cmp_lt_i32 s8, s26
	s_cbranch_scc0 .LBB44_82
; %bb.58:
	s_add_i32 s6, s8, 3
	s_cmp_ge_i32 s6, s26
	s_cbranch_scc1 .LBB44_70
; %bb.59:
	s_add_i32 s10, s8, -1
	s_lshl_b32 s11, s8, 2
	s_add_u32 s6, s2, s4
	s_addc_u32 s7, s3, s5
	s_add_u32 s6, s6, s0
	s_addc_u32 s7, s7, s1
	v_mov_b32_e32 v0, s7
	v_add_co_u32_e32 v10, vcc, s6, v70
	v_addc_co_u32_e32 v11, vcc, v0, v71, vcc
	v_add_co_u32_e32 v0, vcc, 28, v10
	s_mov_b32 s17, s16
	v_addc_co_u32_e32 v1, vcc, 0, v11, vcc
	s_mov_b32 s7, 0
	s_mov_b32 s13, s8
	;; [unrolled: 1-line block ×3, first 2 shown]
.LBB44_60:                              ; =>This Loop Header: Depth=1
                                        ;     Child Loop BB44_63 Depth 2
                                        ;     Child Loop BB44_67 Depth 2
	s_ashr_i32 s9, s8, 31
	s_lshl_b64 s[14:15], s[8:9], 2
	v_mov_b32_e32 v3, s15
	v_add_co_u32_e32 v2, vcc, s14, v106
	v_addc_co_u32_e32 v3, vcc, v107, v3, vcc
	global_load_dwordx4 v[6:9], v[2:3], off
	s_cmp_eq_u32 s8, 0
	s_waitcnt vmcnt(0)
	v_pk_mul_f32 v[6:7], v[6:7], s[16:17]
	v_pk_mul_f32 v[4:5], v[8:9], s[16:17]
	s_cbranch_scc1 .LBB44_68
; %bb.61:                               ;   in Loop: Header=BB44_60 Depth=1
	s_lshl_b32 s6, s12, 2
	s_add_i32 s6, s10, s6
	s_cmp_lt_u32 s6, 7
	s_cbranch_scc1 .LBB44_65
; %bb.62:                               ;   in Loop: Header=BB44_60 Depth=1
	s_and_b32 s6, s8, -8
	s_mov_b32 s9, 0
	v_pk_mov_b32 v[8:9], v[0:1], v[0:1] op_sel:[0,1]
	s_mov_b32 s14, s11
.LBB44_63:                              ;   Parent Loop BB44_60 Depth=1
                                        ; =>  This Inner Loop Header: Depth=2
	global_load_dwordx4 v[12:15], v[8:9], off offset:-28
	global_load_dwordx4 v[16:19], v[8:9], off offset:-12
	v_mov_b32_e32 v34, s14
	ds_read2_b32 v[20:21], v34 offset1:1
	ds_read2_b32 v[22:23], v34 offset0:2 offset1:3
	ds_read2_b32 v[24:25], v34 offset0:64 offset1:65
	;; [unrolled: 1-line block ×7, first 2 shown]
	s_add_i32 s15, s14, 0x400
	s_add_i32 s18, s14, 0x408
	;; [unrolled: 1-line block ×8, first 2 shown]
	v_mov_b32_e32 v36, s15
	v_mov_b32_e32 v38, s18
	;; [unrolled: 1-line block ×8, first 2 shown]
	ds_read2_b32 v[36:37], v36 offset1:1
	ds_read2_b32 v[38:39], v38 offset1:1
	;; [unrolled: 1-line block ×8, first 2 shown]
	s_add_i32 s9, s9, 8
	s_addk_i32 s14, 0x800
	v_add_co_u32_e32 v8, vcc, 32, v8
	v_addc_co_u32_e32 v9, vcc, 0, v9, vcc
	s_cmp_lg_u32 s6, s9
	s_waitcnt vmcnt(1) lgkmcnt(14)
	v_pk_fma_f32 v[6:7], v[12:13], v[20:21], v[6:7] op_sel_hi:[0,1,1] neg_lo:[1,0,0] neg_hi:[1,0,0]
	v_pk_fma_f32 v[4:5], v[12:13], v[22:23], v[4:5] op_sel_hi:[0,1,1] neg_lo:[1,0,0] neg_hi:[1,0,0]
	s_waitcnt lgkmcnt(13)
	v_pk_fma_f32 v[6:7], v[12:13], v[24:25], v[6:7] op_sel:[1,0,0] neg_lo:[1,0,0] neg_hi:[1,0,0]
	s_waitcnt lgkmcnt(12)
	v_pk_fma_f32 v[4:5], v[12:13], v[26:27], v[4:5] op_sel:[1,0,0] neg_lo:[1,0,0] neg_hi:[1,0,0]
	v_mov_b32_e32 v20, v15
	s_waitcnt lgkmcnt(11)
	v_pk_fma_f32 v[6:7], v[14:15], v[28:29], v[6:7] op_sel_hi:[0,1,1] neg_lo:[1,0,0] neg_hi:[1,0,0]
	s_waitcnt lgkmcnt(10)
	v_pk_fma_f32 v[4:5], v[14:15], v[30:31], v[4:5] op_sel_hi:[0,1,1] neg_lo:[1,0,0] neg_hi:[1,0,0]
	;; [unrolled: 2-line block ×4, first 2 shown]
	s_waitcnt vmcnt(0) lgkmcnt(7)
	v_pk_fma_f32 v[6:7], v[16:17], v[36:37], v[6:7] op_sel_hi:[0,1,1] neg_lo:[1,0,0] neg_hi:[1,0,0]
	s_waitcnt lgkmcnt(6)
	v_pk_fma_f32 v[4:5], v[16:17], v[38:39], v[4:5] op_sel_hi:[0,1,1] neg_lo:[1,0,0] neg_hi:[1,0,0]
	s_waitcnt lgkmcnt(5)
	v_pk_fma_f32 v[6:7], v[16:17], v[40:41], v[6:7] op_sel:[1,0,0] neg_lo:[1,0,0] neg_hi:[1,0,0]
	s_waitcnt lgkmcnt(4)
	v_pk_fma_f32 v[4:5], v[16:17], v[42:43], v[4:5] op_sel:[1,0,0] neg_lo:[1,0,0] neg_hi:[1,0,0]
	v_mov_b32_e32 v22, v19
	s_waitcnt lgkmcnt(3)
	v_pk_fma_f32 v[6:7], v[18:19], v[44:45], v[6:7] op_sel_hi:[0,1,1] neg_lo:[1,0,0] neg_hi:[1,0,0]
	s_waitcnt lgkmcnt(2)
	v_pk_fma_f32 v[4:5], v[18:19], v[46:47], v[4:5] op_sel_hi:[0,1,1] neg_lo:[1,0,0] neg_hi:[1,0,0]
	;; [unrolled: 2-line block ×4, first 2 shown]
	s_cbranch_scc1 .LBB44_63
; %bb.64:                               ;   in Loop: Header=BB44_60 Depth=1
	s_and_b32 s9, s8, 7
	s_cmp_eq_u32 s9, 0
	s_cbranch_scc0 .LBB44_66
	s_branch .LBB44_68
.LBB44_65:                              ;   in Loop: Header=BB44_60 Depth=1
	s_mov_b32 s6, 0
	s_and_b32 s9, s8, 7
	s_cmp_eq_u32 s9, 0
	s_cbranch_scc1 .LBB44_68
.LBB44_66:                              ;   in Loop: Header=BB44_60 Depth=1
	s_lshl_b64 s[18:19], s[6:7], 2
	v_mov_b32_e32 v9, s19
	v_add_co_u32_e32 v8, vcc, s18, v10
	s_and_b32 s9, s13, 7
	s_lshl_b32 s14, s6, 8
	v_addc_co_u32_e32 v9, vcc, v11, v9, vcc
.LBB44_67:                              ;   Parent Loop BB44_60 Depth=1
                                        ; =>  This Inner Loop Header: Depth=2
	global_load_dword v12, v[8:9], off
	s_add_i32 s6, s11, s14
	v_mov_b32_e32 v13, s6
	ds_read2_b32 v[14:15], v13 offset1:1
	ds_read2_b32 v[16:17], v13 offset0:2 offset1:3
	s_addk_i32 s14, 0x100
	v_add_co_u32_e32 v8, vcc, 4, v8
	s_add_i32 s9, s9, -1
	v_addc_co_u32_e32 v9, vcc, 0, v9, vcc
	s_cmp_lg_u32 s9, 0
	s_waitcnt vmcnt(0) lgkmcnt(1)
	v_pk_fma_f32 v[6:7], v[12:13], v[14:15], v[6:7] op_sel_hi:[0,1,1] neg_lo:[1,0,0] neg_hi:[1,0,0]
	s_waitcnt lgkmcnt(0)
	v_pk_fma_f32 v[4:5], v[12:13], v[16:17], v[4:5] op_sel_hi:[0,1,1] neg_lo:[1,0,0] neg_hi:[1,0,0]
	s_cbranch_scc1 .LBB44_67
.LBB44_68:                              ;   in Loop: Header=BB44_60 Depth=1
	s_mul_i32 s6, s8, 0x104
	v_mov_b32_e32 v18, s6
	s_lshl_b32 s6, s8, 6
	ds_read2_b32 v[8:9], v18 offset1:1
	ds_read2_b32 v[12:13], v18 offset0:130 offset1:131
	ds_read2_b32 v[14:15], v18 offset0:65 offset1:66
	ds_read2_b32 v[16:17], v18 offset0:2 offset1:3
	s_add_i32 s6, s6, s8
	s_lshl_b32 s6, s6, 2
	s_waitcnt lgkmcnt(3)
	v_mul_f32_e32 v6, v8, v6
	v_mov_b32_e32 v8, s6
	v_fma_f32 v7, -v6, v9, v7
	ds_read_b32 v9, v8 offset:268
	s_waitcnt lgkmcnt(2)
	v_mul_f32_e32 v7, v14, v7
	ds_read_b32 v14, v18 offset:780
	s_waitcnt lgkmcnt(2)
	v_fma_f32 v4, -v6, v16, v4
	v_fma_f32 v4, -v7, v15, v4
	v_mul_f32_e32 v8, v12, v4
	v_fma_f32 v4, -v6, v17, v5
	s_waitcnt lgkmcnt(1)
	v_fma_f32 v4, -v7, v9, v4
	v_fma_f32 v4, -v8, v13, v4
	s_waitcnt lgkmcnt(0)
	v_mul_f32_e32 v9, v14, v4
	global_store_dwordx4 v[2:3], v[6:9], off
	s_add_i32 s6, s8, 4
	s_add_i32 s8, s8, 7
	;; [unrolled: 1-line block ×4, first 2 shown]
	v_add_u16_e64 v2, s13, 4
	s_cmp_lt_i32 s8, s26
	v_readfirstlane_b32 s13, v2
	s_cbranch_scc0 .LBB44_71
; %bb.69:                               ;   in Loop: Header=BB44_60 Depth=1
	s_mov_b32 s8, s6
	s_branch .LBB44_60
.LBB44_70:
	s_mov_b32 s6, s8
.LBB44_71:
	s_cmp_ge_i32 s6, s26
	s_cbranch_scc1 .LBB44_82
; %bb.72:
	s_add_i32 s8, s6, -1
	s_lshl_b32 s9, s6, 2
	s_add_u32 s2, s2, s4
	s_addc_u32 s3, s3, s5
	s_add_u32 s0, s2, s0
	s_addc_u32 s1, s3, s1
	v_mov_b32_e32 v0, s1
	v_add_co_u32_e32 v6, vcc, s0, v70
	v_addc_co_u32_e32 v7, vcc, v0, v71, vcc
	v_add_co_u32_e32 v0, vcc, 28, v6
	v_addc_co_u32_e32 v1, vcc, 0, v7, vcc
	s_mov_b32 s1, 0
	s_mov_b32 s3, s6
	;; [unrolled: 1-line block ×3, first 2 shown]
	s_branch .LBB44_74
.LBB44_73:                              ;   in Loop: Header=BB44_74 Depth=1
	s_mul_i32 s0, s6, 0x104
	v_mov_b32_e32 v4, s0
	ds_read_b32 v4, v4
	s_add_i32 s6, s6, 1
	s_add_i32 s2, s2, 1
	;; [unrolled: 1-line block ×3, first 2 shown]
	v_add_u16_e64 v5, s3, 1
	s_waitcnt lgkmcnt(0)
	v_mul_f32_e32 v4, v4, v8
	s_cmp_ge_i32 s6, s26
	v_readfirstlane_b32 s3, v5
	global_store_dword v[2:3], v4, off
	s_cbranch_scc1 .LBB44_82
.LBB44_74:                              ; =>This Loop Header: Depth=1
                                        ;     Child Loop BB44_77 Depth 2
                                        ;     Child Loop BB44_81 Depth 2
	s_ashr_i32 s7, s6, 31
	s_lshl_b64 s[4:5], s[6:7], 2
	v_mov_b32_e32 v3, s5
	v_add_co_u32_e32 v2, vcc, s4, v106
	v_addc_co_u32_e32 v3, vcc, v107, v3, vcc
	global_load_dword v4, v[2:3], off
	s_cmp_eq_u32 s6, 0
	s_waitcnt vmcnt(0)
	v_mul_f32_e32 v8, s16, v4
	s_cbranch_scc1 .LBB44_73
; %bb.75:                               ;   in Loop: Header=BB44_74 Depth=1
	s_add_i32 s0, s8, s2
	s_cmp_lt_u32 s0, 7
	s_cbranch_scc1 .LBB44_79
; %bb.76:                               ;   in Loop: Header=BB44_74 Depth=1
	s_and_b32 s0, s6, -8
	s_mov_b32 s4, 0
	v_pk_mov_b32 v[4:5], v[0:1], v[0:1] op_sel:[0,1]
	s_mov_b32 s5, s9
.LBB44_77:                              ;   Parent Loop BB44_74 Depth=1
                                        ; =>  This Inner Loop Header: Depth=2
	global_load_dwordx4 v[10:13], v[4:5], off offset:-28
	global_load_dwordx4 v[14:17], v[4:5], off offset:-12
	v_mov_b32_e32 v9, s5
	ds_read2st64_b32 v[18:19], v9 offset1:1
	ds_read2st64_b32 v[20:21], v9 offset0:2 offset1:3
	ds_read2st64_b32 v[22:23], v9 offset0:4 offset1:5
	;; [unrolled: 1-line block ×3, first 2 shown]
	s_add_i32 s4, s4, 8
	s_addk_i32 s5, 0x800
	v_add_co_u32_e32 v4, vcc, 32, v4
	v_addc_co_u32_e32 v5, vcc, 0, v5, vcc
	s_cmp_lg_u32 s0, s4
	s_waitcnt vmcnt(1) lgkmcnt(3)
	v_fma_f32 v8, -v10, v18, v8
	v_fma_f32 v8, -v11, v19, v8
	s_waitcnt lgkmcnt(2)
	v_fma_f32 v8, -v12, v20, v8
	v_fma_f32 v8, -v13, v21, v8
	s_waitcnt vmcnt(0) lgkmcnt(1)
	v_fma_f32 v8, -v14, v22, v8
	v_fma_f32 v8, -v15, v23, v8
	s_waitcnt lgkmcnt(0)
	v_fma_f32 v8, -v16, v24, v8
	v_fma_f32 v8, -v17, v25, v8
	s_cbranch_scc1 .LBB44_77
; %bb.78:                               ;   in Loop: Header=BB44_74 Depth=1
	s_and_b32 s4, s6, 7
	s_cmp_eq_u32 s4, 0
	s_cbranch_scc0 .LBB44_80
	s_branch .LBB44_73
.LBB44_79:                              ;   in Loop: Header=BB44_74 Depth=1
	s_mov_b32 s0, 0
	s_and_b32 s4, s6, 7
	s_cmp_eq_u32 s4, 0
	s_cbranch_scc1 .LBB44_73
.LBB44_80:                              ;   in Loop: Header=BB44_74 Depth=1
	s_lshl_b64 s[10:11], s[0:1], 2
	v_mov_b32_e32 v5, s11
	v_add_co_u32_e32 v4, vcc, s10, v6
	s_and_b32 s4, s3, 7
	s_lshl_b32 s5, s0, 8
	v_addc_co_u32_e32 v5, vcc, v7, v5, vcc
.LBB44_81:                              ;   Parent Loop BB44_74 Depth=1
                                        ; =>  This Inner Loop Header: Depth=2
	global_load_dword v9, v[4:5], off
	s_add_i32 s0, s9, s5
	v_mov_b32_e32 v10, s0
	ds_read_b32 v10, v10
	s_addk_i32 s5, 0x100
	v_add_co_u32_e32 v4, vcc, 4, v4
	s_add_i32 s4, s4, -1
	v_addc_co_u32_e32 v5, vcc, 0, v5, vcc
	s_cmp_lg_u32 s4, 0
	s_waitcnt vmcnt(0) lgkmcnt(0)
	v_fma_f32 v8, -v9, v10, v8
	s_cbranch_scc1 .LBB44_81
	s_branch .LBB44_73
.LBB44_82:
	s_endpgm
	.section	.rodata,"a",@progbits
	.p2align	6, 0x0
	.amdhsa_kernel _ZL30rocblas_trsm_small_left_deviceILi64ELi32ELb1EffPKfPfEv13rocblas_fill_18rocblas_operation_17rocblas_diagonal_iiT3_T4_lilT5_lili
		.amdhsa_group_segment_fixed_size 16384
		.amdhsa_private_segment_fixed_size 0
		.amdhsa_kernarg_size 352
		.amdhsa_user_sgpr_count 6
		.amdhsa_user_sgpr_private_segment_buffer 1
		.amdhsa_user_sgpr_dispatch_ptr 0
		.amdhsa_user_sgpr_queue_ptr 0
		.amdhsa_user_sgpr_kernarg_segment_ptr 1
		.amdhsa_user_sgpr_dispatch_id 0
		.amdhsa_user_sgpr_flat_scratch_init 0
		.amdhsa_user_sgpr_kernarg_preload_length 0
		.amdhsa_user_sgpr_kernarg_preload_offset 0
		.amdhsa_user_sgpr_private_segment_size 0
		.amdhsa_uses_dynamic_stack 0
		.amdhsa_system_sgpr_private_segment_wavefront_offset 0
		.amdhsa_system_sgpr_workgroup_id_x 1
		.amdhsa_system_sgpr_workgroup_id_y 0
		.amdhsa_system_sgpr_workgroup_id_z 1
		.amdhsa_system_sgpr_workgroup_info 0
		.amdhsa_system_vgpr_workitem_id 0
		.amdhsa_next_free_vgpr 171
		.amdhsa_next_free_sgpr 43
		.amdhsa_accum_offset 172
		.amdhsa_reserve_vcc 1
		.amdhsa_reserve_flat_scratch 0
		.amdhsa_float_round_mode_32 0
		.amdhsa_float_round_mode_16_64 0
		.amdhsa_float_denorm_mode_32 3
		.amdhsa_float_denorm_mode_16_64 3
		.amdhsa_dx10_clamp 1
		.amdhsa_ieee_mode 1
		.amdhsa_fp16_overflow 0
		.amdhsa_tg_split 0
		.amdhsa_exception_fp_ieee_invalid_op 0
		.amdhsa_exception_fp_denorm_src 0
		.amdhsa_exception_fp_ieee_div_zero 0
		.amdhsa_exception_fp_ieee_overflow 0
		.amdhsa_exception_fp_ieee_underflow 0
		.amdhsa_exception_fp_ieee_inexact 0
		.amdhsa_exception_int_div_zero 0
	.end_amdhsa_kernel
	.section	.text._ZL30rocblas_trsm_small_left_deviceILi64ELi32ELb1EffPKfPfEv13rocblas_fill_18rocblas_operation_17rocblas_diagonal_iiT3_T4_lilT5_lili,"axG",@progbits,_ZL30rocblas_trsm_small_left_deviceILi64ELi32ELb1EffPKfPfEv13rocblas_fill_18rocblas_operation_17rocblas_diagonal_iiT3_T4_lilT5_lili,comdat
.Lfunc_end44:
	.size	_ZL30rocblas_trsm_small_left_deviceILi64ELi32ELb1EffPKfPfEv13rocblas_fill_18rocblas_operation_17rocblas_diagonal_iiT3_T4_lilT5_lili, .Lfunc_end44-_ZL30rocblas_trsm_small_left_deviceILi64ELi32ELb1EffPKfPfEv13rocblas_fill_18rocblas_operation_17rocblas_diagonal_iiT3_T4_lilT5_lili
                                        ; -- End function
	.section	.AMDGPU.csdata,"",@progbits
; Kernel info:
; codeLenInByte = 24036
; NumSgprs: 47
; NumVgprs: 171
; NumAgprs: 0
; TotalNumVgprs: 171
; ScratchSize: 0
; MemoryBound: 1
; FloatMode: 240
; IeeeMode: 1
; LDSByteSize: 16384 bytes/workgroup (compile time only)
; SGPRBlocks: 5
; VGPRBlocks: 21
; NumSGPRsForWavesPerEU: 47
; NumVGPRsForWavesPerEU: 171
; AccumOffset: 172
; Occupancy: 1
; WaveLimiterHint : 0
; COMPUTE_PGM_RSRC2:SCRATCH_EN: 0
; COMPUTE_PGM_RSRC2:USER_SGPR: 6
; COMPUTE_PGM_RSRC2:TRAP_HANDLER: 0
; COMPUTE_PGM_RSRC2:TGID_X_EN: 1
; COMPUTE_PGM_RSRC2:TGID_Y_EN: 0
; COMPUTE_PGM_RSRC2:TGID_Z_EN: 1
; COMPUTE_PGM_RSRC2:TIDIG_COMP_CNT: 0
; COMPUTE_PGM_RSRC3_GFX90A:ACCUM_OFFSET: 42
; COMPUTE_PGM_RSRC3_GFX90A:TG_SPLIT: 0
	.section	.text._ZL31rocblas_trsm_small_right_deviceIffPKfPfLi64EEv13rocblas_fill_18rocblas_operation_17rocblas_diagonal_iiT0_T1_lilT2_lili,"axG",@progbits,_ZL31rocblas_trsm_small_right_deviceIffPKfPfLi64EEv13rocblas_fill_18rocblas_operation_17rocblas_diagonal_iiT0_T1_lilT2_lili,comdat
	.globl	_ZL31rocblas_trsm_small_right_deviceIffPKfPfLi64EEv13rocblas_fill_18rocblas_operation_17rocblas_diagonal_iiT0_T1_lilT2_lili ; -- Begin function _ZL31rocblas_trsm_small_right_deviceIffPKfPfLi64EEv13rocblas_fill_18rocblas_operation_17rocblas_diagonal_iiT0_T1_lilT2_lili
	.p2align	8
	.type	_ZL31rocblas_trsm_small_right_deviceIffPKfPfLi64EEv13rocblas_fill_18rocblas_operation_17rocblas_diagonal_iiT0_T1_lilT2_lili,@function
_ZL31rocblas_trsm_small_right_deviceIffPKfPfLi64EEv13rocblas_fill_18rocblas_operation_17rocblas_diagonal_iiT0_T1_lilT2_lili: ; @_ZL31rocblas_trsm_small_right_deviceIffPKfPfLi64EEv13rocblas_fill_18rocblas_operation_17rocblas_diagonal_iiT0_T1_lilT2_lili
; %bb.0:
	s_load_dwordx4 s[12:15], s[4:5], 0x0
	s_load_dwordx2 s[20:21], s[4:5], 0x10
	s_load_dwordx4 s[8:11], s[4:5], 0x30
	s_load_dwordx2 s[2:3], s[4:5], 0x40
	s_mov_b32 s0, s7
	s_mov_b32 s28, 0
	s_waitcnt lgkmcnt(0)
	s_min_i32 s1, s20, 64
	v_cmp_gt_i32_e32 vcc, s1, v0
	s_and_saveexec_b64 s[22:23], vcc
	s_cbranch_execz .LBB45_14
; %bb.1:
	s_load_dword s24, s[4:5], 0x28
	s_load_dwordx4 s[16:19], s[4:5], 0x18
	s_cmp_gt_u32 s1, 1
	s_cselect_b64 s[26:27], -1, 0
	s_mov_b32 s7, 1
	s_waitcnt lgkmcnt(0)
	s_cmp_eq_u32 s24, 1
	s_cselect_b64 s[30:31], -1, 0
	s_and_b64 s[30:31], s[26:27], s[30:31]
	s_mov_b64 s[26:27], -1
	s_and_b64 vcc, exec, s[30:31]
	s_cbranch_vccz .LBB45_9
; %bb.2:
	s_add_i32 s26, s1, -2
	s_lshr_b32 s27, s26, 1
	s_add_i32 s27, s27, 1
	s_mov_b32 s25, 0
	s_cmp_lt_u32 s26, 14
	s_mov_b32 s26, s25
	s_cbranch_scc1 .LBB45_5
; %bb.3:
	s_mul_i32 s7, s9, s0
	s_mul_hi_u32 s25, s8, s0
	s_add_i32 s31, s25, s7
	s_mul_i32 s30, s8, s0
	s_and_b32 s28, s27, -8
	s_lshl_b64 s[30:31], s[30:31], 2
	s_lshl_b64 s[34:35], s[18:19], 2
	s_add_u32 s7, s30, s34
	s_addc_u32 s25, s31, s35
	s_add_u32 s7, s16, s7
	v_lshlrev_b32_e32 v1, 2, v0
	s_addc_u32 s25, s17, s25
	v_mov_b32_e32 v2, s25
	v_add_co_u32_e32 v1, vcc, s7, v1
	v_addc_co_u32_e32 v3, vcc, 0, v2, vcc
	v_add_co_u32_e32 v2, vcc, 56, v1
	v_addc_co_u32_e32 v3, vcc, 0, v3, vcc
	s_mov_b32 s7, 1
	s_mov_b32 s26, 0
	;; [unrolled: 1-line block ×3, first 2 shown]
.LBB45_4:                               ; =>This Inner Loop Header: Depth=1
	global_load_dwordx4 v[4:7], v[2:3], off offset:-56
	global_load_dwordx4 v[8:11], v[2:3], off offset:-40
	;; [unrolled: 1-line block ×4, first 2 shown]
	s_lshl_b32 s29, s25, 6
	s_lshl_b32 s30, s7, 6
	s_add_i32 s26, s26, 16
	s_add_i32 s7, s7, 16
	;; [unrolled: 1-line block ×3, first 2 shown]
	s_add_i32 s28, s28, -8
	v_add_co_u32_e32 v2, vcc, 64, v2
	v_or_b32_e32 v1, s30, v0
	v_or_b32_e32 v20, s29, v0
	s_add_i32 s31, s29, 0x80
	s_add_i32 s33, s30, 0x80
	;; [unrolled: 1-line block ×12, first 2 shown]
	s_addk_i32 s29, 0x380
	s_addk_i32 s30, 0x380
	v_addc_co_u32_e32 v3, vcc, 0, v3, vcc
	v_lshlrev_b32_e32 v20, 2, v20
	v_or_b32_e32 v21, s33, v0
	v_or_b32_e32 v22, s31, v0
	;; [unrolled: 1-line block ×14, first 2 shown]
	s_cmp_lg_u32 s28, 0
	v_lshlrev_b32_e32 v1, 2, v1
	v_lshlrev_b32_e32 v22, 2, v22
	;; [unrolled: 1-line block ×15, first 2 shown]
	s_waitcnt vmcnt(3)
	ds_write_b32 v20, v4
	ds_write_b32 v1, v5
	ds_write_b32 v22, v6
	ds_write_b32 v21, v7
	s_waitcnt vmcnt(2)
	ds_write_b32 v24, v8
	ds_write_b32 v23, v9
	ds_write_b32 v26, v10
	ds_write_b32 v25, v11
	s_waitcnt vmcnt(1)
	ds_write_b32 v28, v12
	ds_write_b32 v27, v13
	ds_write_b32 v30, v14
	ds_write_b32 v29, v15
	s_waitcnt vmcnt(0)
	ds_write_b32 v32, v16
	ds_write_b32 v31, v17
	ds_write_b32 v34, v18
	ds_write_b32 v33, v19
	s_cbranch_scc1 .LBB45_4
.LBB45_5:
	s_and_b32 s28, s27, 7
	s_cmp_eq_u32 s28, 0
	s_mov_b32 s27, 0
	s_cbranch_scc1 .LBB45_8
; %bb.6:
	s_mul_i32 s29, s9, s0
	s_mul_hi_u32 s30, s8, s0
	s_add_i32 s31, s30, s29
	s_mul_i32 s30, s8, s0
	s_lshl_b64 s[30:31], s[30:31], 2
	s_lshl_b64 s[34:35], s[18:19], 2
	s_add_u32 s29, s30, s34
	s_addc_u32 s30, s31, s35
	s_lshl_b64 s[26:27], s[26:27], 2
	s_add_u32 s26, s16, s26
	s_addc_u32 s27, s17, s27
	s_add_u32 s26, s26, s29
	v_lshlrev_b32_e32 v1, 2, v0
	s_addc_u32 s27, s27, s30
	v_mov_b32_e32 v3, s27
	v_add_co_u32_e32 v2, vcc, s26, v1
	v_addc_co_u32_e32 v3, vcc, 0, v3, vcc
	s_lshl_b32 s26, s28, 3
.LBB45_7:                               ; =>This Inner Loop Header: Depth=1
	global_load_dwordx2 v[4:5], v[2:3], off
	v_lshl_or_b32 v6, s25, 8, v1
	v_lshl_or_b32 v7, s7, 8, v1
	s_add_i32 s7, s7, 2
	s_add_i32 s25, s25, 2
	v_add_co_u32_e32 v2, vcc, 8, v2
	s_add_i32 s26, s26, -8
	v_addc_co_u32_e32 v3, vcc, 0, v3, vcc
	s_cmp_lg_u32 s26, 0
	s_waitcnt vmcnt(0)
	ds_write_b32 v6, v4
	ds_write_b32 v7, v5
	s_cbranch_scc1 .LBB45_7
.LBB45_8:
	s_and_b32 s28, s1, -2
	s_cmp_lg_u32 s1, s28
	s_cselect_b64 s[26:27], -1, 0
.LBB45_9:
	s_and_b64 vcc, exec, s[26:27]
	s_cbranch_vccz .LBB45_12
; %bb.10:
	s_ashr_i32 s25, s24, 31
	s_mul_i32 s7, s9, s0
	s_mul_hi_u32 s9, s8, s0
	s_add_i32 s9, s9, s7
	s_mul_hi_u32 s7, s24, s28
	s_mul_i32 s26, s25, s28
	s_mul_i32 s8, s8, s0
	s_add_i32 s27, s7, s26
	s_mul_i32 s26, s24, s28
	s_lshl_b64 s[8:9], s[8:9], 2
	s_lshl_b64 s[26:27], s[26:27], 2
	s_add_u32 s7, s8, s26
	s_addc_u32 s26, s9, s27
	s_lshl_b64 s[8:9], s[18:19], 2
	s_add_u32 s7, s7, s8
	s_addc_u32 s8, s26, s9
	s_add_u32 s7, s16, s7
	v_lshlrev_b32_e32 v1, 2, v0
	s_addc_u32 s8, s17, s8
	v_mov_b32_e32 v3, s8
	v_add_co_u32_e32 v2, vcc, s7, v1
	s_lshl_b64 s[8:9], s[24:25], 2
	v_addc_co_u32_e32 v3, vcc, 0, v3, vcc
	v_lshl_or_b32 v1, s28, 8, v1
	s_sub_i32 s7, s1, s28
	v_mov_b32_e32 v4, s9
.LBB45_11:                              ; =>This Inner Loop Header: Depth=1
	global_load_dword v5, v[2:3], off
	v_add_co_u32_e32 v2, vcc, s8, v2
	s_add_i32 s7, s7, -1
	v_addc_co_u32_e32 v3, vcc, v3, v4, vcc
	s_cmp_eq_u32 s7, 0
	s_waitcnt vmcnt(0)
	ds_write_b32 v1, v5
	v_add_u32_e32 v1, 0x100, v1
	s_cbranch_scc0 .LBB45_11
.LBB45_12:
	s_cmpk_eq_i32 s14, 0x84
	s_cbranch_scc0 .LBB45_14
; %bb.13:
	v_mul_u32_u24_e32 v1, 0x41, v0
	v_lshlrev_b32_e32 v1, 2, v1
	v_mov_b32_e32 v2, 1.0
	ds_write_b32 v1, v2
.LBB45_14:
	s_or_b64 exec, exec, s[22:23]
	s_load_dword s7, s[4:5], 0x60
	s_load_dword s8, s[4:5], 0x48
	s_load_dwordx2 s[16:17], s[4:5], 0x50
	s_lshl_b32 s4, s6, 6
	s_sub_i32 s4, s15, s4
	s_waitcnt lgkmcnt(0)
	s_add_i32 s7, s7, -1
	s_cmp_ge_u32 s6, s7
	s_cselect_b32 s9, s4, 64
	s_ashr_i32 s7, s6, 31
	s_lshl_b64 s[4:5], s[6:7], 8
	s_cmp_gt_i32 s20, 0
	v_cmp_gt_i32_e32 vcc, s9, v0
	s_cselect_b64 s[6:7], -1, 0
	s_mov_b32 s23, 0
	s_and_b64 s[6:7], vcc, s[6:7]
	s_and_saveexec_b64 s[14:15], s[6:7]
	s_cbranch_execz .LBB45_26
; %bb.15:
	s_cmp_lt_u32 s20, 2
	s_cselect_b64 s[24:25], -1, 0
	s_cmp_lg_u32 s8, 1
	s_cselect_b64 s[26:27], -1, 0
	s_or_b64 s[24:25], s[24:25], s[26:27]
	s_mov_b32 s9, 1
	s_mov_b64 s[18:19], -1
	s_and_b64 vcc, exec, s[24:25]
	s_cbranch_vccnz .LBB45_23
; %bb.16:
	s_add_i32 s22, s20, -2
	s_lshr_b32 s23, s22, 1
	s_add_i32 s23, s23, 1
	s_mov_b32 s24, 0
	s_mov_b32 s18, s21
	;; [unrolled: 1-line block ×3, first 2 shown]
	s_cmp_lt_u32 s22, 14
	s_mov_b32 s22, s24
	s_cbranch_scc1 .LBB45_19
; %bb.17:
	s_mul_i32 s9, s17, s0
	s_mul_hi_u32 s22, s16, s0
	s_add_i32 s27, s22, s9
	s_mul_i32 s26, s16, s0
	s_and_b32 s25, s23, -8
	s_lshl_b64 s[26:27], s[26:27], 2
	s_add_u32 s9, s26, s4
	s_addc_u32 s22, s27, s5
	s_lshl_b64 s[26:27], s[2:3], 2
	s_add_u32 s9, s9, s26
	s_addc_u32 s22, s22, s27
	s_add_u32 s9, s10, s9
	v_lshlrev_b32_e32 v1, 2, v0
	s_addc_u32 s22, s11, s22
	v_mov_b32_e32 v2, s22
	v_add_co_u32_e32 v1, vcc, s9, v1
	v_addc_co_u32_e32 v3, vcc, 0, v2, vcc
	v_add_co_u32_e32 v2, vcc, 56, v1
	v_addc_co_u32_e32 v3, vcc, 0, v3, vcc
	s_mov_b32 s9, 1
	s_mov_b32 s22, 0
.LBB45_18:                              ; =>This Inner Loop Header: Depth=1
	global_load_dwordx4 v[4:7], v[2:3], off offset:-56
	global_load_dwordx4 v[8:11], v[2:3], off offset:-40
	;; [unrolled: 1-line block ×4, first 2 shown]
	s_lshl_b32 s26, s24, 6
	s_lshl_b32 s27, s9, 6
	s_add_i32 s22, s22, 16
	s_add_i32 s9, s9, 16
	;; [unrolled: 1-line block ×3, first 2 shown]
	s_add_i32 s25, s25, -8
	v_add_co_u32_e32 v2, vcc, 64, v2
	v_or_b32_e32 v1, s27, v0
	v_or_b32_e32 v20, s26, v0
	s_add_i32 s28, s26, 0x80
	s_add_i32 s29, s27, 0x80
	;; [unrolled: 1-line block ×12, first 2 shown]
	s_addk_i32 s26, 0x380
	s_addk_i32 s27, 0x380
	v_addc_co_u32_e32 v3, vcc, 0, v3, vcc
	v_lshlrev_b32_e32 v20, 2, v20
	v_or_b32_e32 v21, s29, v0
	v_or_b32_e32 v22, s28, v0
	;; [unrolled: 1-line block ×14, first 2 shown]
	s_cmp_lg_u32 s25, 0
	v_lshlrev_b32_e32 v1, 2, v1
	v_lshlrev_b32_e32 v22, 2, v22
	;; [unrolled: 1-line block ×15, first 2 shown]
	s_waitcnt vmcnt(3)
	v_pk_mul_f32 v[4:5], v[4:5], s[18:19]
	v_pk_mul_f32 v[6:7], v[6:7], s[18:19]
	s_waitcnt vmcnt(2)
	v_pk_mul_f32 v[8:9], v[8:9], s[18:19]
	v_pk_mul_f32 v[10:11], v[10:11], s[18:19]
	;; [unrolled: 3-line block ×4, first 2 shown]
	ds_write_b32 v20, v4 offset:16384
	ds_write_b32 v1, v5 offset:16384
	;; [unrolled: 1-line block ×16, first 2 shown]
	s_cbranch_scc1 .LBB45_18
.LBB45_19:
	s_and_b32 s25, s23, 7
	s_cmp_eq_u32 s25, 0
	s_mov_b32 s23, 0
	s_cbranch_scc1 .LBB45_22
; %bb.20:
	s_mul_i32 s26, s17, s0
	s_mul_hi_u32 s27, s16, s0
	s_add_i32 s27, s27, s26
	s_mul_i32 s26, s16, s0
	s_lshl_b64 s[26:27], s[26:27], 2
	s_add_u32 s28, s26, s4
	s_addc_u32 s29, s27, s5
	s_lshl_b64 s[26:27], s[2:3], 2
	s_add_u32 s26, s28, s26
	s_addc_u32 s27, s29, s27
	;; [unrolled: 3-line block ×3, first 2 shown]
	s_add_u32 s22, s22, s26
	v_lshlrev_b32_e32 v1, 2, v0
	s_addc_u32 s23, s23, s27
	v_mov_b32_e32 v3, s23
	v_add_co_u32_e32 v2, vcc, s22, v1
	v_addc_co_u32_e32 v3, vcc, 0, v3, vcc
.LBB45_21:                              ; =>This Inner Loop Header: Depth=1
	global_load_dwordx2 v[4:5], v[2:3], off
	v_lshl_or_b32 v6, s24, 8, v1
	v_lshl_or_b32 v7, s9, 8, v1
	s_add_i32 s9, s9, 2
	s_add_i32 s24, s24, 2
	v_add_co_u32_e32 v2, vcc, 8, v2
	s_add_i32 s25, s25, -1
	v_addc_co_u32_e32 v3, vcc, 0, v3, vcc
	s_cmp_lg_u32 s25, 0
	s_waitcnt vmcnt(0)
	v_pk_mul_f32 v[4:5], v[4:5], s[18:19]
	ds_write_b32 v6, v4 offset:16384
	ds_write_b32 v7, v5 offset:16384
	s_cbranch_scc1 .LBB45_21
.LBB45_22:
	s_and_b32 s23, s20, 0x7ffffffe
	s_cmp_lg_u32 s23, s20
	s_cselect_b64 s[18:19], -1, 0
.LBB45_23:
	s_and_b64 vcc, exec, s[18:19]
	s_cbranch_vccz .LBB45_26
; %bb.24:
	s_mul_i32 s18, s17, s0
	s_mul_hi_u32 s19, s16, s0
	s_add_i32 s19, s19, s18
	s_mul_i32 s18, s16, s0
	s_mul_hi_i32 s25, s8, s23
	s_mul_i32 s24, s8, s23
	s_ashr_i32 s9, s8, 31
	s_sub_i32 s22, s20, s23
	s_lshl_b64 s[18:19], s[18:19], 2
	s_lshl_b64 s[24:25], s[24:25], 2
	s_add_u32 s18, s18, s24
	v_lshlrev_b32_e32 v2, 2, v0
	s_addc_u32 s19, s19, s25
	v_lshl_or_b32 v1, s23, 8, v2
	s_add_u32 s23, s18, s4
	s_addc_u32 s24, s19, s5
	s_lshl_b64 s[18:19], s[2:3], 2
	s_add_u32 s18, s23, s18
	s_addc_u32 s19, s24, s19
	s_add_u32 s18, s10, s18
	s_addc_u32 s19, s11, s19
	v_mov_b32_e32 v3, s19
	v_add_co_u32_e32 v2, vcc, s18, v2
	s_lshl_b64 s[18:19], s[8:9], 2
	v_add_u32_e32 v1, 0x4000, v1
	v_addc_co_u32_e32 v3, vcc, 0, v3, vcc
	v_mov_b32_e32 v4, s19
.LBB45_25:                              ; =>This Inner Loop Header: Depth=1
	global_load_dword v5, v[2:3], off
	s_add_i32 s22, s22, -1
	v_add_co_u32_e32 v2, vcc, s18, v2
	v_addc_co_u32_e32 v3, vcc, v3, v4, vcc
	s_cmp_lg_u32 s22, 0
	s_waitcnt vmcnt(0)
	v_mul_f32_e32 v5, s21, v5
	ds_write_b32 v1, v5
	v_add_u32_e32 v1, 0x100, v1
	s_cbranch_scc1 .LBB45_25
.LBB45_26:
	s_or_b64 exec, exec, s[14:15]
	s_cmpk_eq_i32 s13, 0x6f
	s_cselect_b64 s[18:19], -1, 0
	s_cmpk_eq_i32 s12, 0x79
	s_cselect_b64 s[22:23], -1, 0
	s_cmpk_lg_i32 s12, 0x79
	s_cselect_b64 s[14:15], -1, 0
	s_and_b64 s[22:23], s[22:23], s[18:19]
	s_andn2_b64 vcc, exec, s[22:23]
	s_mov_b64 s[22:23], -1
	s_waitcnt lgkmcnt(0)
	; wave barrier
	s_waitcnt lgkmcnt(0)
	s_cbranch_vccz .LBB45_101
; %bb.27:
	s_cmpk_lg_i32 s12, 0x7a
	s_cselect_b64 s[12:13], -1, 0
	s_xor_b64 s[18:19], s[18:19], -1
	s_add_i32 s9, s1, -1
	s_or_b64 s[18:19], s[12:13], s[18:19]
	s_cmp_gt_i32 s20, 3
	s_cselect_b64 s[12:13], -1, 0
	s_and_b64 vcc, exec, s[18:19]
	s_cbranch_vccz .LBB45_80
; %bb.28:
	s_andn2_b64 vcc, exec, s[14:15]
	s_mov_b64 s[14:15], -1
	s_cbranch_vccnz .LBB45_53
; %bb.29:
	s_andn2_b64 vcc, exec, s[12:13]
	s_mov_b32 s21, 0
	s_cbranch_vccnz .LBB45_41
; %bb.30:
	v_mov_b32_e32 v1, 0x4000
	v_lshl_or_b32 v1, v0, 2, v1
	s_mov_b32 s18, 0
	s_mov_b32 s19, 0
	s_mov_b64 s[14:15], 0
.LBB45_31:                              ; =>This Loop Header: Depth=1
                                        ;     Child Loop BB45_34 Depth 2
                                        ;     Child Loop BB45_38 Depth 2
	s_lshl_b32 s21, s19, 6
	s_lshl_b32 s22, s19, 8
	v_or_b32_e32 v2, s21, v0
	s_or_b32 s21, s21, 64
	v_lshlrev_b32_e32 v6, 2, v2
	v_or_b32_e32 v2, s21, v0
	v_lshl_or_b32 v8, v0, 2, s22
	v_lshlrev_b32_e32 v7, 2, v2
	ds_read_b32 v4, v6 offset:16384
	ds_read_b32 v5, v7 offset:16384
	ds_read2st64_b32 v[2:3], v8 offset0:66 offset1:67
	s_cmp_eq_u32 s19, 0
	s_cbranch_scc1 .LBB45_39
; %bb.32:                               ;   in Loop: Header=BB45_31 Depth=1
	s_cmp_lt_u32 s19, 8
	s_cbranch_scc1 .LBB45_36
; %bb.33:                               ;   in Loop: Header=BB45_31 Depth=1
	s_and_b32 s22, s19, -8
	s_mov_b32 s23, 0
	v_mov_b32_e32 v9, v1
	s_mov_b32 s24, s18
.LBB45_34:                              ;   Parent Loop BB45_31 Depth=1
                                        ; =>  This Inner Loop Header: Depth=2
	ds_read2st64_b32 v[42:43], v9 offset1:1
	ds_read2st64_b32 v[44:45], v9 offset0:2 offset1:3
	ds_read2st64_b32 v[46:47], v9 offset0:4 offset1:5
	;; [unrolled: 1-line block ×3, first 2 shown]
	v_mov_b32_e32 v38, s24
	ds_read_b128 v[10:13], v38
	ds_read_b128 v[14:17], v38 offset:256
	ds_read_b128 v[18:21], v38 offset:512
	;; [unrolled: 1-line block ×7, first 2 shown]
	s_waitcnt lgkmcnt(11)
	v_mov_b32_e32 v50, v43
	s_waitcnt lgkmcnt(7)
	v_pk_fma_f32 v[4:5], v[42:43], v[10:11], v[4:5] op_sel_hi:[0,1,1] neg_lo:[1,0,0] neg_hi:[1,0,0]
	v_pk_fma_f32 v[2:3], v[42:43], v[12:13], v[2:3] op_sel_hi:[0,1,1] neg_lo:[1,0,0] neg_hi:[1,0,0]
	s_waitcnt lgkmcnt(6)
	v_pk_fma_f32 v[4:5], v[50:51], v[14:15], v[4:5] op_sel_hi:[0,1,1] neg_lo:[1,0,0] neg_hi:[1,0,0]
	v_pk_fma_f32 v[2:3], v[50:51], v[16:17], v[2:3] op_sel_hi:[0,1,1] neg_lo:[1,0,0] neg_hi:[1,0,0]
	v_mov_b32_e32 v52, v45
	s_waitcnt lgkmcnt(5)
	v_pk_fma_f32 v[4:5], v[44:45], v[18:19], v[4:5] op_sel_hi:[0,1,1] neg_lo:[1,0,0] neg_hi:[1,0,0]
	v_pk_fma_f32 v[2:3], v[44:45], v[20:21], v[2:3] op_sel_hi:[0,1,1] neg_lo:[1,0,0] neg_hi:[1,0,0]
	s_waitcnt lgkmcnt(4)
	v_pk_fma_f32 v[4:5], v[52:53], v[22:23], v[4:5] op_sel_hi:[0,1,1] neg_lo:[1,0,0] neg_hi:[1,0,0]
	v_pk_fma_f32 v[2:3], v[52:53], v[24:25], v[2:3] op_sel_hi:[0,1,1] neg_lo:[1,0,0] neg_hi:[1,0,0]
	;; [unrolled: 7-line block ×3, first 2 shown]
	s_add_i32 s23, s23, 8
	s_addk_i32 s24, 0x800
	v_mov_b32_e32 v56, v49
	s_waitcnt lgkmcnt(1)
	v_pk_fma_f32 v[4:5], v[48:49], v[34:35], v[4:5] op_sel_hi:[0,1,1] neg_lo:[1,0,0] neg_hi:[1,0,0]
	v_pk_fma_f32 v[2:3], v[48:49], v[36:37], v[2:3] op_sel_hi:[0,1,1] neg_lo:[1,0,0] neg_hi:[1,0,0]
	v_add_u32_e32 v9, 0x800, v9
	s_cmp_eq_u32 s22, s23
	s_waitcnt lgkmcnt(0)
	v_pk_fma_f32 v[4:5], v[56:57], v[38:39], v[4:5] op_sel_hi:[0,1,1] neg_lo:[1,0,0] neg_hi:[1,0,0]
	v_pk_fma_f32 v[2:3], v[56:57], v[40:41], v[2:3] op_sel_hi:[0,1,1] neg_lo:[1,0,0] neg_hi:[1,0,0]
	s_cbranch_scc0 .LBB45_34
; %bb.35:                               ;   in Loop: Header=BB45_31 Depth=1
	s_bitcmp0_b32 s19, 2
	s_cbranch_scc0 .LBB45_37
	s_branch .LBB45_39
.LBB45_36:                              ;   in Loop: Header=BB45_31 Depth=1
	s_mov_b32 s22, 0
	s_bitcmp0_b32 s19, 2
	s_cbranch_scc1 .LBB45_39
.LBB45_37:                              ;   in Loop: Header=BB45_31 Depth=1
	v_cndmask_b32_e64 v9, 0, 1, s[14:15]
	v_readfirstlane_b32 s23, v9
	s_lshl_b32 s23, s23, 2
	s_lshl_b32 s22, s22, 8
.LBB45_38:                              ;   Parent Loop BB45_31 Depth=1
                                        ; =>  This Inner Loop Header: Depth=2
	v_add_u32_e32 v9, s22, v1
	s_add_i32 s24, s18, s22
	ds_read_b32 v14, v9
	v_mov_b32_e32 v9, s24
	ds_read_b128 v[10:13], v9
	s_addk_i32 s22, 0x100
	s_add_i32 s23, s23, -1
	s_cmp_lg_u32 s23, 0
	s_waitcnt lgkmcnt(0)
	v_pk_fma_f32 v[4:5], v[14:15], v[10:11], v[4:5] op_sel_hi:[0,1,1] neg_lo:[1,0,0] neg_hi:[1,0,0]
	v_pk_fma_f32 v[2:3], v[14:15], v[12:13], v[2:3] op_sel_hi:[0,1,1] neg_lo:[1,0,0] neg_hi:[1,0,0]
	s_cbranch_scc1 .LBB45_38
.LBB45_39:                              ;   in Loop: Header=BB45_31 Depth=1
	s_mul_i32 s22, s19, 0x104
	v_add_u32_e32 v9, 0x4000, v6
	v_add_u32_e32 v10, 0x4200, v8
	;; [unrolled: 1-line block ×3, first 2 shown]
	v_mov_b32_e32 v8, s22
	ds_read_b128 v[12:15], v8
	ds_read2_b32 v[16:17], v8 offset0:65 offset1:66
	s_add_i32 s21, s21, s19
	s_lshl_b32 s21, s21, 2
	v_add_u32_e32 v7, 0x4000, v7
	s_waitcnt lgkmcnt(1)
	v_div_scale_f32 v11, s[22:23], v12, v12, v4
	v_rcp_f32_e32 v18, v11
	v_div_scale_f32 v19, vcc, v4, v12, v4
	s_add_i32 s18, s18, 16
	v_fma_f32 v20, -v11, v18, 1.0
	v_fmac_f32_e32 v18, v20, v18
	v_mul_f32_e32 v20, v19, v18
	v_fma_f32 v21, -v11, v20, v19
	v_fmac_f32_e32 v20, v21, v18
	v_fma_f32 v11, -v11, v20, v19
	v_div_fmas_f32 v11, v11, v18, v20
	v_div_fixup_f32 v11, v11, v12, v4
	v_fma_f32 v4, -v11, v13, v5
	s_waitcnt lgkmcnt(0)
	v_div_scale_f32 v5, s[22:23], v16, v16, v4
	v_rcp_f32_e32 v12, v5
	v_fma_f32 v2, -v11, v14, v2
	v_div_scale_f32 v13, vcc, v4, v16, v4
	v_fma_f32 v14, -v5, v12, 1.0
	v_fmac_f32_e32 v12, v14, v12
	v_mul_f32_e32 v14, v13, v12
	v_fma_f32 v18, -v5, v14, v13
	v_fmac_f32_e32 v14, v18, v12
	v_fma_f32 v5, -v5, v14, v13
	v_div_fmas_f32 v5, v5, v12, v14
	v_div_fixup_f32 v12, v5, v16, v4
	ds_read_b64 v[4:5], v8 offset:520
	v_fma_f32 v2, -v12, v17, v2
	v_mov_b32_e32 v16, s21
	ds_read_b32 v16, v16 offset:12
	ds_read_b32 v8, v8 offset:780
	s_waitcnt lgkmcnt(2)
	v_div_scale_f32 v13, s[22:23], v4, v4, v2
	v_rcp_f32_e32 v14, v13
	v_fma_f32 v3, -v11, v15, v3
	s_waitcnt lgkmcnt(1)
	v_fma_f32 v3, -v12, v16, v3
	s_add_i32 s21, s19, 4
	v_fma_f32 v17, -v13, v14, 1.0
	v_fmac_f32_e32 v14, v17, v14
	v_div_scale_f32 v17, vcc, v2, v4, v2
	v_mul_f32_e32 v18, v17, v14
	v_fma_f32 v19, -v13, v18, v17
	v_fmac_f32_e32 v18, v19, v14
	v_fma_f32 v13, -v13, v18, v17
	v_div_fmas_f32 v13, v13, v14, v18
	v_div_fixup_f32 v2, v13, v4, v2
	v_fma_f32 v3, -v2, v5, v3
	s_waitcnt lgkmcnt(0)
	v_div_scale_f32 v4, s[22:23], v8, v8, v3
	v_rcp_f32_e32 v5, v4
	ds_write_b32 v9, v11
	ds_write_b32 v7, v12
	;; [unrolled: 1-line block ×3, first 2 shown]
	s_add_i32 s19, s19, 7
	s_not_b64 s[14:15], s[14:15]
	v_fma_f32 v2, -v4, v5, 1.0
	v_fmac_f32_e32 v5, v2, v5
	v_div_scale_f32 v2, vcc, v3, v8, v3
	v_mul_f32_e32 v7, v2, v5
	v_fma_f32 v9, -v4, v7, v2
	v_fmac_f32_e32 v7, v9, v5
	v_fma_f32 v2, -v4, v7, v2
	v_div_fmas_f32 v2, v2, v5, v7
	v_div_fixup_f32 v2, v2, v8, v3
	s_cmp_ge_i32 s19, s1
	ds_write_b32 v6, v2
	s_cbranch_scc1 .LBB45_41
; %bb.40:                               ;   in Loop: Header=BB45_31 Depth=1
	s_mov_b32 s19, s21
	s_branch .LBB45_31
.LBB45_41:
	s_cmp_ge_i32 s21, s1
	s_cbranch_scc1 .LBB45_52
; %bb.42:
	v_mov_b32_e32 v1, 0x4000
	s_add_i32 s14, s21, -1
	v_lshl_or_b32 v1, v0, 2, v1
	s_lshl_b32 s15, s21, 2
	s_mov_b32 s18, 0
	v_lshlrev_b32_e32 v2, 2, v0
	s_mov_b32 s19, s21
	s_branch .LBB45_44
.LBB45_43:                              ;   in Loop: Header=BB45_44 Depth=1
	s_mul_i32 s22, s21, 0x104
	v_mov_b32_e32 v5, s22
	ds_read_b32 v5, v5
	v_add_u32_e32 v4, 0x4000, v4
	s_add_i32 s21, s21, 1
	s_add_i32 s18, s18, 1
	;; [unrolled: 1-line block ×3, first 2 shown]
	s_waitcnt lgkmcnt(0)
	v_div_scale_f32 v6, s[22:23], v5, v5, v3
	v_rcp_f32_e32 v7, v6
	v_div_scale_f32 v8, vcc, v3, v5, v3
	s_cmp_ge_i32 s21, s1
	v_fma_f32 v9, -v6, v7, 1.0
	v_fmac_f32_e32 v7, v9, v7
	v_mul_f32_e32 v9, v8, v7
	v_fma_f32 v10, -v6, v9, v8
	v_fmac_f32_e32 v9, v10, v7
	v_fma_f32 v6, -v6, v9, v8
	v_div_fmas_f32 v6, v6, v7, v9
	v_div_fixup_f32 v3, v6, v5, v3
	ds_write_b32 v4, v3
	v_add_u16_e64 v3, s19, 1
	v_readfirstlane_b32 s19, v3
	s_cbranch_scc1 .LBB45_52
.LBB45_44:                              ; =>This Loop Header: Depth=1
                                        ;     Child Loop BB45_47 Depth 2
                                        ;     Child Loop BB45_51 Depth 2
	v_lshl_or_b32 v4, s21, 8, v2
	ds_read_b32 v3, v4 offset:16384
	s_cmp_eq_u32 s21, 0
	s_cbranch_scc1 .LBB45_43
; %bb.45:                               ;   in Loop: Header=BB45_44 Depth=1
	s_add_i32 s22, s14, s18
	s_cmp_lt_u32 s22, 7
	s_cbranch_scc1 .LBB45_49
; %bb.46:                               ;   in Loop: Header=BB45_44 Depth=1
	s_and_b32 s22, s21, -8
	s_mov_b32 s23, 0
	s_mov_b32 s24, s15
	v_mov_b32_e32 v5, v1
.LBB45_47:                              ;   Parent Loop BB45_44 Depth=1
                                        ; =>  This Inner Loop Header: Depth=2
	v_mov_b32_e32 v20, s24
	ds_read2st64_b32 v[6:7], v5 offset1:1
	ds_read2st64_b32 v[8:9], v5 offset0:2 offset1:3
	ds_read2st64_b32 v[10:11], v5 offset0:4 offset1:5
	;; [unrolled: 1-line block ×3, first 2 shown]
	ds_read2st64_b32 v[14:15], v20 offset1:1
	ds_read2st64_b32 v[16:17], v20 offset0:2 offset1:3
	ds_read2st64_b32 v[18:19], v20 offset0:4 offset1:5
	;; [unrolled: 1-line block ×3, first 2 shown]
	s_add_i32 s23, s23, 8
	s_waitcnt lgkmcnt(3)
	v_fma_f32 v3, -v6, v14, v3
	v_fma_f32 v3, -v7, v15, v3
	s_waitcnt lgkmcnt(2)
	v_fma_f32 v3, -v8, v16, v3
	v_fma_f32 v3, -v9, v17, v3
	;; [unrolled: 3-line block ×3, first 2 shown]
	s_addk_i32 s24, 0x800
	s_waitcnt lgkmcnt(0)
	v_fma_f32 v3, -v12, v20, v3
	v_add_u32_e32 v5, 0x800, v5
	s_cmp_eq_u32 s22, s23
	v_fma_f32 v3, -v13, v21, v3
	s_cbranch_scc0 .LBB45_47
; %bb.48:                               ;   in Loop: Header=BB45_44 Depth=1
	s_and_b32 s23, s21, 7
	s_cmp_eq_u32 s23, 0
	s_cbranch_scc0 .LBB45_50
	s_branch .LBB45_43
.LBB45_49:                              ;   in Loop: Header=BB45_44 Depth=1
	s_mov_b32 s22, 0
	s_and_b32 s23, s21, 7
	s_cmp_eq_u32 s23, 0
	s_cbranch_scc1 .LBB45_43
.LBB45_50:                              ;   in Loop: Header=BB45_44 Depth=1
	s_and_b32 s23, s19, 7
	s_lshl_b32 s22, s22, 8
.LBB45_51:                              ;   Parent Loop BB45_44 Depth=1
                                        ; =>  This Inner Loop Header: Depth=2
	s_add_i32 s24, s15, s22
	v_add_u32_e32 v5, s22, v1
	v_mov_b32_e32 v6, s24
	ds_read_b32 v5, v5
	ds_read_b32 v6, v6
	s_addk_i32 s22, 0x100
	s_add_i32 s23, s23, -1
	s_cmp_lg_u32 s23, 0
	s_waitcnt lgkmcnt(0)
	v_fma_f32 v3, -v5, v6, v3
	s_cbranch_scc1 .LBB45_51
	s_branch .LBB45_43
.LBB45_52:
	s_mov_b64 s[14:15], 0
.LBB45_53:
	s_and_b64 vcc, exec, s[14:15]
	s_cbranch_vccz .LBB45_79
; %bb.54:
	s_andn2_b64 vcc, exec, s[12:13]
	s_mov_b32 s23, s9
	s_cbranch_vccnz .LBB45_66
; %bb.55:
	s_mul_i32 s14, s1, 0x104
	v_lshlrev_b32_e32 v1, 2, v0
	s_add_i32 s18, s14, 0xfffffef0
	v_lshl_or_b32 v2, s1, 8, v1
	s_lshl_b32 s14, s1, 2
	v_add_u32_e32 v6, 0x3f00, v2
	v_or_b32_e32 v7, 0x3900, v1
	s_add_i32 s19, s14, 0xfffff8f0
	s_mov_b32 s21, 0
	s_mov_b64 s[14:15], 0
	s_mov_b32 s22, s9
.LBB45_56:                              ; =>This Loop Header: Depth=1
                                        ;     Child Loop BB45_59 Depth 2
                                        ;     Child Loop BB45_63 Depth 2
	s_lshl_b32 s25, s22, 6
	s_add_i32 s27, s22, -1
	v_or_b32_e32 v2, s25, v0
	s_lshl_b32 s26, s27, 6
	v_lshlrev_b32_e32 v8, 2, v2
	v_or_b32_e32 v2, s26, v0
	s_add_i32 s23, s25, 0xffffff80
	v_lshlrev_b32_e32 v9, 2, v2
	v_or_b32_e32 v2, s23, v0
	s_add_i32 s24, s22, -3
	v_lshlrev_b32_e32 v10, 2, v2
	v_lshl_or_b32 v11, s24, 8, v1
	ds_read_b32 v5, v8 offset:16384
	ds_read_b32 v4, v9 offset:16384
	;; [unrolled: 1-line block ×4, first 2 shown]
	s_cmp_le_i32 s9, s22
	s_cbranch_scc1 .LBB45_64
; %bb.57:                               ;   in Loop: Header=BB45_56 Depth=1
	s_lshl_b32 s29, s21, 2
	s_bitcmp0_b32 s29, 2
	s_cbranch_scc1 .LBB45_61
; %bb.58:                               ;   in Loop: Header=BB45_56 Depth=1
	v_cndmask_b32_e64 v12, 0, 1, s[14:15]
	v_readfirstlane_b32 s28, v12
	s_lshl_b32 s30, s28, 2
	v_mov_b32_e32 v12, v6
	s_mov_b32 s31, s18
	s_mov_b32 s28, s9
.LBB45_59:                              ;   Parent Loop BB45_56 Depth=1
                                        ; =>  This Inner Loop Header: Depth=2
	v_mov_b32_e32 v13, s31
	ds_read_b32 v14, v12
	ds_read2_b32 v[16:17], v13 offset0:2 offset1:3
	ds_read2_b32 v[18:19], v13 offset1:1
	s_add_i32 s28, s28, -1
	s_addk_i32 s31, 0xff00
	s_add_i32 s30, s30, -1
	v_add_u32_e32 v12, 0xffffff00, v12
	s_cmp_lg_u32 s30, 0
	s_waitcnt lgkmcnt(1)
	v_pk_fma_f32 v[4:5], v[14:15], v[16:17], v[4:5] op_sel_hi:[0,1,1] neg_lo:[1,0,0] neg_hi:[1,0,0]
	s_waitcnt lgkmcnt(0)
	v_pk_fma_f32 v[2:3], v[14:15], v[18:19], v[2:3] op_sel_hi:[0,1,1] neg_lo:[1,0,0] neg_hi:[1,0,0]
	s_cbranch_scc1 .LBB45_59
; %bb.60:                               ;   in Loop: Header=BB45_56 Depth=1
	s_add_i32 s29, s29, -1
	s_cmp_lt_u32 s29, 7
	s_cbranch_scc0 .LBB45_62
	s_branch .LBB45_64
.LBB45_61:                              ;   in Loop: Header=BB45_56 Depth=1
	s_mov_b32 s28, s9
	s_add_i32 s29, s29, -1
	s_cmp_lt_u32 s29, 7
	s_cbranch_scc1 .LBB45_64
.LBB45_62:                              ;   in Loop: Header=BB45_56 Depth=1
	s_lshl_b32 s29, s28, 8
	v_add_u32_e32 v12, s29, v7
	s_add_i32 s29, s19, s29
.LBB45_63:                              ;   Parent Loop BB45_56 Depth=1
                                        ; =>  This Inner Loop Header: Depth=2
	s_add_i32 s30, s29, 0x708
	s_add_i32 s31, s29, 0x700
	;; [unrolled: 1-line block ×8, first 2 shown]
	v_mov_b32_e32 v13, s29
	ds_read2st64_b32 v[14:15], v12 offset0:6 offset1:7
	ds_read2st64_b32 v[16:17], v12 offset0:4 offset1:5
	;; [unrolled: 1-line block ×3, first 2 shown]
	ds_read2st64_b32 v[20:21], v12 offset1:1
	v_mov_b32_e32 v38, s30
	v_mov_b32_e32 v40, s31
	v_mov_b32_e32 v42, s33
	v_mov_b32_e32 v44, s34
	v_mov_b32_e32 v46, s35
	v_mov_b32_e32 v48, s36
	v_mov_b32_e32 v50, s37
	v_mov_b32_e32 v52, s38
	ds_read2_b32 v[22:23], v13 offset0:194 offset1:195
	ds_read2_b32 v[24:25], v13 offset0:192 offset1:193
	;; [unrolled: 1-line block ×7, first 2 shown]
	ds_read2_b32 v[36:37], v13 offset1:1
	ds_read2_b32 v[38:39], v38 offset1:1
	;; [unrolled: 1-line block ×9, first 2 shown]
	s_waitcnt lgkmcnt(14)
	v_mov_b32_e32 v54, v15
	s_waitcnt lgkmcnt(7)
	v_pk_fma_f32 v[4:5], v[54:55], v[38:39], v[4:5] op_sel_hi:[0,1,1] neg_lo:[1,0,0] neg_hi:[1,0,0]
	s_waitcnt lgkmcnt(6)
	v_pk_fma_f32 v[2:3], v[54:55], v[40:41], v[2:3] op_sel_hi:[0,1,1] neg_lo:[1,0,0] neg_hi:[1,0,0]
	v_mov_b32_e32 v56, v17
	s_waitcnt lgkmcnt(5)
	v_pk_fma_f32 v[4:5], v[14:15], v[42:43], v[4:5] op_sel_hi:[0,1,1] neg_lo:[1,0,0] neg_hi:[1,0,0]
	s_waitcnt lgkmcnt(4)
	v_pk_fma_f32 v[2:3], v[14:15], v[44:45], v[2:3] op_sel_hi:[0,1,1] neg_lo:[1,0,0] neg_hi:[1,0,0]
	;; [unrolled: 2-line block ×4, first 2 shown]
	v_mov_b32_e32 v58, v19
	s_waitcnt lgkmcnt(1)
	v_pk_fma_f32 v[4:5], v[16:17], v[50:51], v[4:5] op_sel_hi:[0,1,1] neg_lo:[1,0,0] neg_hi:[1,0,0]
	s_waitcnt lgkmcnt(0)
	v_pk_fma_f32 v[2:3], v[16:17], v[52:53], v[2:3] op_sel_hi:[0,1,1] neg_lo:[1,0,0] neg_hi:[1,0,0]
	v_pk_fma_f32 v[4:5], v[58:59], v[22:23], v[4:5] op_sel_hi:[0,1,1] neg_lo:[1,0,0] neg_hi:[1,0,0]
	v_pk_fma_f32 v[2:3], v[58:59], v[24:25], v[2:3] op_sel_hi:[0,1,1] neg_lo:[1,0,0] neg_hi:[1,0,0]
	v_mov_b32_e32 v60, v21
	v_pk_fma_f32 v[4:5], v[18:19], v[26:27], v[4:5] op_sel_hi:[0,1,1] neg_lo:[1,0,0] neg_hi:[1,0,0]
	v_pk_fma_f32 v[2:3], v[18:19], v[28:29], v[2:3] op_sel_hi:[0,1,1] neg_lo:[1,0,0] neg_hi:[1,0,0]
	s_add_i32 s28, s28, -8
	s_addk_i32 s29, 0xf800
	v_pk_fma_f32 v[4:5], v[60:61], v[30:31], v[4:5] op_sel_hi:[0,1,1] neg_lo:[1,0,0] neg_hi:[1,0,0]
	v_pk_fma_f32 v[2:3], v[60:61], v[32:33], v[2:3] op_sel_hi:[0,1,1] neg_lo:[1,0,0] neg_hi:[1,0,0]
	v_add_u32_e32 v12, 0xfffff800, v12
	s_cmp_le_i32 s28, s22
	v_pk_fma_f32 v[4:5], v[20:21], v[34:35], v[4:5] op_sel_hi:[0,1,1] neg_lo:[1,0,0] neg_hi:[1,0,0]
	v_pk_fma_f32 v[2:3], v[20:21], v[36:37], v[2:3] op_sel_hi:[0,1,1] neg_lo:[1,0,0] neg_hi:[1,0,0]
	s_cbranch_scc0 .LBB45_63
.LBB45_64:                              ;   in Loop: Header=BB45_56 Depth=1
	s_add_i32 s27, s25, s27
	s_add_i32 s25, s25, s24
	s_lshl_b32 s25, s25, 2
	s_add_i32 s26, s26, s24
	s_mul_i32 s28, s22, 0x104
	s_lshl_b32 s27, s27, 2
	v_mov_b32_e32 v16, s25
	s_lshl_b32 s25, s26, 2
	v_add_u32_e32 v12, 0x4000, v8
	v_add_u32_e32 v8, 0x4000, v11
	v_mov_b32_e32 v11, s27
	s_add_i32 s27, s28, 0xfffffefc
	v_mov_b32_e32 v18, s25
	v_mov_b32_e32 v13, s27
	ds_read2_b32 v[14:15], v11 offset1:1
	ds_read_b32 v11, v13
	ds_read2_b32 v[16:17], v16 offset1:1
	ds_read2_b32 v[18:19], v18 offset1:1
	s_add_i32 s23, s23, s24
	s_waitcnt lgkmcnt(3)
	v_div_scale_f32 v13, s[26:27], v15, v15, v5
	v_rcp_f32_e32 v20, v13
	s_lshl_b32 s23, s23, 2
	v_add_u32_e32 v9, 0x4000, v9
	v_add_u32_e32 v10, 0x4000, v10
	v_fma_f32 v21, -v13, v20, 1.0
	v_fmac_f32_e32 v20, v21, v20
	v_div_scale_f32 v21, vcc, v5, v15, v5
	v_mul_f32_e32 v22, v21, v20
	v_fma_f32 v23, -v13, v22, v21
	v_fmac_f32_e32 v22, v23, v20
	v_fma_f32 v13, -v13, v22, v21
	v_div_fmas_f32 v13, v13, v20, v22
	v_div_fixup_f32 v13, v13, v15, v5
	v_fma_f32 v4, -v13, v14, v4
	s_waitcnt lgkmcnt(2)
	v_div_scale_f32 v5, s[26:27], v11, v11, v4
	v_rcp_f32_e32 v14, v5
	s_waitcnt lgkmcnt(1)
	v_fma_f32 v3, -v13, v17, v3
	v_fma_f32 v2, -v13, v16, v2
	s_add_i32 s21, s21, 1
	v_fma_f32 v15, -v5, v14, 1.0
	v_fmac_f32_e32 v14, v15, v14
	v_div_scale_f32 v15, vcc, v4, v11, v4
	v_mul_f32_e32 v20, v15, v14
	v_fma_f32 v21, -v5, v20, v15
	v_fmac_f32_e32 v20, v21, v14
	v_fma_f32 v5, -v5, v20, v15
	v_div_fmas_f32 v5, v5, v14, v20
	v_div_fixup_f32 v11, v5, v11, v4
	v_mov_b32_e32 v4, s23
	ds_read2_b32 v[4:5], v4 offset1:1
	s_add_i32 s23, s28, 0xfffffcf4
	s_waitcnt lgkmcnt(1)
	v_fma_f32 v3, -v11, v19, v3
	v_mov_b32_e32 v14, s23
	ds_read_b32 v14, v14
	s_waitcnt lgkmcnt(1)
	v_div_scale_f32 v15, s[24:25], v5, v5, v3
	v_rcp_f32_e32 v17, v15
	v_fma_f32 v2, -v11, v18, v2
	s_add_i32 s23, s22, -4
	s_add_i32 s18, s18, -16
	v_fma_f32 v19, -v15, v17, 1.0
	v_fmac_f32_e32 v17, v19, v17
	v_div_scale_f32 v19, vcc, v3, v5, v3
	v_mul_f32_e32 v20, v19, v17
	v_fma_f32 v21, -v15, v20, v19
	v_fmac_f32_e32 v20, v21, v17
	v_fma_f32 v15, -v15, v20, v19
	v_div_fmas_f32 v15, v15, v17, v20
	v_div_fixup_f32 v3, v15, v5, v3
	v_fma_f32 v2, -v3, v4, v2
	s_waitcnt lgkmcnt(0)
	v_div_scale_f32 v4, s[24:25], v14, v14, v2
	v_rcp_f32_e32 v5, v4
	ds_write_b32 v12, v13
	ds_write_b32 v9, v11
	;; [unrolled: 1-line block ×3, first 2 shown]
	s_not_b64 s[14:15], s[14:15]
	s_add_i32 s19, s19, -16
	v_fma_f32 v3, -v4, v5, 1.0
	v_fmac_f32_e32 v5, v3, v5
	v_div_scale_f32 v3, vcc, v2, v14, v2
	v_mul_f32_e32 v9, v3, v5
	v_fma_f32 v10, -v4, v9, v3
	v_fmac_f32_e32 v9, v10, v5
	v_fma_f32 v3, -v4, v9, v3
	v_div_fmas_f32 v3, v3, v5, v9
	v_div_fixup_f32 v2, v3, v14, v2
	s_cmp_lt_i32 s22, 7
	ds_write_b32 v8, v2
	s_cbranch_scc1 .LBB45_66
; %bb.65:                               ;   in Loop: Header=BB45_56 Depth=1
	s_mov_b32 s22, s23
	s_branch .LBB45_56
.LBB45_66:
	s_cmp_lt_i32 s23, 0
	s_cbranch_scc1 .LBB45_79
; %bb.67:
	s_bitcmp1_b32 s23, 0
	s_cselect_b64 s[14:15], -1, 0
	s_and_b64 vcc, exec, s[14:15]
	s_mov_b32 s14, s23
	s_cbranch_vccnz .LBB45_72
; %bb.68:
	v_lshlrev_b32_e32 v1, 2, v0
	v_lshl_or_b32 v2, s23, 8, v1
	ds_read_b32 v1, v2 offset:16384
	s_cmp_le_i32 s9, s23
	s_cbranch_scc1 .LBB45_71
; %bb.69:
	s_lshl_b32 s15, s1, 8
	s_lshl_b32 s14, s23, 2
	s_add_i32 s14, s15, s14
	v_lshl_or_b32 v3, v0, 2, s15
	s_addk_i32 s14, 0xff00
	v_add_u32_e32 v3, 0x3f00, v3
	s_mov_b32 s15, s9
.LBB45_70:                              ; =>This Inner Loop Header: Depth=1
	v_mov_b32_e32 v5, s14
	ds_read_b32 v4, v3
	ds_read_b32 v5, v5
	s_add_i32 s15, s15, -1
	s_addk_i32 s14, 0xff00
	v_add_u32_e32 v3, 0xffffff00, v3
	s_cmp_gt_i32 s15, s23
	s_waitcnt lgkmcnt(0)
	v_fma_f32 v1, -v4, v5, v1
	s_cbranch_scc1 .LBB45_70
.LBB45_71:
	s_mul_i32 s14, s23, 0x104
	v_mov_b32_e32 v3, s14
	ds_read_b32 v3, v3
	v_add_u32_e32 v2, 0x4000, v2
	s_waitcnt lgkmcnt(0)
	v_div_scale_f32 v4, s[14:15], v3, v3, v1
	v_rcp_f32_e32 v5, v4
	v_div_scale_f32 v6, vcc, v1, v3, v1
	s_add_i32 s14, s23, -1
	v_fma_f32 v7, -v4, v5, 1.0
	v_fmac_f32_e32 v5, v7, v5
	v_mul_f32_e32 v7, v6, v5
	v_fma_f32 v8, -v4, v7, v6
	v_fmac_f32_e32 v7, v8, v5
	v_fma_f32 v4, -v4, v7, v6
	v_div_fmas_f32 v4, v4, v5, v7
	v_div_fixup_f32 v1, v4, v3, v1
	ds_write_b32 v2, v1
.LBB45_72:
	s_cmp_eq_u32 s23, 0
	s_cbranch_scc1 .LBB45_79
; %bb.73:
	s_lshl_b32 s15, s1, 8
	s_lshl_b32 s18, s14, 2
	v_lshl_or_b32 v1, v0, 2, s15
	s_add_i32 s18, s15, s18
	v_add_u32_e32 v1, 0x3f00, v1
	s_add_i32 s15, s18, 0xffffff00
	s_addk_i32 s18, 0xfefc
	v_lshlrev_b32_e32 v2, 2, v0
	s_branch .LBB45_75
.LBB45_74:                              ;   in Loop: Header=BB45_75 Depth=1
	s_addk_i32 s19, 0xfefc
	v_add_u32_e32 v4, 0x4000, v5
	v_mov_b32_e32 v5, s19
	ds_read_b32 v5, v5
	s_add_i32 s19, s14, -2
	s_add_i32 s15, s15, -8
	;; [unrolled: 1-line block ×3, first 2 shown]
	s_cmp_lt_i32 s14, 2
	s_waitcnt lgkmcnt(0)
	v_div_scale_f32 v6, s[22:23], v5, v5, v3
	v_rcp_f32_e32 v7, v6
	v_div_scale_f32 v8, vcc, v3, v5, v3
	s_mov_b32 s14, s19
	v_fma_f32 v9, -v6, v7, 1.0
	v_fmac_f32_e32 v7, v9, v7
	v_mul_f32_e32 v9, v8, v7
	v_fma_f32 v10, -v6, v9, v8
	v_fmac_f32_e32 v9, v10, v7
	v_fma_f32 v6, -v6, v9, v8
	v_div_fmas_f32 v6, v6, v7, v9
	v_div_fixup_f32 v3, v6, v5, v3
	ds_write_b32 v4, v3
	s_cbranch_scc1 .LBB45_79
.LBB45_75:                              ; =>This Loop Header: Depth=1
                                        ;     Child Loop BB45_76 Depth 2
                                        ;     Child Loop BB45_78 Depth 2
	v_lshl_or_b32 v3, s14, 8, v2
	ds_read_b32 v4, v3 offset:16384
	s_cmp_le_i32 s9, s14
	s_mov_b32 s19, s15
	v_mov_b32_e32 v5, v1
	s_mov_b32 s21, s9
	s_cbranch_scc1 .LBB45_77
.LBB45_76:                              ;   Parent Loop BB45_75 Depth=1
                                        ; =>  This Inner Loop Header: Depth=2
	v_mov_b32_e32 v7, s19
	ds_read_b32 v6, v5
	ds_read_b32 v7, v7
	s_add_i32 s21, s21, -1
	s_addk_i32 s19, 0xff00
	v_add_u32_e32 v5, 0xffffff00, v5
	s_cmp_le_i32 s21, s14
	s_waitcnt lgkmcnt(0)
	v_fma_f32 v4, -v6, v7, v4
	s_cbranch_scc0 .LBB45_76
.LBB45_77:                              ;   in Loop: Header=BB45_75 Depth=1
	s_mul_i32 s19, s14, 0x104
	v_add_u32_e32 v6, 0x4000, v3
	v_mov_b32_e32 v3, s19
	ds_read_b32 v7, v3
	s_lshl_b32 s21, s14, 8
	s_addk_i32 s21, 0xff00
	v_lshl_or_b32 v5, v0, 2, s21
	ds_read_b32 v3, v5 offset:16384
	s_waitcnt lgkmcnt(1)
	v_div_scale_f32 v8, s[22:23], v7, v7, v4
	v_rcp_f32_e32 v9, v8
	v_div_scale_f32 v10, vcc, v4, v7, v4
	s_cmp_le_i32 s1, s14
	v_fma_f32 v11, -v8, v9, 1.0
	v_fmac_f32_e32 v9, v11, v9
	v_mul_f32_e32 v11, v10, v9
	v_fma_f32 v12, -v8, v11, v10
	v_fmac_f32_e32 v11, v12, v9
	v_fma_f32 v8, -v8, v11, v10
	v_div_fmas_f32 v8, v8, v9, v11
	v_div_fixup_f32 v4, v8, v7, v4
	ds_write_b32 v6, v4
	v_mov_b32_e32 v4, v1
	s_mov_b32 s21, s18
	s_mov_b32 s22, s1
	s_cbranch_scc1 .LBB45_74
.LBB45_78:                              ;   Parent Loop BB45_75 Depth=1
                                        ; =>  This Inner Loop Header: Depth=2
	v_mov_b32_e32 v7, s21
	ds_read_b32 v6, v4
	ds_read_b32 v7, v7
	s_add_i32 s22, s22, -1
	s_addk_i32 s21, 0xff00
	v_add_u32_e32 v4, 0xffffff00, v4
	s_cmp_gt_i32 s22, s14
	s_waitcnt lgkmcnt(0)
	v_fma_f32 v3, -v6, v7, v3
	s_cbranch_scc1 .LBB45_78
	s_branch .LBB45_74
.LBB45_79:
	s_mov_b64 s[22:23], 0
.LBB45_80:
	s_andn2_b64 vcc, exec, s[22:23]
	s_cbranch_vccnz .LBB45_100
; %bb.81:
	s_andn2_b64 vcc, exec, s[12:13]
	s_mov_b32 s14, s9
	s_cbranch_vccnz .LBB45_87
; %bb.82:
	v_lshlrev_b32_e32 v1, 2, v0
	s_mul_i32 s12, s1, 0x104
	v_lshl_or_b32 v2, s1, 8, v1
	s_addk_i32 s12, 0xfbf0
	v_add_u32_e32 v2, 0x3c00, v2
	s_mov_b32 s13, s9
.LBB45_83:                              ; =>This Loop Header: Depth=1
                                        ;     Child Loop BB45_84 Depth 2
	s_lshl_b32 s15, s13, 6
	v_or_b32_e32 v3, s15, v0
	s_add_i32 s18, s15, 0xffffff80
	v_lshlrev_b32_e32 v7, 2, v3
	v_or_b32_e32 v3, s18, v0
	s_addk_i32 s15, 0xff40
	s_add_i32 s14, s13, -1
	v_lshlrev_b32_e32 v10, 2, v3
	v_or_b32_e32 v3, s15, v0
	v_lshl_or_b32 v9, s14, 8, v1
	v_lshlrev_b32_e32 v11, 2, v3
	ds_read_b32 v6, v7 offset:16384
	ds_read_b32 v5, v9 offset:16384
	;; [unrolled: 1-line block ×4, first 2 shown]
	s_cmp_le_i32 s9, s13
	v_mov_b32_e32 v8, v2
	s_mov_b32 s19, s12
	s_mov_b32 s21, s9
	s_cbranch_scc1 .LBB45_85
.LBB45_84:                              ;   Parent Loop BB45_83 Depth=1
                                        ; =>  This Inner Loop Header: Depth=2
	v_mov_b32_e32 v30, s19
	ds_read2st64_b32 v[12:13], v8 offset0:2 offset1:3
	ds_read2st64_b32 v[14:15], v8 offset1:1
	ds_read2_b32 v[16:17], v30 offset0:194 offset1:195
	ds_read2_b32 v[18:19], v30 offset0:192 offset1:193
	;; [unrolled: 1-line block ×7, first 2 shown]
	ds_read2_b32 v[30:31], v30 offset1:1
	s_add_i32 s21, s21, -4
	s_add_i32 s19, s19, -16
	s_waitcnt lgkmcnt(7)
	v_fma_f32 v6, -v13, v17, v6
	s_waitcnt lgkmcnt(5)
	v_fma_f32 v5, -v13, v21, v5
	;; [unrolled: 2-line block ×4, first 2 shown]
	v_fma_f32 v6, -v12, v16, v6
	v_fma_f32 v5, -v12, v20, v5
	;; [unrolled: 1-line block ×7, first 2 shown]
	s_waitcnt lgkmcnt(0)
	v_fma_f32 v3, -v15, v31, v3
	v_add_u32_e32 v8, 0xfffffc00, v8
	s_cmp_le_i32 s21, s13
	v_fma_f32 v6, -v14, v18, v6
	v_fma_f32 v5, -v14, v22, v5
	;; [unrolled: 1-line block ×4, first 2 shown]
	s_cbranch_scc0 .LBB45_84
.LBB45_85:                              ;   in Loop: Header=BB45_83 Depth=1
	s_add_i32 s18, s18, s13
	s_mul_i32 s21, s13, 0x104
	s_lshl_b32 s18, s18, 2
	s_add_i32 s19, s21, 0xfffffefc
	v_mov_b32_e32 v14, s18
	s_add_i32 s18, s21, 0xfffffdf8
	v_add_u32_e32 v8, 0x4000, v7
	v_add_u32_e32 v7, 0x4000, v11
	v_mov_b32_e32 v11, s21
	v_mov_b32_e32 v12, s19
	;; [unrolled: 1-line block ×3, first 2 shown]
	ds_read_b32 v11, v11
	ds_read2_b32 v[12:13], v12 offset1:1
	ds_read_b32 v16, v14
	ds_read2_b32 v[14:15], v15 offset1:1
	s_add_i32 s15, s15, s14
	s_waitcnt lgkmcnt(3)
	v_div_scale_f32 v17, s[18:19], v11, v11, v6
	v_rcp_f32_e32 v18, v17
	s_lshl_b32 s14, s15, 2
	v_add_u32_e32 v9, 0x4000, v9
	v_add_u32_e32 v10, 0x4000, v10
	v_fma_f32 v19, -v17, v18, 1.0
	v_fmac_f32_e32 v18, v19, v18
	v_div_scale_f32 v19, vcc, v6, v11, v6
	v_mul_f32_e32 v20, v19, v18
	v_fma_f32 v21, -v17, v20, v19
	v_fmac_f32_e32 v20, v21, v18
	v_fma_f32 v17, -v17, v20, v19
	v_div_fmas_f32 v17, v17, v18, v20
	v_div_fixup_f32 v6, v17, v11, v6
	s_waitcnt lgkmcnt(2)
	v_fma_f32 v5, -v6, v13, v5
	v_div_scale_f32 v11, s[18:19], v12, v12, v5
	v_rcp_f32_e32 v13, v11
	s_waitcnt lgkmcnt(1)
	v_fma_f32 v4, -v6, v16, v4
	s_addk_i32 s12, 0xfc00
	v_fma_f32 v17, -v11, v13, 1.0
	v_fmac_f32_e32 v13, v17, v13
	v_div_scale_f32 v17, vcc, v5, v12, v5
	v_mul_f32_e32 v18, v17, v13
	v_fma_f32 v19, -v11, v18, v17
	v_fmac_f32_e32 v18, v19, v13
	v_fma_f32 v11, -v11, v18, v17
	v_div_fmas_f32 v11, v11, v13, v18
	v_div_fixup_f32 v11, v11, v12, v5
	s_waitcnt lgkmcnt(0)
	v_fma_f32 v15, -v11, v15, v4
	v_div_scale_f32 v4, s[18:19], v14, v14, v15
	v_rcp_f32_e32 v16, v4
	v_fma_f32 v5, -v4, v16, 1.0
	v_fmac_f32_e32 v16, v5, v16
	v_div_scale_f32 v5, vcc, v15, v14, v15
	v_mul_f32_e32 v17, v5, v16
	v_fma_f32 v12, -v4, v17, v5
	v_fmac_f32_e32 v17, v12, v16
	v_fma_f32 v18, -v4, v17, v5
	v_mov_b32_e32 v4, s14
	s_add_i32 s14, s21, 0xfffffcf4
	v_mov_b32_e32 v12, s14
	ds_read2_b32 v[4:5], v4 offset1:1
	ds_read2_b32 v[12:13], v12 offset1:1
	v_div_fmas_f32 v16, v18, v16, v17
	v_div_fixup_f32 v14, v16, v14, v15
	ds_write_b32 v8, v6
	ds_write_b32 v9, v11
	;; [unrolled: 1-line block ×3, first 2 shown]
	s_waitcnt lgkmcnt(4)
	v_fma_f32 v3, -v6, v5, v3
	v_fma_f32 v3, -v11, v4, v3
	s_waitcnt lgkmcnt(3)
	v_fma_f32 v3, -v14, v13, v3
	v_div_scale_f32 v4, s[14:15], v12, v12, v3
	v_rcp_f32_e32 v5, v4
	s_add_i32 s14, s13, -4
	s_cmp_lt_i32 s13, 7
	v_fma_f32 v6, -v4, v5, 1.0
	v_fmac_f32_e32 v5, v6, v5
	v_div_scale_f32 v6, vcc, v3, v12, v3
	v_mul_f32_e32 v8, v6, v5
	v_fma_f32 v9, -v4, v8, v6
	v_fmac_f32_e32 v8, v9, v5
	v_fma_f32 v4, -v4, v8, v6
	v_div_fmas_f32 v4, v4, v5, v8
	v_div_fixup_f32 v3, v4, v12, v3
	ds_write_b32 v7, v3
	s_cbranch_scc1 .LBB45_87
; %bb.86:                               ;   in Loop: Header=BB45_83 Depth=1
	s_mov_b32 s13, s14
	s_branch .LBB45_83
.LBB45_87:
	s_cmp_lt_i32 s14, 0
	s_cbranch_scc1 .LBB45_100
; %bb.88:
	s_bitcmp1_b32 s14, 0
	s_cselect_b64 s[12:13], -1, 0
	s_and_b64 vcc, exec, s[12:13]
	s_mov_b32 s12, s14
	s_cbranch_vccnz .LBB45_93
; %bb.89:
	v_lshlrev_b32_e32 v3, 2, v0
	v_lshl_or_b32 v2, s14, 8, v3
	ds_read_b32 v1, v2 offset:16384
	s_cmp_le_i32 s9, s14
	s_cbranch_scc1 .LBB45_92
; %bb.90:
	s_lshl_b32 s12, s14, 8
	s_lshl_b32 s13, s1, 2
	s_add_i32 s12, s12, s13
	v_lshl_or_b32 v3, s1, 8, v3
	s_add_i32 s12, s12, -4
	v_add_u32_e32 v3, 0x3f00, v3
	s_mov_b32 s13, s9
.LBB45_91:                              ; =>This Inner Loop Header: Depth=1
	v_mov_b32_e32 v5, s12
	ds_read_b32 v4, v3
	ds_read_b32 v5, v5
	s_add_i32 s13, s13, -1
	s_add_i32 s12, s12, -4
	v_add_u32_e32 v3, 0xffffff00, v3
	s_cmp_gt_i32 s13, s14
	s_waitcnt lgkmcnt(0)
	v_fma_f32 v1, -v4, v5, v1
	s_cbranch_scc1 .LBB45_91
.LBB45_92:
	s_mul_i32 s12, s14, 0x104
	v_mov_b32_e32 v3, s12
	ds_read_b32 v3, v3
	v_add_u32_e32 v2, 0x4000, v2
	s_waitcnt lgkmcnt(0)
	v_div_scale_f32 v4, s[12:13], v3, v3, v1
	v_rcp_f32_e32 v5, v4
	v_div_scale_f32 v6, vcc, v1, v3, v1
	s_add_i32 s12, s14, -1
	v_fma_f32 v7, -v4, v5, 1.0
	v_fmac_f32_e32 v5, v7, v5
	v_mul_f32_e32 v7, v6, v5
	v_fma_f32 v8, -v4, v7, v6
	v_fmac_f32_e32 v7, v8, v5
	v_fma_f32 v4, -v4, v7, v6
	v_div_fmas_f32 v4, v4, v5, v7
	v_div_fixup_f32 v1, v4, v3, v1
	ds_write_b32 v2, v1
.LBB45_93:
	s_cmp_eq_u32 s14, 0
	s_cbranch_scc1 .LBB45_100
; %bb.94:
	v_lshlrev_b32_e32 v1, 2, v0
	s_lshl_b32 s13, s12, 8
	s_lshl_b32 s14, s1, 2
	v_lshl_or_b32 v2, s1, 8, v1
	s_add_i32 s14, s13, s14
	v_add_u32_e32 v2, 0x3f00, v2
	s_add_i32 s13, s14, -4
	s_addk_i32 s14, 0xfefc
	s_branch .LBB45_96
.LBB45_95:                              ;   in Loop: Header=BB45_96 Depth=1
	s_addk_i32 s15, 0xfefc
	v_add_u32_e32 v4, 0x4000, v5
	v_mov_b32_e32 v5, s15
	ds_read_b32 v5, v5
	s_add_i32 s15, s12, -2
	s_addk_i32 s13, 0xfe00
	s_addk_i32 s14, 0xfe00
	s_cmp_lt_i32 s12, 2
	s_waitcnt lgkmcnt(0)
	v_div_scale_f32 v6, s[18:19], v5, v5, v3
	v_rcp_f32_e32 v7, v6
	v_div_scale_f32 v8, vcc, v3, v5, v3
	s_mov_b32 s12, s15
	v_fma_f32 v9, -v6, v7, 1.0
	v_fmac_f32_e32 v7, v9, v7
	v_mul_f32_e32 v9, v8, v7
	v_fma_f32 v10, -v6, v9, v8
	v_fmac_f32_e32 v9, v10, v7
	v_fma_f32 v6, -v6, v9, v8
	v_div_fmas_f32 v6, v6, v7, v9
	v_div_fixup_f32 v3, v6, v5, v3
	ds_write_b32 v4, v3
	s_cbranch_scc1 .LBB45_100
.LBB45_96:                              ; =>This Loop Header: Depth=1
                                        ;     Child Loop BB45_97 Depth 2
                                        ;     Child Loop BB45_99 Depth 2
	v_lshl_or_b32 v3, s12, 8, v1
	ds_read_b32 v4, v3 offset:16384
	s_cmp_le_i32 s9, s12
	s_mov_b32 s15, s13
	v_mov_b32_e32 v5, v2
	s_mov_b32 s18, s9
	s_cbranch_scc1 .LBB45_98
.LBB45_97:                              ;   Parent Loop BB45_96 Depth=1
                                        ; =>  This Inner Loop Header: Depth=2
	v_mov_b32_e32 v7, s15
	ds_read_b32 v6, v5
	ds_read_b32 v7, v7
	s_add_i32 s18, s18, -1
	s_add_i32 s15, s15, -4
	v_add_u32_e32 v5, 0xffffff00, v5
	s_cmp_le_i32 s18, s12
	s_waitcnt lgkmcnt(0)
	v_fma_f32 v4, -v6, v7, v4
	s_cbranch_scc0 .LBB45_97
.LBB45_98:                              ;   in Loop: Header=BB45_96 Depth=1
	s_mul_i32 s15, s12, 0x104
	v_add_u32_e32 v6, 0x4000, v3
	v_mov_b32_e32 v3, s15
	ds_read_b32 v7, v3
	s_lshl_b32 s18, s12, 8
	s_addk_i32 s18, 0xff00
	v_lshl_or_b32 v5, v0, 2, s18
	ds_read_b32 v3, v5 offset:16384
	s_waitcnt lgkmcnt(1)
	v_div_scale_f32 v8, s[18:19], v7, v7, v4
	v_rcp_f32_e32 v9, v8
	v_div_scale_f32 v10, vcc, v4, v7, v4
	s_cmp_le_i32 s1, s12
	v_fma_f32 v11, -v8, v9, 1.0
	v_fmac_f32_e32 v9, v11, v9
	v_mul_f32_e32 v11, v10, v9
	v_fma_f32 v12, -v8, v11, v10
	v_fmac_f32_e32 v11, v12, v9
	v_fma_f32 v8, -v8, v11, v10
	v_div_fmas_f32 v8, v8, v9, v11
	v_div_fixup_f32 v4, v8, v7, v4
	ds_write_b32 v6, v4
	v_mov_b32_e32 v4, v2
	s_mov_b32 s18, s14
	s_mov_b32 s19, s1
	s_cbranch_scc1 .LBB45_95
.LBB45_99:                              ;   Parent Loop BB45_96 Depth=1
                                        ; =>  This Inner Loop Header: Depth=2
	v_mov_b32_e32 v7, s18
	ds_read_b32 v6, v4
	ds_read_b32 v7, v7
	s_add_i32 s19, s19, -1
	s_add_i32 s18, s18, -4
	v_add_u32_e32 v4, 0xffffff00, v4
	s_cmp_gt_i32 s19, s12
	s_waitcnt lgkmcnt(0)
	v_fma_f32 v3, -v6, v7, v3
	s_cbranch_scc1 .LBB45_99
	s_branch .LBB45_95
.LBB45_100:
	s_mov_b64 s[22:23], 0
.LBB45_101:
	s_andn2_b64 vcc, exec, s[22:23]
	s_cbranch_vccnz .LBB45_120
; %bb.102:
	s_cmp_lt_i32 s20, 4
	s_mov_b32 s13, 0
	s_cbranch_scc1 .LBB45_109
; %bb.103:
	v_mov_b32_e32 v1, 0x4000
	v_lshl_or_b32 v1, v0, 2, v1
	s_mov_b32 s9, 0
	s_mov_b32 s12, 0
.LBB45_104:                             ; =>This Loop Header: Depth=1
                                        ;     Child Loop BB45_106 Depth 2
	s_lshl_b32 s13, s12, 6
	v_or_b32_e32 v2, s13, v0
	s_or_b32 s15, s13, 64
	v_lshlrev_b32_e32 v6, 2, v2
	v_or_b32_e32 v2, s15, v0
	s_or_b32 s14, s13, 0x80
	v_lshlrev_b32_e32 v7, 2, v2
	;; [unrolled: 3-line block ×3, first 2 shown]
	v_or_b32_e32 v2, s13, v0
	v_lshlrev_b32_e32 v10, 2, v2
	ds_read_b32 v5, v6 offset:16384
	ds_read_b32 v4, v7 offset:16384
	;; [unrolled: 1-line block ×4, first 2 shown]
	s_cmp_eq_u32 s12, 0
	s_cbranch_scc1 .LBB45_107
; %bb.105:                              ;   in Loop: Header=BB45_104 Depth=1
	s_mov_b32 s18, 0
	s_mov_b32 s19, s9
	v_mov_b32_e32 v8, v1
.LBB45_106:                             ;   Parent Loop BB45_104 Depth=1
                                        ; =>  This Inner Loop Header: Depth=2
	v_mov_b32_e32 v11, s19
	ds_read2st64_b32 v[28:29], v8 offset1:1
	ds_read2st64_b32 v[30:31], v8 offset0:2 offset1:3
	ds_read_b128 v[12:15], v11
	ds_read_b128 v[16:19], v11 offset:256
	ds_read_b128 v[20:23], v11 offset:512
	;; [unrolled: 1-line block ×3, first 2 shown]
	s_add_i32 s18, s18, 4
	s_add_i32 s19, s19, 16
	s_waitcnt lgkmcnt(3)
	v_fma_f32 v5, -v28, v12, v5
	s_waitcnt lgkmcnt(2)
	v_fma_f32 v4, -v28, v16, v4
	;; [unrolled: 2-line block ×4, first 2 shown]
	v_fma_f32 v5, -v29, v13, v5
	v_fma_f32 v4, -v29, v17, v4
	;; [unrolled: 1-line block ×8, first 2 shown]
	v_add_u32_e32 v8, 0x400, v8
	s_cmp_ge_u32 s18, s12
	v_fma_f32 v5, -v31, v15, v5
	v_fma_f32 v4, -v31, v19, v4
	;; [unrolled: 1-line block ×4, first 2 shown]
	s_cbranch_scc0 .LBB45_106
.LBB45_107:                             ;   in Loop: Header=BB45_104 Depth=1
	s_mul_i32 s18, s12, 0x104
	v_add_u32_e32 v8, 0x4000, v6
	v_add_u32_e32 v6, 0x4000, v10
	v_mov_b32_e32 v10, s18
	ds_read_b32 v15, v10
	s_add_i32 s15, s15, s12
	s_add_i32 s14, s14, s12
	s_lshl_b32 s15, s15, 2
	s_lshl_b32 s14, s14, 2
	v_mov_b32_e32 v11, s15
	v_mov_b32_e32 v12, s14
	s_waitcnt lgkmcnt(0)
	v_div_scale_f32 v16, s[14:15], v15, v15, v5
	v_rcp_f32_e32 v17, v16
	ds_read_b64 v[10:11], v11
	ds_read_b96 v[12:14], v12
	s_add_i32 s13, s13, s12
	s_lshl_b32 s13, s13, 2
	v_fma_f32 v18, -v16, v17, 1.0
	v_fmac_f32_e32 v17, v18, v17
	v_div_scale_f32 v18, vcc, v5, v15, v5
	v_mul_f32_e32 v19, v18, v17
	v_fma_f32 v20, -v16, v19, v18
	v_fmac_f32_e32 v19, v20, v17
	v_fma_f32 v16, -v16, v19, v18
	v_div_fmas_f32 v16, v16, v17, v19
	v_div_fixup_f32 v5, v16, v15, v5
	s_waitcnt lgkmcnt(1)
	v_fma_f32 v4, -v5, v10, v4
	v_div_scale_f32 v10, s[14:15], v11, v11, v4
	v_rcp_f32_e32 v15, v10
	s_waitcnt lgkmcnt(0)
	v_fma_f32 v3, -v5, v12, v3
	v_add_u32_e32 v7, 0x4000, v7
	v_add_u32_e32 v9, 0x4000, v9
	v_fma_f32 v16, -v10, v15, 1.0
	v_fmac_f32_e32 v15, v16, v15
	v_div_scale_f32 v16, vcc, v4, v11, v4
	v_mul_f32_e32 v17, v16, v15
	v_fma_f32 v18, -v10, v17, v16
	v_fmac_f32_e32 v17, v18, v15
	v_fma_f32 v10, -v10, v17, v16
	v_div_fmas_f32 v10, v10, v15, v17
	v_div_fixup_f32 v4, v10, v11, v4
	v_fma_f32 v3, -v4, v13, v3
	v_div_scale_f32 v15, s[14:15], v14, v14, v3
	v_rcp_f32_e32 v16, v15
	v_div_scale_f32 v17, vcc, v3, v14, v3
	s_addk_i32 s9, 0x400
	v_fma_f32 v10, -v15, v16, 1.0
	v_fmac_f32_e32 v16, v10, v16
	v_mul_f32_e32 v18, v17, v16
	v_fma_f32 v10, -v15, v18, v17
	v_fmac_f32_e32 v18, v10, v16
	v_mov_b32_e32 v10, s13
	ds_read_b128 v[10:13], v10
	v_fma_f32 v15, -v15, v18, v17
	v_div_fmas_f32 v15, v15, v16, v18
	v_div_fixup_f32 v3, v15, v14, v3
	ds_write_b32 v8, v5
	ds_write_b32 v7, v4
	;; [unrolled: 1-line block ×3, first 2 shown]
	s_waitcnt lgkmcnt(3)
	v_fma_f32 v2, -v5, v10, v2
	v_fma_f32 v2, -v4, v11, v2
	;; [unrolled: 1-line block ×3, first 2 shown]
	v_div_scale_f32 v10, s[14:15], v13, v13, v2
	v_rcp_f32_e32 v11, v10
	s_add_i32 s13, s12, 4
	s_add_i32 s12, s12, 7
	s_cmp_ge_i32 s12, s1
	v_fma_f32 v3, -v10, v11, 1.0
	v_fmac_f32_e32 v11, v3, v11
	v_div_scale_f32 v3, vcc, v2, v13, v2
	v_mul_f32_e32 v4, v3, v11
	v_fma_f32 v5, -v10, v4, v3
	v_fmac_f32_e32 v4, v5, v11
	v_fma_f32 v3, -v10, v4, v3
	v_div_fmas_f32 v3, v3, v11, v4
	v_div_fixup_f32 v2, v3, v13, v2
	ds_write_b32 v6, v2
	s_cbranch_scc1 .LBB45_109
; %bb.108:                              ;   in Loop: Header=BB45_104 Depth=1
	s_mov_b32 s12, s13
	s_branch .LBB45_104
.LBB45_109:
	s_cmp_ge_i32 s13, s1
	s_cbranch_scc1 .LBB45_120
; %bb.110:
	v_mov_b32_e32 v1, 0x4000
	s_add_i32 s9, s13, -1
	v_lshl_or_b32 v1, v0, 2, v1
	s_lshl_b32 s12, s13, 8
	s_mov_b32 s14, 0
	v_lshlrev_b32_e32 v2, 2, v0
	s_mov_b32 s15, s13
	s_branch .LBB45_112
.LBB45_111:                             ;   in Loop: Header=BB45_112 Depth=1
	s_mul_i32 s18, s13, 0x104
	v_mov_b32_e32 v5, s18
	ds_read_b32 v5, v5
	v_add_u32_e32 v4, 0x4000, v4
	s_add_i32 s13, s13, 1
	s_add_i32 s14, s14, 1
	s_addk_i32 s12, 0x100
	s_waitcnt lgkmcnt(0)
	v_div_scale_f32 v6, s[18:19], v5, v5, v3
	v_rcp_f32_e32 v7, v6
	v_div_scale_f32 v8, vcc, v3, v5, v3
	s_cmp_ge_i32 s13, s1
	v_fma_f32 v9, -v6, v7, 1.0
	v_fmac_f32_e32 v7, v9, v7
	v_mul_f32_e32 v9, v8, v7
	v_fma_f32 v10, -v6, v9, v8
	v_fmac_f32_e32 v9, v10, v7
	v_fma_f32 v6, -v6, v9, v8
	v_div_fmas_f32 v6, v6, v7, v9
	v_div_fixup_f32 v3, v6, v5, v3
	ds_write_b32 v4, v3
	v_add_u16_e64 v3, s15, 1
	v_readfirstlane_b32 s15, v3
	s_cbranch_scc1 .LBB45_120
.LBB45_112:                             ; =>This Loop Header: Depth=1
                                        ;     Child Loop BB45_115 Depth 2
                                        ;     Child Loop BB45_119 Depth 2
	v_lshl_or_b32 v4, s13, 8, v2
	ds_read_b32 v3, v4 offset:16384
	s_cmp_eq_u32 s13, 0
	s_cbranch_scc1 .LBB45_111
; %bb.113:                              ;   in Loop: Header=BB45_112 Depth=1
	s_add_i32 s18, s9, s14
	s_cmp_lt_u32 s18, 7
	s_cbranch_scc1 .LBB45_117
; %bb.114:                              ;   in Loop: Header=BB45_112 Depth=1
	s_and_b32 s18, s13, -8
	s_mov_b32 s19, 0
	s_mov_b32 s21, s12
	v_mov_b32_e32 v5, v1
.LBB45_115:                             ;   Parent Loop BB45_112 Depth=1
                                        ; =>  This Inner Loop Header: Depth=2
	v_mov_b32_e32 v10, s21
	ds_read2st64_b32 v[14:15], v5 offset1:1
	ds_read2st64_b32 v[16:17], v5 offset0:2 offset1:3
	ds_read2st64_b32 v[18:19], v5 offset0:4 offset1:5
	;; [unrolled: 1-line block ×3, first 2 shown]
	ds_read_b128 v[6:9], v10
	ds_read_b128 v[10:13], v10 offset:16
	s_add_i32 s19, s19, 8
	s_add_i32 s21, s21, 32
	v_add_u32_e32 v5, 0x800, v5
	s_waitcnt lgkmcnt(1)
	v_fma_f32 v3, -v14, v6, v3
	v_fma_f32 v3, -v15, v7, v3
	;; [unrolled: 1-line block ×4, first 2 shown]
	s_waitcnt lgkmcnt(0)
	v_fma_f32 v3, -v18, v10, v3
	v_fma_f32 v3, -v19, v11, v3
	;; [unrolled: 1-line block ×3, first 2 shown]
	s_cmp_eq_u32 s18, s19
	v_fma_f32 v3, -v21, v13, v3
	s_cbranch_scc0 .LBB45_115
; %bb.116:                              ;   in Loop: Header=BB45_112 Depth=1
	s_and_b32 s19, s13, 7
	s_cmp_eq_u32 s19, 0
	s_cbranch_scc0 .LBB45_118
	s_branch .LBB45_111
.LBB45_117:                             ;   in Loop: Header=BB45_112 Depth=1
	s_mov_b32 s18, 0
	s_and_b32 s19, s13, 7
	s_cmp_eq_u32 s19, 0
	s_cbranch_scc1 .LBB45_111
.LBB45_118:                             ;   in Loop: Header=BB45_112 Depth=1
	s_and_b32 s19, s15, 7
	s_lshl_b32 s21, s18, 2
	v_lshl_add_u32 v5, s18, 8, v1
.LBB45_119:                             ;   Parent Loop BB45_112 Depth=1
                                        ; =>  This Inner Loop Header: Depth=2
	s_add_i32 s18, s12, s21
	v_mov_b32_e32 v7, s18
	ds_read_b32 v6, v5
	ds_read_b32 v7, v7
	s_add_i32 s21, s21, 4
	s_add_i32 s19, s19, -1
	v_add_u32_e32 v5, 0x100, v5
	s_cmp_lg_u32 s19, 0
	s_waitcnt lgkmcnt(0)
	v_fma_f32 v3, -v6, v7, v3
	s_cbranch_scc1 .LBB45_119
	s_branch .LBB45_111
.LBB45_120:
	s_and_saveexec_b64 s[12:13], s[6:7]
	s_cbranch_execz .LBB45_132
; %bb.121:
	s_cmp_lt_u32 s20, 2
	s_cselect_b64 s[6:7], -1, 0
	s_cmp_lg_u32 s8, 1
	s_cselect_b64 s[12:13], -1, 0
	s_or_b64 s[6:7], s[6:7], s[12:13]
	s_mov_b32 s1, 1
	s_and_b64 vcc, exec, s[6:7]
	s_cbranch_vccnz .LBB45_129
; %bb.122:
	s_add_i32 s6, s20, -2
	s_lshr_b32 s7, s6, 1
	s_add_i32 s7, s7, 1
	s_mov_b32 s9, 0
	s_cmp_lt_u32 s6, 14
	s_mov_b32 s6, s9
	s_cbranch_scc1 .LBB45_125
; %bb.123:
	s_mul_i32 s1, s17, s0
	s_mul_hi_u32 s6, s16, s0
	s_add_i32 s15, s6, s1
	s_mul_i32 s14, s16, s0
	s_and_b32 s12, s7, -8
	s_lshl_b64 s[14:15], s[14:15], 2
	s_add_u32 s1, s14, s4
	s_addc_u32 s6, s15, s5
	s_lshl_b64 s[14:15], s[2:3], 2
	s_add_u32 s1, s1, s14
	s_addc_u32 s6, s6, s15
	s_add_u32 s1, s10, s1
	v_lshlrev_b32_e32 v1, 2, v0
	s_addc_u32 s6, s11, s6
	v_mov_b32_e32 v2, s6
	v_add_co_u32_e32 v1, vcc, s1, v1
	v_addc_co_u32_e32 v3, vcc, 0, v2, vcc
	v_add_co_u32_e32 v2, vcc, 56, v1
	v_addc_co_u32_e32 v3, vcc, 0, v3, vcc
	s_mov_b32 s1, 1
	s_mov_b32 s6, 0
.LBB45_124:                             ; =>This Inner Loop Header: Depth=1
	s_lshl_b32 s13, s9, 6
	s_lshl_b32 s14, s1, 6
	v_or_b32_e32 v4, s13, v0
	s_add_i32 s15, s13, 0x80
	s_add_i32 s18, s14, 0x80
	;; [unrolled: 1-line block ×7, first 2 shown]
	s_addk_i32 s13, 0x380
	v_or_b32_e32 v1, s14, v0
	s_add_i32 s21, s14, 0x100
	s_add_i32 s23, s14, 0x180
	s_add_i32 s25, s14, 0x200
	s_add_i32 s27, s14, 0x280
	s_add_i32 s29, s14, 0x300
	s_addk_i32 s14, 0x380
	v_or_b32_e32 v5, s18, v0
	v_or_b32_e32 v6, s15, v0
	;; [unrolled: 1-line block ×8, first 2 shown]
	v_lshlrev_b32_e32 v4, 2, v4
	v_or_b32_e32 v7, s21, v0
	v_or_b32_e32 v9, s23, v0
	;; [unrolled: 1-line block ×6, first 2 shown]
	v_lshlrev_b32_e32 v6, 2, v6
	v_lshlrev_b32_e32 v19, 2, v5
	;; [unrolled: 1-line block ×15, first 2 shown]
	ds_read_b32 v4, v4 offset:16384
	ds_read_b32 v5, v1 offset:16384
	ds_read_b32 v6, v6 offset:16384
	ds_read_b32 v7, v19 offset:16384
	ds_read_b32 v8, v8 offset:16384
	ds_read_b32 v9, v20 offset:16384
	ds_read_b32 v10, v10 offset:16384
	ds_read_b32 v11, v21 offset:16384
	ds_read_b32 v12, v12 offset:16384
	ds_read_b32 v13, v22 offset:16384
	ds_read_b32 v14, v14 offset:16384
	ds_read_b32 v15, v23 offset:16384
	ds_read_b32 v16, v16 offset:16384
	ds_read_b32 v17, v24 offset:16384
	ds_read_b32 v18, v18 offset:16384
	ds_read_b32 v19, v25 offset:16384
	s_add_i32 s6, s6, 16
	s_add_i32 s1, s1, 16
	;; [unrolled: 1-line block ×3, first 2 shown]
	s_add_i32 s12, s12, -8
	s_waitcnt lgkmcnt(12)
	global_store_dwordx4 v[2:3], v[4:7], off offset:-56
	s_waitcnt lgkmcnt(8)
	global_store_dwordx4 v[2:3], v[8:11], off offset:-40
	;; [unrolled: 2-line block ×4, first 2 shown]
	v_add_co_u32_e32 v2, vcc, 64, v2
	s_cmp_lg_u32 s12, 0
	v_addc_co_u32_e32 v3, vcc, 0, v3, vcc
	s_cbranch_scc1 .LBB45_124
.LBB45_125:
	s_and_b32 s12, s7, 7
	s_cmp_eq_u32 s12, 0
	s_mov_b32 s7, 0
	s_cbranch_scc1 .LBB45_128
; %bb.126:
	s_mul_i32 s13, s17, s0
	s_mul_hi_u32 s14, s16, s0
	s_add_i32 s15, s14, s13
	s_mul_i32 s14, s16, s0
	s_lshl_b64 s[14:15], s[14:15], 2
	s_add_u32 s13, s14, s4
	s_addc_u32 s18, s15, s5
	s_lshl_b64 s[14:15], s[2:3], 2
	s_add_u32 s13, s13, s14
	s_addc_u32 s14, s18, s15
	;; [unrolled: 3-line block ×3, first 2 shown]
	s_add_u32 s6, s6, s13
	v_lshlrev_b32_e32 v1, 2, v0
	s_addc_u32 s7, s7, s14
	v_mov_b32_e32 v3, s7
	v_add_co_u32_e32 v2, vcc, s6, v1
	v_addc_co_u32_e32 v3, vcc, 0, v3, vcc
.LBB45_127:                             ; =>This Inner Loop Header: Depth=1
	v_lshl_or_b32 v4, s9, 8, v1
	v_lshl_or_b32 v5, s1, 8, v1
	ds_read_b32 v4, v4 offset:16384
	ds_read_b32 v5, v5 offset:16384
	s_add_i32 s1, s1, 2
	s_add_i32 s9, s9, 2
	s_add_i32 s12, s12, -1
	s_cmp_lg_u32 s12, 0
	s_waitcnt lgkmcnt(0)
	global_store_dwordx2 v[2:3], v[4:5], off
	v_add_co_u32_e32 v2, vcc, 8, v2
	v_addc_co_u32_e32 v3, vcc, 0, v3, vcc
	s_cbranch_scc1 .LBB45_127
.LBB45_128:
	s_and_b32 s1, s20, 0x7ffffffe
	s_cmp_lg_u32 s1, s20
	s_cselect_b64 s[6:7], -1, 0
	s_and_b64 vcc, exec, s[6:7]
	s_cbranch_vccnz .LBB45_130
	s_branch .LBB45_132
.LBB45_129:
	s_mov_b32 s1, 0
	s_cbranch_execz .LBB45_132
.LBB45_130:
	s_mul_i32 s7, s17, s0
	s_mul_hi_u32 s12, s16, s0
	v_lshlrev_b32_e32 v0, 2, v0
	s_add_i32 s13, s12, s7
	s_mul_i32 s12, s16, s0
	s_mul_hi_i32 s15, s8, s1
	s_mul_i32 s14, s8, s1
	s_ashr_i32 s9, s8, 31
	v_lshl_or_b32 v1, s1, 8, v0
	s_sub_i32 s6, s20, s1
	s_lshl_b64 s[12:13], s[12:13], 2
	s_lshl_b64 s[0:1], s[14:15], 2
	s_add_u32 s0, s12, s0
	s_addc_u32 s1, s13, s1
	s_add_u32 s4, s0, s4
	s_addc_u32 s5, s1, s5
	s_lshl_b64 s[0:1], s[2:3], 2
	s_add_u32 s0, s4, s0
	s_addc_u32 s1, s5, s1
	s_add_u32 s0, s10, s0
	s_addc_u32 s1, s11, s1
	v_add_u32_e32 v2, 0x4000, v1
	v_mov_b32_e32 v1, s1
	v_add_co_u32_e32 v0, vcc, s0, v0
	s_lshl_b64 s[0:1], s[8:9], 2
	v_addc_co_u32_e32 v1, vcc, 0, v1, vcc
	v_mov_b32_e32 v3, s1
.LBB45_131:                             ; =>This Inner Loop Header: Depth=1
	ds_read_b32 v4, v2
	s_add_i32 s6, s6, -1
	v_add_u32_e32 v2, 0x100, v2
	s_cmp_lg_u32 s6, 0
	s_waitcnt lgkmcnt(0)
	global_store_dword v[0:1], v4, off
	v_add_co_u32_e32 v0, vcc, s0, v0
	v_addc_co_u32_e32 v1, vcc, v1, v3, vcc
	s_cbranch_scc1 .LBB45_131
.LBB45_132:
	s_endpgm
	.section	.rodata,"a",@progbits
	.p2align	6, 0x0
	.amdhsa_kernel _ZL31rocblas_trsm_small_right_deviceIffPKfPfLi64EEv13rocblas_fill_18rocblas_operation_17rocblas_diagonal_iiT0_T1_lilT2_lili
		.amdhsa_group_segment_fixed_size 32768
		.amdhsa_private_segment_fixed_size 0
		.amdhsa_kernarg_size 352
		.amdhsa_user_sgpr_count 6
		.amdhsa_user_sgpr_private_segment_buffer 1
		.amdhsa_user_sgpr_dispatch_ptr 0
		.amdhsa_user_sgpr_queue_ptr 0
		.amdhsa_user_sgpr_kernarg_segment_ptr 1
		.amdhsa_user_sgpr_dispatch_id 0
		.amdhsa_user_sgpr_flat_scratch_init 0
		.amdhsa_user_sgpr_kernarg_preload_length 0
		.amdhsa_user_sgpr_kernarg_preload_offset 0
		.amdhsa_user_sgpr_private_segment_size 0
		.amdhsa_uses_dynamic_stack 0
		.amdhsa_system_sgpr_private_segment_wavefront_offset 0
		.amdhsa_system_sgpr_workgroup_id_x 1
		.amdhsa_system_sgpr_workgroup_id_y 0
		.amdhsa_system_sgpr_workgroup_id_z 1
		.amdhsa_system_sgpr_workgroup_info 0
		.amdhsa_system_vgpr_workitem_id 0
		.amdhsa_next_free_vgpr 62
		.amdhsa_next_free_sgpr 44
		.amdhsa_accum_offset 64
		.amdhsa_reserve_vcc 1
		.amdhsa_reserve_flat_scratch 0
		.amdhsa_float_round_mode_32 0
		.amdhsa_float_round_mode_16_64 0
		.amdhsa_float_denorm_mode_32 3
		.amdhsa_float_denorm_mode_16_64 3
		.amdhsa_dx10_clamp 1
		.amdhsa_ieee_mode 1
		.amdhsa_fp16_overflow 0
		.amdhsa_tg_split 0
		.amdhsa_exception_fp_ieee_invalid_op 0
		.amdhsa_exception_fp_denorm_src 0
		.amdhsa_exception_fp_ieee_div_zero 0
		.amdhsa_exception_fp_ieee_overflow 0
		.amdhsa_exception_fp_ieee_underflow 0
		.amdhsa_exception_fp_ieee_inexact 0
		.amdhsa_exception_int_div_zero 0
	.end_amdhsa_kernel
	.section	.text._ZL31rocblas_trsm_small_right_deviceIffPKfPfLi64EEv13rocblas_fill_18rocblas_operation_17rocblas_diagonal_iiT0_T1_lilT2_lili,"axG",@progbits,_ZL31rocblas_trsm_small_right_deviceIffPKfPfLi64EEv13rocblas_fill_18rocblas_operation_17rocblas_diagonal_iiT0_T1_lilT2_lili,comdat
.Lfunc_end45:
	.size	_ZL31rocblas_trsm_small_right_deviceIffPKfPfLi64EEv13rocblas_fill_18rocblas_operation_17rocblas_diagonal_iiT0_T1_lilT2_lili, .Lfunc_end45-_ZL31rocblas_trsm_small_right_deviceIffPKfPfLi64EEv13rocblas_fill_18rocblas_operation_17rocblas_diagonal_iiT0_T1_lilT2_lili
                                        ; -- End function
	.section	.AMDGPU.csdata,"",@progbits
; Kernel info:
; codeLenInByte = 10116
; NumSgprs: 48
; NumVgprs: 62
; NumAgprs: 0
; TotalNumVgprs: 62
; ScratchSize: 0
; MemoryBound: 0
; FloatMode: 240
; IeeeMode: 1
; LDSByteSize: 32768 bytes/workgroup (compile time only)
; SGPRBlocks: 5
; VGPRBlocks: 7
; NumSGPRsForWavesPerEU: 48
; NumVGPRsForWavesPerEU: 62
; AccumOffset: 64
; Occupancy: 1
; WaveLimiterHint : 0
; COMPUTE_PGM_RSRC2:SCRATCH_EN: 0
; COMPUTE_PGM_RSRC2:USER_SGPR: 6
; COMPUTE_PGM_RSRC2:TRAP_HANDLER: 0
; COMPUTE_PGM_RSRC2:TGID_X_EN: 1
; COMPUTE_PGM_RSRC2:TGID_Y_EN: 0
; COMPUTE_PGM_RSRC2:TGID_Z_EN: 1
; COMPUTE_PGM_RSRC2:TIDIG_COMP_CNT: 0
; COMPUTE_PGM_RSRC3_GFX90A:ACCUM_OFFSET: 15
; COMPUTE_PGM_RSRC3_GFX90A:TG_SPLIT: 0
	.section	.text._ZL39rocblas_trsm_block_forward_substitutionIffPKfPfLb0ELb0ELb0EEv18rocblas_operation_llT0_T1_lllT2_lllib,"axG",@progbits,_ZL39rocblas_trsm_block_forward_substitutionIffPKfPfLb0ELb0ELb0EEv18rocblas_operation_llT0_T1_lllT2_lllib,comdat
	.globl	_ZL39rocblas_trsm_block_forward_substitutionIffPKfPfLb0ELb0ELb0EEv18rocblas_operation_llT0_T1_lllT2_lllib ; -- Begin function _ZL39rocblas_trsm_block_forward_substitutionIffPKfPfLb0ELb0ELb0EEv18rocblas_operation_llT0_T1_lllT2_lllib
	.p2align	8
	.type	_ZL39rocblas_trsm_block_forward_substitutionIffPKfPfLb0ELb0ELb0EEv18rocblas_operation_llT0_T1_lllT2_lllib,@function
_ZL39rocblas_trsm_block_forward_substitutionIffPKfPfLb0ELb0ELb0EEv18rocblas_operation_llT0_T1_lllT2_lllib: ; @_ZL39rocblas_trsm_block_forward_substitutionIffPKfPfLb0ELb0ELb0EEv18rocblas_operation_llT0_T1_lllT2_lllib
; %bb.0:
	s_load_dword s9, s[4:5], 0x64
	s_load_dwordx16 s[12:27], s[4:5], 0x20
	s_load_dwordx4 s[28:31], s[4:5], 0x8
	s_load_dword s6, s[4:5], 0x74
	v_and_b32_e32 v2, 0x3ff, v0
	s_waitcnt lgkmcnt(0)
	s_bitcmp1_b32 s9, 0
	s_mul_i32 s2, s8, s19
	s_mul_hi_u32 s3, s8, s18
	s_cselect_b64 s[0:1], -1, 0
	s_add_i32 s3, s3, s2
	s_mul_i32 s2, s8, s18
	s_lshl_b64 s[2:3], s[2:3], 2
	s_add_u32 s10, s12, s2
	s_addc_u32 s11, s13, s3
	s_lshl_b64 s[2:3], s[14:15], 2
	s_add_u32 s2, s10, s2
	s_addc_u32 s3, s11, s3
	s_add_u32 s10, s4, 0x68
	s_addc_u32 s11, s5, 0
	s_lshr_b32 s6, s6, 16
	s_bitcmp0_b32 s9, 0
	v_bfe_u32 v6, v0, 10, 10
	s_cbranch_scc1 .LBB46_13
; %bb.1:
	s_lshl_b32 s9, s6, 2
	v_cmp_lt_i64_e64 s[14:15], s[28:29], 1
	s_add_i32 s12, s9, 0
	s_and_b64 vcc, exec, s[14:15]
	s_cbranch_vccnz .LBB46_12
; %bb.2:
	v_lshlrev_b32_e32 v0, 2, v2
	v_mov_b32_e32 v3, 0
	v_cmp_le_u64_e32 vcc, s[28:29], v[2:3]
	v_mov_b32_e32 v1, s3
	v_add_co_u32_e64 v3, s[2:3], s2, v0
	v_add_u32_e32 v7, s12, v0
	v_addc_co_u32_e64 v8, s[2:3], 0, v1, s[2:3]
	v_mad_u64_u32 v[0:1], s[2:3], v2, s16, 0
	v_mov_b32_e32 v4, v1
	v_mad_u64_u32 v[4:5], s[2:3], v2, s17, v[4:5]
	v_mov_b32_e32 v1, v4
	v_lshlrev_b64 v[0:1], 2, v[0:1]
	v_add_co_u32_e64 v0, s[2:3], v3, v0
	v_addc_co_u32_e64 v1, s[2:3], v8, v1, s[2:3]
	s_xor_b64 s[2:3], vcc, -1
	v_pk_mov_b32 v[4:5], s[28:29], s[28:29] op_sel:[0,1]
	s_mov_b32 s14, s6
	v_mov_b32_e32 v9, v6
	s_branch .LBB46_4
.LBB46_3:                               ;   in Loop: Header=BB46_4 Depth=1
	s_or_b64 exec, exec, s[34:35]
	s_ashr_i32 s15, s14, 31
	v_cmp_ge_i64_e32 vcc, s[14:15], v[4:5]
	v_add_u32_e32 v9, s6, v9
	s_add_i32 s14, s14, s6
	s_cbranch_vccnz .LBB46_12
.LBB46_4:                               ; =>This Inner Loop Header: Depth=1
	v_cmp_gt_i32_e32 vcc, v2, v9
	s_and_b64 s[34:35], s[2:3], vcc
	s_mov_b64 s[18:19], 0
                                        ; implicit-def: $vgpr10
	s_and_saveexec_b64 s[36:37], s[34:35]
	s_xor_b64 s[34:35], exec, s[36:37]
	s_cbranch_execnz .LBB46_7
; %bb.5:                                ;   in Loop: Header=BB46_4 Depth=1
	s_or_saveexec_b64 s[34:35], s[34:35]
	v_mov_b32_e32 v11, v9
	s_xor_b64 exec, exec, s[34:35]
	s_cbranch_execnz .LBB46_8
.LBB46_6:                               ;   in Loop: Header=BB46_4 Depth=1
	s_or_b64 exec, exec, s[34:35]
	s_and_saveexec_b64 s[34:35], s[18:19]
	s_cbranch_execz .LBB46_3
	s_branch .LBB46_11
.LBB46_7:                               ;   in Loop: Header=BB46_4 Depth=1
	s_waitcnt vmcnt(0)
	v_ashrrev_i32_e32 v10, 31, v9
	v_mul_lo_u32 v12, v9, s17
	v_mul_lo_u32 v13, v10, s16
	v_mad_u64_u32 v[10:11], s[36:37], v9, s16, 0
	v_add3_u32 v11, v11, v12, v13
	v_lshlrev_b64 v[10:11], 2, v[10:11]
	v_add_co_u32_e32 v10, vcc, v3, v10
	v_addc_co_u32_e32 v11, vcc, v8, v11, vcc
	global_load_dword v10, v[10:11], off
	s_mov_b64 s[18:19], exec
	s_or_saveexec_b64 s[34:35], s[34:35]
	v_mov_b32_e32 v11, v9
	s_xor_b64 exec, exec, s[34:35]
	s_cbranch_execz .LBB46_6
.LBB46_8:                               ;   in Loop: Header=BB46_4 Depth=1
	v_cmp_eq_u32_e32 vcc, v2, v9
	s_and_b64 s[40:41], s[2:3], vcc
	s_mov_b64 s[38:39], s[18:19]
                                        ; implicit-def: $vgpr10
	s_and_saveexec_b64 s[36:37], s[40:41]
	s_cbranch_execz .LBB46_10
; %bb.9:                                ;   in Loop: Header=BB46_4 Depth=1
	global_load_dword v10, v[0:1], off
	s_waitcnt vmcnt(0)
	v_div_scale_f32 v11, s[38:39], v10, v10, 1.0
	v_rcp_f32_e32 v12, v11
	v_div_scale_f32 v13, vcc, 1.0, v10, 1.0
	s_or_b64 s[38:39], s[18:19], exec
	v_fma_f32 v14, -v11, v12, 1.0
	v_fmac_f32_e32 v12, v14, v12
	v_mul_f32_e32 v14, v13, v12
	v_fma_f32 v15, -v11, v14, v13
	v_fmac_f32_e32 v14, v15, v12
	v_fma_f32 v11, -v11, v14, v13
	v_div_fmas_f32 v11, v11, v12, v14
	v_div_fixup_f32 v10, v11, v10, 1.0
.LBB46_10:                              ;   in Loop: Header=BB46_4 Depth=1
	s_or_b64 exec, exec, s[36:37]
	s_andn2_b64 s[18:19], s[18:19], exec
	s_and_b64 s[36:37], s[38:39], exec
	s_or_b64 s[18:19], s[18:19], s[36:37]
	v_mov_b32_e32 v11, v2
	s_or_b64 exec, exec, s[34:35]
	s_and_saveexec_b64 s[34:35], s[18:19]
	s_cbranch_execz .LBB46_3
.LBB46_11:                              ;   in Loop: Header=BB46_4 Depth=1
	s_load_dword s9, s[10:11], 0xc
	s_waitcnt lgkmcnt(0)
	s_and_b32 s9, s9, 0xffff
	v_mul_lo_u32 v11, v11, s9
	v_lshl_add_u32 v11, v11, 2, v7
	s_waitcnt vmcnt(0)
	ds_write_b32 v11, v10
	s_branch .LBB46_3
.LBB46_12:
	s_load_dword s9, s[10:11], 0xc
	s_mov_b64 s[2:3], src_shared_base
	s_mov_b32 s13, s3
	s_mov_b32 s17, 0
	s_mov_b64 s[2:3], s[12:13]
	s_waitcnt lgkmcnt(0)
	s_and_b32 s16, s9, 0xffff
.LBB46_13:
	s_mul_i32 s7, s7, s6
	v_add_u32_e32 v0, s7, v6
	v_mov_b32_e32 v1, 0
	v_cmp_gt_i64_e32 vcc, s[30:31], v[0:1]
	s_and_saveexec_b64 s[6:7], vcc
	s_cbranch_execz .LBB46_25
; %bb.14:
	v_mov_b32_e32 v3, v1
	v_cmp_gt_i64_e32 vcc, s[28:29], v[2:3]
	s_and_b64 exec, exec, vcc
	s_cbranch_execz .LBB46_25
; %bb.15:
	s_mul_i32 s6, s8, s27
	s_mul_hi_u32 s7, s8, s26
	s_add_i32 s7, s7, s6
	s_mul_i32 s6, s8, s26
	s_lshl_b64 s[6:7], s[6:7], 2
	s_add_u32 s8, s20, s6
	s_addc_u32 s9, s21, s7
	s_lshl_b64 s[6:7], s[22:23], 2
	s_add_u32 s8, s8, s6
	s_addc_u32 s9, s9, s7
	v_mad_u64_u32 v[4:5], s[6:7], v0, s24, 0
	v_mov_b32_e32 v8, v5
	v_mad_u64_u32 v[0:1], s[6:7], v0, s25, v[8:9]
	v_mov_b32_e32 v5, v0
	v_lshlrev_b64 v[0:1], 2, v[4:5]
	v_mov_b32_e32 v4, s9
	v_add_co_u32_e32 v0, vcc, s8, v0
	v_addc_co_u32_e32 v1, vcc, v4, v1, vcc
	v_lshlrev_b32_e32 v7, 2, v2
	v_add_co_u32_e32 v0, vcc, v0, v7
	v_addc_co_u32_e32 v1, vcc, 0, v1, vcc
	global_load_dword v4, v[0:1], off
	s_load_dword s8, s[4:5], 0x18
	v_cmp_lt_u64_e64 s[6:7], s[28:29], 2
	s_add_u32 s4, s28, -1
	s_addc_u32 s5, s29, -1
	s_and_b64 vcc, exec, s[6:7]
	s_waitcnt vmcnt(0) lgkmcnt(0)
	v_mul_f32_e32 v8, s8, v4
	s_cbranch_vccnz .LBB46_22
; %bb.16:
	v_mad_u64_u32 v[4:5], s[6:7], v2, s16, v[2:3]
	v_mov_b32_e32 v10, v5
	v_mad_u64_u32 v[10:11], s[6:7], v2, s17, v[10:11]
	v_mov_b32_e32 v5, v10
	v_lshlrev_b64 v[4:5], 2, v[4:5]
	v_mov_b32_e32 v10, s3
	v_add_co_u32_e32 v4, vcc, s2, v4
	v_addc_co_u32_e32 v5, vcc, v10, v5, vcc
	v_lshl_add_u32 v9, v6, 2, 0
	v_add_co_u32_e32 v6, vcc, s2, v7
	s_lshl_b64 s[6:7], s[16:17], 2
	v_addc_co_u32_e32 v7, vcc, 0, v10, vcc
	s_mov_b64 s[8:9], 0
	v_mov_b32_e32 v10, s7
	s_branch .LBB46_18
.LBB46_17:                              ;   in Loop: Header=BB46_18 Depth=1
	s_or_b64 exec, exec, s[10:11]
	s_add_u32 s8, s8, 1
	s_addc_u32 s9, s9, 0
	v_add_co_u32_e32 v6, vcc, s6, v6
	s_cmp_eq_u64 s[4:5], s[8:9]
	v_addc_co_u32_e32 v7, vcc, v7, v10, vcc
	s_cbranch_scc1 .LBB46_22
.LBB46_18:                              ; =>This Inner Loop Header: Depth=1
	v_cmp_eq_u64_e32 vcc, s[8:9], v[2:3]
	s_barrier
	s_and_saveexec_b64 s[10:11], vcc
	s_cbranch_execz .LBB46_20
; %bb.19:                               ;   in Loop: Header=BB46_18 Depth=1
	flat_load_dword v11, v[4:5]
	s_waitcnt vmcnt(0) lgkmcnt(0)
	v_div_scale_f32 v12, s[12:13], v11, v11, 1.0
	v_rcp_f32_e32 v13, v12
	v_div_scale_f32 v14, vcc, 1.0, v11, 1.0
	v_fma_f32 v15, -v12, v13, 1.0
	v_fmac_f32_e32 v13, v15, v13
	v_mul_f32_e32 v15, v14, v13
	v_fma_f32 v16, -v12, v15, v14
	v_fmac_f32_e32 v15, v16, v13
	v_fma_f32 v12, -v12, v15, v14
	v_div_fmas_f32 v12, v12, v13, v15
	v_div_fixup_f32 v12, v12, v11, 1.0
	v_cndmask_b32_e64 v11, v12, v11, s[0:1]
	v_mul_f32_e32 v8, v8, v11
	ds_write_b32 v9, v8
.LBB46_20:                              ;   in Loop: Header=BB46_18 Depth=1
	s_or_b64 exec, exec, s[10:11]
	v_cmp_lt_u64_e32 vcc, s[8:9], v[2:3]
	s_waitcnt lgkmcnt(0)
	s_barrier
	s_and_saveexec_b64 s[10:11], vcc
	s_cbranch_execz .LBB46_17
; %bb.21:                               ;   in Loop: Header=BB46_18 Depth=1
	flat_load_dword v11, v[6:7]
	ds_read_b32 v12, v9
	s_waitcnt vmcnt(0) lgkmcnt(0)
	v_fma_f32 v8, -v11, v12, v8
	s_branch .LBB46_17
.LBB46_22:
	v_cmp_eq_u64_e32 vcc, s[4:5], v[2:3]
	s_and_saveexec_b64 s[4:5], vcc
	s_cbranch_execz .LBB46_24
; %bb.23:
	v_mad_u64_u32 v[4:5], s[6:7], v2, s16, v[2:3]
	v_mov_b32_e32 v6, v5
	v_mad_u64_u32 v[2:3], s[6:7], v2, s17, v[6:7]
	v_mov_b32_e32 v5, v2
	v_lshlrev_b64 v[2:3], 2, v[4:5]
	v_mov_b32_e32 v4, s3
	v_add_co_u32_e32 v2, vcc, s2, v2
	v_addc_co_u32_e32 v3, vcc, v4, v3, vcc
	flat_load_dword v2, v[2:3]
	s_waitcnt vmcnt(0) lgkmcnt(0)
	v_div_scale_f32 v3, s[2:3], v2, v2, 1.0
	v_rcp_f32_e32 v4, v3
	v_div_scale_f32 v5, vcc, 1.0, v2, 1.0
	v_fma_f32 v6, -v3, v4, 1.0
	v_fmac_f32_e32 v4, v6, v4
	v_mul_f32_e32 v6, v5, v4
	v_fma_f32 v7, -v3, v6, v5
	v_fmac_f32_e32 v6, v7, v4
	v_fma_f32 v3, -v3, v6, v5
	v_div_fmas_f32 v3, v3, v4, v6
	v_div_fixup_f32 v3, v3, v2, 1.0
	v_cndmask_b32_e64 v2, v3, v2, s[0:1]
	v_mul_f32_e32 v8, v8, v2
.LBB46_24:
	s_or_b64 exec, exec, s[4:5]
	global_store_dword v[0:1], v8, off
.LBB46_25:
	s_endpgm
	.section	.rodata,"a",@progbits
	.p2align	6, 0x0
	.amdhsa_kernel _ZL39rocblas_trsm_block_forward_substitutionIffPKfPfLb0ELb0ELb0EEv18rocblas_operation_llT0_T1_lllT2_lllib
		.amdhsa_group_segment_fixed_size 0
		.amdhsa_private_segment_fixed_size 0
		.amdhsa_kernarg_size 360
		.amdhsa_user_sgpr_count 6
		.amdhsa_user_sgpr_private_segment_buffer 1
		.amdhsa_user_sgpr_dispatch_ptr 0
		.amdhsa_user_sgpr_queue_ptr 0
		.amdhsa_user_sgpr_kernarg_segment_ptr 1
		.amdhsa_user_sgpr_dispatch_id 0
		.amdhsa_user_sgpr_flat_scratch_init 0
		.amdhsa_user_sgpr_kernarg_preload_length 0
		.amdhsa_user_sgpr_kernarg_preload_offset 0
		.amdhsa_user_sgpr_private_segment_size 0
		.amdhsa_uses_dynamic_stack 0
		.amdhsa_system_sgpr_private_segment_wavefront_offset 0
		.amdhsa_system_sgpr_workgroup_id_x 1
		.amdhsa_system_sgpr_workgroup_id_y 1
		.amdhsa_system_sgpr_workgroup_id_z 1
		.amdhsa_system_sgpr_workgroup_info 0
		.amdhsa_system_vgpr_workitem_id 1
		.amdhsa_next_free_vgpr 17
		.amdhsa_next_free_sgpr 42
		.amdhsa_accum_offset 20
		.amdhsa_reserve_vcc 1
		.amdhsa_reserve_flat_scratch 0
		.amdhsa_float_round_mode_32 0
		.amdhsa_float_round_mode_16_64 0
		.amdhsa_float_denorm_mode_32 3
		.amdhsa_float_denorm_mode_16_64 3
		.amdhsa_dx10_clamp 1
		.amdhsa_ieee_mode 1
		.amdhsa_fp16_overflow 0
		.amdhsa_tg_split 0
		.amdhsa_exception_fp_ieee_invalid_op 0
		.amdhsa_exception_fp_denorm_src 0
		.amdhsa_exception_fp_ieee_div_zero 0
		.amdhsa_exception_fp_ieee_overflow 0
		.amdhsa_exception_fp_ieee_underflow 0
		.amdhsa_exception_fp_ieee_inexact 0
		.amdhsa_exception_int_div_zero 0
	.end_amdhsa_kernel
	.section	.text._ZL39rocblas_trsm_block_forward_substitutionIffPKfPfLb0ELb0ELb0EEv18rocblas_operation_llT0_T1_lllT2_lllib,"axG",@progbits,_ZL39rocblas_trsm_block_forward_substitutionIffPKfPfLb0ELb0ELb0EEv18rocblas_operation_llT0_T1_lllT2_lllib,comdat
.Lfunc_end46:
	.size	_ZL39rocblas_trsm_block_forward_substitutionIffPKfPfLb0ELb0ELb0EEv18rocblas_operation_llT0_T1_lllT2_lllib, .Lfunc_end46-_ZL39rocblas_trsm_block_forward_substitutionIffPKfPfLb0ELb0ELb0EEv18rocblas_operation_llT0_T1_lllT2_lllib
                                        ; -- End function
	.section	.AMDGPU.csdata,"",@progbits
; Kernel info:
; codeLenInByte = 1280
; NumSgprs: 46
; NumVgprs: 17
; NumAgprs: 0
; TotalNumVgprs: 17
; ScratchSize: 0
; MemoryBound: 0
; FloatMode: 240
; IeeeMode: 1
; LDSByteSize: 0 bytes/workgroup (compile time only)
; SGPRBlocks: 5
; VGPRBlocks: 2
; NumSGPRsForWavesPerEU: 46
; NumVGPRsForWavesPerEU: 17
; AccumOffset: 20
; Occupancy: 8
; WaveLimiterHint : 1
; COMPUTE_PGM_RSRC2:SCRATCH_EN: 0
; COMPUTE_PGM_RSRC2:USER_SGPR: 6
; COMPUTE_PGM_RSRC2:TRAP_HANDLER: 0
; COMPUTE_PGM_RSRC2:TGID_X_EN: 1
; COMPUTE_PGM_RSRC2:TGID_Y_EN: 1
; COMPUTE_PGM_RSRC2:TGID_Z_EN: 1
; COMPUTE_PGM_RSRC2:TIDIG_COMP_CNT: 1
; COMPUTE_PGM_RSRC3_GFX90A:ACCUM_OFFSET: 4
; COMPUTE_PGM_RSRC3_GFX90A:TG_SPLIT: 0
	.section	.text._ZL40rocblas_trsm_block_backward_substitutionIffPKfPfLb0ELb0ELb0EEv18rocblas_operation_llT0_T1_lllT2_lllib,"axG",@progbits,_ZL40rocblas_trsm_block_backward_substitutionIffPKfPfLb0ELb0ELb0EEv18rocblas_operation_llT0_T1_lllT2_lllib,comdat
	.globl	_ZL40rocblas_trsm_block_backward_substitutionIffPKfPfLb0ELb0ELb0EEv18rocblas_operation_llT0_T1_lllT2_lllib ; -- Begin function _ZL40rocblas_trsm_block_backward_substitutionIffPKfPfLb0ELb0ELb0EEv18rocblas_operation_llT0_T1_lllT2_lllib
	.p2align	8
	.type	_ZL40rocblas_trsm_block_backward_substitutionIffPKfPfLb0ELb0ELb0EEv18rocblas_operation_llT0_T1_lllT2_lllib,@function
_ZL40rocblas_trsm_block_backward_substitutionIffPKfPfLb0ELb0ELb0EEv18rocblas_operation_llT0_T1_lllT2_lllib: ; @_ZL40rocblas_trsm_block_backward_substitutionIffPKfPfLb0ELb0ELb0EEv18rocblas_operation_llT0_T1_lllT2_lllib
; %bb.0:
	s_load_dwordx16 s[12:27], s[4:5], 0x20
	s_load_dword s9, s[4:5], 0x64
	s_load_dwordx4 s[28:31], s[4:5], 0x8
	s_load_dword s6, s[4:5], 0x74
	v_and_b32_e32 v2, 0x3ff, v0
	s_waitcnt lgkmcnt(0)
	s_mul_i32 s2, s8, s19
	s_bitcmp1_b32 s9, 0
	s_mul_hi_u32 s3, s8, s18
	s_cselect_b64 s[0:1], -1, 0
	s_add_i32 s3, s3, s2
	s_mul_i32 s2, s8, s18
	s_lshl_b64 s[2:3], s[2:3], 2
	s_add_u32 s10, s12, s2
	s_addc_u32 s11, s13, s3
	s_lshl_b64 s[2:3], s[14:15], 2
	s_add_u32 s10, s10, s2
	s_addc_u32 s11, s11, s3
	s_add_u32 s12, s4, 0x68
	s_addc_u32 s13, s5, 0
	s_lshr_b32 s6, s6, 16
	v_bfe_u32 v8, v0, 10, 10
	s_bitcmp0_b32 s9, 0
	s_mov_b64 s[2:3], 1
	s_cbranch_scc1 .LBB47_14
; %bb.1:
	s_lshl_b32 s2, s6, 2
	s_add_i32 s14, s2, 0
	v_cmp_lt_i64_e64 s[2:3], s[28:29], 1
	s_mov_b64 s[34:35], 1
	s_and_b64 vcc, exec, s[2:3]
	s_cbranch_vccnz .LBB47_15
; %bb.2:
	v_mad_u64_u32 v[0:1], s[36:37], v2, s16, 0
	v_mov_b32_e32 v4, v1
	v_mad_u64_u32 v[4:5], s[16:17], v2, s17, v[4:5]
	v_mov_b32_e32 v1, v4
	v_mov_b32_e32 v3, 0
	v_lshlrev_b64 v[0:1], 2, v[0:1]
	v_cmp_le_u64_e64 s[18:19], s[28:29], v[2:3]
	v_cmp_gt_u64_e64 s[2:3], s[28:29], v[2:3]
	v_mov_b32_e32 v4, s11
	v_add_co_u32_e32 v3, vcc, s10, v0
	v_lshlrev_b32_e32 v6, 2, v2
	v_addc_co_u32_e32 v10, vcc, v4, v1, vcc
	v_add_co_u32_e32 v0, vcc, v3, v6
	v_add_u32_e32 v9, s14, v6
	v_addc_co_u32_e32 v1, vcc, 0, v10, vcc
	s_xor_b64 s[16:17], s[18:19], -1
	v_pk_mov_b32 v[4:5], s[28:29], s[28:29] op_sel:[0,1]
	s_mov_b32 s36, s6
	v_mov_b32_e32 v6, v8
	s_branch .LBB47_4
.LBB47_3:                               ;   in Loop: Header=BB47_4 Depth=1
	s_or_b64 exec, exec, s[38:39]
	s_ashr_i32 s37, s36, 31
	v_cmp_ge_i64_e32 vcc, s[36:37], v[4:5]
	v_add_u32_e32 v6, s6, v6
	s_add_i32 s36, s36, s6
	s_cbranch_vccnz .LBB47_15
.LBB47_4:                               ; =>This Inner Loop Header: Depth=1
	s_mov_b64 s[10:11], 0
	s_mov_b64 s[40:41], s[18:19]
                                        ; implicit-def: $vgpr11
                                        ; implicit-def: $vgpr7
	s_and_saveexec_b64 s[38:39], s[2:3]
	s_cbranch_execnz .LBB47_7
; %bb.5:                                ;   in Loop: Header=BB47_4 Depth=1
	s_or_b64 exec, exec, s[38:39]
	s_and_saveexec_b64 s[38:39], s[40:41]
	s_cbranch_execnz .LBB47_10
.LBB47_6:                               ;   in Loop: Header=BB47_4 Depth=1
	s_or_b64 exec, exec, s[38:39]
	s_and_saveexec_b64 s[38:39], s[10:11]
	s_cbranch_execz .LBB47_3
	s_branch .LBB47_13
.LBB47_7:                               ;   in Loop: Header=BB47_4 Depth=1
	v_ashrrev_i32_e32 v7, 31, v6
	v_cmp_gt_i64_e32 vcc, s[28:29], v[6:7]
	v_cmp_lt_i32_e64 s[10:11], v2, v6
	s_and_b64 s[44:45], s[10:11], vcc
	s_mov_b64 s[40:41], -1
	s_mov_b64 s[10:11], 0
                                        ; implicit-def: $vgpr11
	s_and_saveexec_b64 s[42:43], s[44:45]
	s_cbranch_execz .LBB47_9
; %bb.8:                                ;   in Loop: Header=BB47_4 Depth=1
	v_lshlrev_b64 v[12:13], 2, v[6:7]
	v_add_co_u32_e32 v12, vcc, v3, v12
	v_addc_co_u32_e32 v13, vcc, v10, v13, vcc
	global_load_dword v11, v[12:13], off
	s_mov_b64 s[10:11], exec
	s_xor_b64 s[40:41], exec, -1
.LBB47_9:                               ;   in Loop: Header=BB47_4 Depth=1
	s_or_b64 exec, exec, s[42:43]
	s_andn2_b64 s[42:43], s[18:19], exec
	s_and_b64 s[40:41], s[40:41], exec
	s_and_b64 s[10:11], s[10:11], exec
	s_or_b64 s[40:41], s[42:43], s[40:41]
	v_mov_b32_e32 v7, v6
	s_or_b64 exec, exec, s[38:39]
	s_and_saveexec_b64 s[38:39], s[40:41]
	s_cbranch_execz .LBB47_6
.LBB47_10:                              ;   in Loop: Header=BB47_4 Depth=1
	v_cmp_eq_u32_e32 vcc, v2, v6
	s_and_b64 s[44:45], s[16:17], vcc
	s_mov_b64 s[42:43], s[10:11]
                                        ; implicit-def: $vgpr11
	s_and_saveexec_b64 s[40:41], s[44:45]
	s_cbranch_execz .LBB47_12
; %bb.11:                               ;   in Loop: Header=BB47_4 Depth=1
	global_load_dword v7, v[0:1], off
	s_waitcnt vmcnt(0)
	v_div_scale_f32 v11, s[42:43], v7, v7, 1.0
	v_rcp_f32_e32 v12, v11
	v_div_scale_f32 v13, vcc, 1.0, v7, 1.0
	s_or_b64 s[42:43], s[10:11], exec
	v_fma_f32 v14, -v11, v12, 1.0
	v_fmac_f32_e32 v12, v14, v12
	v_mul_f32_e32 v14, v13, v12
	v_fma_f32 v15, -v11, v14, v13
	v_fmac_f32_e32 v14, v15, v12
	v_fma_f32 v11, -v11, v14, v13
	v_div_fmas_f32 v11, v11, v12, v14
	v_div_fixup_f32 v11, v11, v7, 1.0
.LBB47_12:                              ;   in Loop: Header=BB47_4 Depth=1
	s_or_b64 exec, exec, s[40:41]
	s_andn2_b64 s[10:11], s[10:11], exec
	s_and_b64 s[40:41], s[42:43], exec
	s_or_b64 s[10:11], s[10:11], s[40:41]
	v_mov_b32_e32 v7, v2
	s_or_b64 exec, exec, s[38:39]
	s_and_saveexec_b64 s[38:39], s[10:11]
	s_cbranch_execz .LBB47_3
.LBB47_13:                              ;   in Loop: Header=BB47_4 Depth=1
	s_load_dword s9, s[12:13], 0xc
	s_waitcnt lgkmcnt(0)
	s_and_b32 s9, s9, 0xffff
	v_mul_lo_u32 v7, v7, s9
	v_lshl_add_u32 v7, v7, 2, v9
	s_waitcnt vmcnt(0)
	ds_write_b32 v7, v11
	s_branch .LBB47_3
.LBB47_14:
	s_mov_b32 s34, s16
	s_mov_b32 s35, s17
	s_branch .LBB47_16
.LBB47_15:
	s_load_dword s2, s[12:13], 0xc
	s_mov_b64 s[10:11], src_shared_base
	s_mov_b32 s15, s11
	s_mov_b32 s3, 0
	s_mov_b64 s[10:11], s[14:15]
	s_waitcnt lgkmcnt(0)
	s_and_b32 s2, s2, 0xffff
.LBB47_16:
	s_mul_i32 s7, s7, s6
	v_add_u32_e32 v0, s7, v8
	v_mov_b32_e32 v1, 0
	v_cmp_gt_i64_e32 vcc, s[30:31], v[0:1]
	s_and_saveexec_b64 s[6:7], vcc
	s_cbranch_execz .LBB47_29
; %bb.17:
	v_mov_b32_e32 v3, v1
	v_cmp_gt_i64_e32 vcc, s[28:29], v[2:3]
	s_and_b64 exec, exec, vcc
	s_cbranch_execz .LBB47_29
; %bb.18:
	s_mul_i32 s6, s8, s27
	s_mul_hi_u32 s7, s8, s26
	s_add_i32 s7, s7, s6
	s_mul_i32 s6, s8, s26
	s_lshl_b64 s[6:7], s[6:7], 2
	s_add_u32 s8, s20, s6
	s_addc_u32 s9, s21, s7
	s_lshl_b64 s[6:7], s[22:23], 2
	s_add_u32 s8, s8, s6
	s_addc_u32 s9, s9, s7
	v_mad_u64_u32 v[4:5], s[6:7], v2, s24, 0
	v_mov_b32_e32 v6, v5
	v_mad_u64_u32 v[6:7], s[6:7], v2, s25, v[6:7]
	v_mov_b32_e32 v5, v6
	v_lshlrev_b64 v[4:5], 2, v[4:5]
	v_mov_b32_e32 v6, s9
	v_add_co_u32_e32 v4, vcc, s8, v4
	v_addc_co_u32_e32 v5, vcc, v6, v5, vcc
	v_lshlrev_b64 v[0:1], 2, v[0:1]
	v_add_co_u32_e32 v0, vcc, v4, v0
	v_addc_co_u32_e32 v1, vcc, v5, v1, vcc
	global_load_dword v4, v[0:1], off
	s_load_dword s6, s[4:5], 0x18
	v_cmp_lt_u64_e64 s[4:5], s[28:29], 2
	s_and_b64 vcc, exec, s[4:5]
	s_waitcnt vmcnt(0) lgkmcnt(0)
	v_mul_f32_e32 v9, s6, v4
	s_cbranch_vccnz .LBB47_26
; %bb.19:
	s_add_u32 s4, s2, s34
	v_mad_u64_u32 v[4:5], s[4:5], s4, v2, 0
	s_addc_u32 s6, s3, s35
	v_mov_b32_e32 v6, v5
	v_mad_u64_u32 v[6:7], s[4:5], s6, v2, v[6:7]
	v_mov_b32_e32 v5, v6
	v_lshlrev_b64 v[4:5], 2, v[4:5]
	v_mov_b32_e32 v6, s11
	v_add_co_u32_e32 v4, vcc, s10, v4
	v_addc_co_u32_e32 v5, vcc, v6, v5, vcc
	v_mad_u64_u32 v[6:7], s[4:5], s34, v2, 0
	v_mov_b32_e32 v10, v7
	v_mad_u64_u32 v[10:11], s[4:5], s35, v2, v[10:11]
	s_add_u32 s4, s28, -1
	s_addc_u32 s5, s29, -1
	s_mul_i32 s6, s2, s5
	s_mul_hi_u32 s7, s2, s4
	s_add_i32 s7, s7, s6
	s_mul_i32 s6, s2, s4
	v_mov_b32_e32 v7, v10
	s_lshl_b64 s[6:7], s[6:7], 2
	v_lshlrev_b64 v[6:7], 2, v[6:7]
	s_add_u32 s6, s10, s6
	s_addc_u32 s7, s11, s7
	v_add_co_u32_e32 v6, vcc, s6, v6
	s_lshl_b32 s6, s2, 2
	s_sub_u32 s8, 0, s6
	v_mov_b32_e32 v10, s7
	s_subb_u32 s6, 0, 0
	v_lshl_add_u32 v8, v8, 2, 0
	v_addc_co_u32_e32 v7, vcc, v10, v7, vcc
	v_mov_b32_e32 v10, s6
.LBB47_20:                              ; =>This Inner Loop Header: Depth=1
	v_cmp_eq_u64_e32 vcc, s[4:5], v[2:3]
	s_barrier
	s_and_saveexec_b64 s[6:7], vcc
	s_cbranch_execz .LBB47_22
; %bb.21:                               ;   in Loop: Header=BB47_20 Depth=1
	flat_load_dword v11, v[4:5]
	s_waitcnt vmcnt(0) lgkmcnt(0)
	v_div_scale_f32 v12, s[12:13], v11, v11, 1.0
	v_rcp_f32_e32 v13, v12
	v_div_scale_f32 v14, vcc, 1.0, v11, 1.0
	v_fma_f32 v15, -v12, v13, 1.0
	v_fmac_f32_e32 v13, v15, v13
	v_mul_f32_e32 v15, v14, v13
	v_fma_f32 v16, -v12, v15, v14
	v_fmac_f32_e32 v15, v16, v13
	v_fma_f32 v12, -v12, v15, v14
	v_div_fmas_f32 v12, v12, v13, v15
	v_div_fixup_f32 v12, v12, v11, 1.0
	v_cndmask_b32_e64 v11, v12, v11, s[0:1]
	v_mul_f32_e32 v9, v9, v11
	ds_write_b32 v8, v9
.LBB47_22:                              ;   in Loop: Header=BB47_20 Depth=1
	s_or_b64 exec, exec, s[6:7]
	v_cmp_gt_i64_e32 vcc, s[4:5], v[2:3]
	s_waitcnt lgkmcnt(0)
	s_barrier
	s_and_saveexec_b64 s[6:7], vcc
	s_cbranch_execz .LBB47_24
; %bb.23:                               ;   in Loop: Header=BB47_20 Depth=1
	flat_load_dword v11, v[6:7]
	ds_read_b32 v12, v8
	s_waitcnt vmcnt(0) lgkmcnt(0)
	v_fma_f32 v9, -v11, v12, v9
.LBB47_24:                              ;   in Loop: Header=BB47_20 Depth=1
	s_or_b64 exec, exec, s[6:7]
	s_add_u32 s6, s4, -1
	s_addc_u32 s7, s5, -1
	s_add_u32 s4, s4, 1
	s_addc_u32 s5, s5, 0
	v_add_co_u32_e32 v6, vcc, s8, v6
	v_addc_co_u32_e32 v7, vcc, v7, v10, vcc
	v_cmp_lt_u64_e64 s[4:5], s[4:5], 3
	s_and_b64 vcc, exec, s[4:5]
	s_cbranch_vccnz .LBB47_26
; %bb.25:                               ;   in Loop: Header=BB47_20 Depth=1
	s_mov_b64 s[4:5], s[6:7]
	s_branch .LBB47_20
.LBB47_26:
	v_cmp_eq_u32_e32 vcc, 0, v2
	s_and_saveexec_b64 s[4:5], vcc
	s_cbranch_execz .LBB47_28
; %bb.27:
	s_add_u32 s2, s2, s34
	s_addc_u32 s6, s3, s35
	v_mad_u64_u32 v[4:5], s[2:3], s2, v2, 0
	v_mov_b32_e32 v6, v5
	v_mad_u64_u32 v[2:3], s[2:3], s6, v2, v[6:7]
	v_mov_b32_e32 v5, v2
	v_lshlrev_b64 v[2:3], 2, v[4:5]
	v_mov_b32_e32 v4, s11
	v_add_co_u32_e32 v2, vcc, s10, v2
	v_addc_co_u32_e32 v3, vcc, v4, v3, vcc
	flat_load_dword v2, v[2:3]
	s_waitcnt vmcnt(0) lgkmcnt(0)
	v_div_scale_f32 v3, s[2:3], v2, v2, 1.0
	v_rcp_f32_e32 v4, v3
	v_div_scale_f32 v5, vcc, 1.0, v2, 1.0
	v_fma_f32 v6, -v3, v4, 1.0
	v_fmac_f32_e32 v4, v6, v4
	v_mul_f32_e32 v6, v5, v4
	v_fma_f32 v7, -v3, v6, v5
	v_fmac_f32_e32 v6, v7, v4
	v_fma_f32 v3, -v3, v6, v5
	v_div_fmas_f32 v3, v3, v4, v6
	v_div_fixup_f32 v3, v3, v2, 1.0
	v_cndmask_b32_e64 v2, v3, v2, s[0:1]
	v_mul_f32_e32 v9, v9, v2
.LBB47_28:
	s_or_b64 exec, exec, s[4:5]
	global_store_dword v[0:1], v9, off
.LBB47_29:
	s_endpgm
	.section	.rodata,"a",@progbits
	.p2align	6, 0x0
	.amdhsa_kernel _ZL40rocblas_trsm_block_backward_substitutionIffPKfPfLb0ELb0ELb0EEv18rocblas_operation_llT0_T1_lllT2_lllib
		.amdhsa_group_segment_fixed_size 0
		.amdhsa_private_segment_fixed_size 0
		.amdhsa_kernarg_size 360
		.amdhsa_user_sgpr_count 6
		.amdhsa_user_sgpr_private_segment_buffer 1
		.amdhsa_user_sgpr_dispatch_ptr 0
		.amdhsa_user_sgpr_queue_ptr 0
		.amdhsa_user_sgpr_kernarg_segment_ptr 1
		.amdhsa_user_sgpr_dispatch_id 0
		.amdhsa_user_sgpr_flat_scratch_init 0
		.amdhsa_user_sgpr_kernarg_preload_length 0
		.amdhsa_user_sgpr_kernarg_preload_offset 0
		.amdhsa_user_sgpr_private_segment_size 0
		.amdhsa_uses_dynamic_stack 0
		.amdhsa_system_sgpr_private_segment_wavefront_offset 0
		.amdhsa_system_sgpr_workgroup_id_x 1
		.amdhsa_system_sgpr_workgroup_id_y 1
		.amdhsa_system_sgpr_workgroup_id_z 1
		.amdhsa_system_sgpr_workgroup_info 0
		.amdhsa_system_vgpr_workitem_id 1
		.amdhsa_next_free_vgpr 17
		.amdhsa_next_free_sgpr 46
		.amdhsa_accum_offset 20
		.amdhsa_reserve_vcc 1
		.amdhsa_reserve_flat_scratch 0
		.amdhsa_float_round_mode_32 0
		.amdhsa_float_round_mode_16_64 0
		.amdhsa_float_denorm_mode_32 3
		.amdhsa_float_denorm_mode_16_64 3
		.amdhsa_dx10_clamp 1
		.amdhsa_ieee_mode 1
		.amdhsa_fp16_overflow 0
		.amdhsa_tg_split 0
		.amdhsa_exception_fp_ieee_invalid_op 0
		.amdhsa_exception_fp_denorm_src 0
		.amdhsa_exception_fp_ieee_div_zero 0
		.amdhsa_exception_fp_ieee_overflow 0
		.amdhsa_exception_fp_ieee_underflow 0
		.amdhsa_exception_fp_ieee_inexact 0
		.amdhsa_exception_int_div_zero 0
	.end_amdhsa_kernel
	.section	.text._ZL40rocblas_trsm_block_backward_substitutionIffPKfPfLb0ELb0ELb0EEv18rocblas_operation_llT0_T1_lllT2_lllib,"axG",@progbits,_ZL40rocblas_trsm_block_backward_substitutionIffPKfPfLb0ELb0ELb0EEv18rocblas_operation_llT0_T1_lllT2_lllib,comdat
.Lfunc_end47:
	.size	_ZL40rocblas_trsm_block_backward_substitutionIffPKfPfLb0ELb0ELb0EEv18rocblas_operation_llT0_T1_lllT2_lllib, .Lfunc_end47-_ZL40rocblas_trsm_block_backward_substitutionIffPKfPfLb0ELb0ELb0EEv18rocblas_operation_llT0_T1_lllT2_lllib
                                        ; -- End function
	.section	.AMDGPU.csdata,"",@progbits
; Kernel info:
; codeLenInByte = 1408
; NumSgprs: 50
; NumVgprs: 17
; NumAgprs: 0
; TotalNumVgprs: 17
; ScratchSize: 0
; MemoryBound: 0
; FloatMode: 240
; IeeeMode: 1
; LDSByteSize: 0 bytes/workgroup (compile time only)
; SGPRBlocks: 6
; VGPRBlocks: 2
; NumSGPRsForWavesPerEU: 50
; NumVGPRsForWavesPerEU: 17
; AccumOffset: 20
; Occupancy: 8
; WaveLimiterHint : 1
; COMPUTE_PGM_RSRC2:SCRATCH_EN: 0
; COMPUTE_PGM_RSRC2:USER_SGPR: 6
; COMPUTE_PGM_RSRC2:TRAP_HANDLER: 0
; COMPUTE_PGM_RSRC2:TGID_X_EN: 1
; COMPUTE_PGM_RSRC2:TGID_Y_EN: 1
; COMPUTE_PGM_RSRC2:TGID_Z_EN: 1
; COMPUTE_PGM_RSRC2:TIDIG_COMP_CNT: 1
; COMPUTE_PGM_RSRC3_GFX90A:ACCUM_OFFSET: 4
; COMPUTE_PGM_RSRC3_GFX90A:TG_SPLIT: 0
	.section	.text._ZL39rocblas_trsm_block_forward_substitutionIffPKfPfLb0ELb0ELb1EEv18rocblas_operation_llT0_T1_lllT2_lllib,"axG",@progbits,_ZL39rocblas_trsm_block_forward_substitutionIffPKfPfLb0ELb0ELb1EEv18rocblas_operation_llT0_T1_lllT2_lllib,comdat
	.globl	_ZL39rocblas_trsm_block_forward_substitutionIffPKfPfLb0ELb0ELb1EEv18rocblas_operation_llT0_T1_lllT2_lllib ; -- Begin function _ZL39rocblas_trsm_block_forward_substitutionIffPKfPfLb0ELb0ELb1EEv18rocblas_operation_llT0_T1_lllT2_lllib
	.p2align	8
	.type	_ZL39rocblas_trsm_block_forward_substitutionIffPKfPfLb0ELb0ELb1EEv18rocblas_operation_llT0_T1_lllT2_lllib,@function
_ZL39rocblas_trsm_block_forward_substitutionIffPKfPfLb0ELb0ELb1EEv18rocblas_operation_llT0_T1_lllT2_lllib: ; @_ZL39rocblas_trsm_block_forward_substitutionIffPKfPfLb0ELb0ELb1EEv18rocblas_operation_llT0_T1_lllT2_lllib
; %bb.0:
	s_load_dwordx16 s[12:27], s[4:5], 0x20
	s_load_dwordx4 s[28:31], s[4:5], 0x8
	v_and_b32_e32 v2, 0x3ff, v0
	v_bfe_u32 v4, v0, 10, 10
	s_waitcnt lgkmcnt(0)
	s_mul_i32 s0, s8, s19
	s_mul_hi_u32 s1, s8, s18
	s_add_i32 s1, s1, s0
	s_mul_i32 s0, s8, s18
	s_lshl_b64 s[0:1], s[0:1], 2
	s_add_u32 s2, s12, s0
	s_addc_u32 s3, s13, s1
	s_lshl_b64 s[0:1], s[14:15], 2
	s_add_u32 s2, s2, s0
	s_load_dword s0, s[4:5], 0x64
	s_load_dword s6, s[4:5], 0x74
	s_addc_u32 s3, s3, s1
	s_add_u32 s10, s4, 0x68
	s_addc_u32 s11, s5, 0
	s_waitcnt lgkmcnt(0)
	s_lshr_b32 s6, s6, 16
	s_bitcmp0_b32 s0, 0
	s_cbranch_scc1 .LBB48_7
; %bb.1:
	s_lshl_b32 s0, s6, 2
	s_add_i32 s12, s0, 0
	v_cmp_lt_i64_e64 s[0:1], s[28:29], 1
	s_and_b64 vcc, exec, s[0:1]
	s_cbranch_vccnz .LBB48_6
; %bb.2:
	v_lshlrev_b32_e32 v0, 2, v2
	v_mov_b32_e32 v3, 0
	v_cmp_gt_u64_e64 s[0:1], s[28:29], v[2:3]
	v_mov_b32_e32 v1, s3
	v_add_co_u32_e32 v3, vcc, s2, v0
	v_add_u32_e32 v5, s12, v0
	s_mov_b32 s14, 0
	v_addc_co_u32_e32 v6, vcc, 0, v1, vcc
	v_pk_mov_b32 v[0:1], s[28:29], s[28:29] op_sel:[0,1]
	s_branch .LBB48_4
.LBB48_3:                               ;   in Loop: Header=BB48_4 Depth=1
	s_or_b64 exec, exec, s[2:3]
	s_add_i32 s14, s14, s6
	s_ashr_i32 s15, s14, 31
	v_cmp_ge_i64_e32 vcc, s[14:15], v[0:1]
	s_cbranch_vccnz .LBB48_6
.LBB48_4:                               ; =>This Inner Loop Header: Depth=1
	v_add_u32_e32 v7, s14, v4
	v_cmp_gt_i32_e32 vcc, v2, v7
	s_and_b64 s[18:19], s[0:1], vcc
	s_and_saveexec_b64 s[2:3], s[18:19]
	s_cbranch_execz .LBB48_3
; %bb.5:                                ;   in Loop: Header=BB48_4 Depth=1
	v_ashrrev_i32_e32 v8, 31, v7
	v_mul_lo_u32 v10, v7, s17
	v_mul_lo_u32 v11, v8, s16
	v_mad_u64_u32 v[8:9], s[18:19], v7, s16, 0
	v_add3_u32 v9, v9, v10, v11
	v_lshlrev_b64 v[8:9], 2, v[8:9]
	v_add_co_u32_e32 v8, vcc, v3, v8
	v_addc_co_u32_e32 v9, vcc, v6, v9, vcc
	global_load_dword v8, v[8:9], off
	s_load_dword s9, s[10:11], 0xc
	s_waitcnt lgkmcnt(0)
	s_and_b32 s9, s9, 0xffff
	v_mul_lo_u32 v7, v7, s9
	v_lshl_add_u32 v7, v7, 2, v5
	s_waitcnt vmcnt(0)
	ds_write_b32 v7, v8
	s_branch .LBB48_3
.LBB48_6:
	s_load_dword s2, s[10:11], 0xc
	s_mov_b64 s[0:1], src_shared_base
	s_mov_b32 s13, s1
	s_mov_b32 s17, 0
	s_waitcnt lgkmcnt(0)
	s_and_b32 s16, s2, 0xffff
	s_mov_b64 s[2:3], s[12:13]
.LBB48_7:
	s_mul_i32 s7, s7, s6
	v_add_u32_e32 v0, s7, v4
	v_mov_b32_e32 v1, 0
	v_cmp_gt_i64_e32 vcc, s[30:31], v[0:1]
	s_and_saveexec_b64 s[0:1], vcc
	s_cbranch_execz .LBB48_17
; %bb.8:
	v_mov_b32_e32 v3, v1
	v_cmp_gt_i64_e32 vcc, s[28:29], v[2:3]
	s_and_b64 exec, exec, vcc
	s_cbranch_execz .LBB48_17
; %bb.9:
	s_mul_i32 s0, s8, s27
	s_mul_hi_u32 s1, s8, s26
	s_add_i32 s1, s1, s0
	s_mul_i32 s0, s8, s26
	s_lshl_b64 s[0:1], s[0:1], 2
	s_add_u32 s6, s20, s0
	s_addc_u32 s7, s21, s1
	s_lshl_b64 s[0:1], s[22:23], 2
	s_add_u32 s6, s6, s0
	s_addc_u32 s7, s7, s1
	v_mad_u64_u32 v[6:7], s[0:1], v0, s24, 0
	v_mov_b32_e32 v8, v7
	v_mad_u64_u32 v[0:1], s[0:1], v0, s25, v[8:9]
	v_mov_b32_e32 v7, v0
	v_lshlrev_b64 v[0:1], 2, v[6:7]
	v_mov_b32_e32 v5, s7
	v_add_co_u32_e32 v0, vcc, s6, v0
	v_addc_co_u32_e32 v1, vcc, v5, v1, vcc
	v_lshlrev_b32_e32 v5, 2, v2
	v_add_co_u32_e32 v0, vcc, v0, v5
	v_addc_co_u32_e32 v1, vcc, 0, v1, vcc
	global_load_dword v6, v[0:1], off
	s_load_dword s4, s[4:5], 0x18
	v_cmp_lt_u64_e64 s[0:1], s[28:29], 2
	s_and_b64 vcc, exec, s[0:1]
	s_waitcnt vmcnt(0) lgkmcnt(0)
	v_mul_f32_e32 v6, s4, v6
	s_cbranch_vccnz .LBB48_16
; %bb.10:
	s_add_u32 s0, s28, -1
	v_lshl_add_u32 v7, v4, 2, 0
	s_addc_u32 s1, s29, -1
	v_mov_b32_e32 v8, s3
	v_add_co_u32_e32 v4, vcc, s2, v5
	s_lshl_b64 s[2:3], s[16:17], 2
	v_addc_co_u32_e32 v5, vcc, 0, v8, vcc
	s_mov_b64 s[4:5], 0
	v_mov_b32_e32 v8, s3
	s_branch .LBB48_12
.LBB48_11:                              ;   in Loop: Header=BB48_12 Depth=1
	s_or_b64 exec, exec, s[6:7]
	s_add_u32 s4, s4, 1
	s_addc_u32 s5, s5, 0
	v_add_co_u32_e32 v4, vcc, s2, v4
	s_cmp_eq_u64 s[0:1], s[4:5]
	v_addc_co_u32_e32 v5, vcc, v5, v8, vcc
	s_cbranch_scc1 .LBB48_16
.LBB48_12:                              ; =>This Inner Loop Header: Depth=1
	v_cmp_eq_u64_e32 vcc, s[4:5], v[2:3]
	s_barrier
	s_and_saveexec_b64 s[6:7], vcc
	s_cbranch_execz .LBB48_14
; %bb.13:                               ;   in Loop: Header=BB48_12 Depth=1
	ds_write_b32 v7, v6
.LBB48_14:                              ;   in Loop: Header=BB48_12 Depth=1
	s_or_b64 exec, exec, s[6:7]
	v_cmp_lt_u64_e32 vcc, s[4:5], v[2:3]
	s_waitcnt lgkmcnt(0)
	s_barrier
	s_and_saveexec_b64 s[6:7], vcc
	s_cbranch_execz .LBB48_11
; %bb.15:                               ;   in Loop: Header=BB48_12 Depth=1
	flat_load_dword v9, v[4:5]
	ds_read_b32 v10, v7
	s_waitcnt vmcnt(0) lgkmcnt(0)
	v_fma_f32 v6, -v9, v10, v6
	s_branch .LBB48_11
.LBB48_16:
	global_store_dword v[0:1], v6, off
.LBB48_17:
	s_endpgm
	.section	.rodata,"a",@progbits
	.p2align	6, 0x0
	.amdhsa_kernel _ZL39rocblas_trsm_block_forward_substitutionIffPKfPfLb0ELb0ELb1EEv18rocblas_operation_llT0_T1_lllT2_lllib
		.amdhsa_group_segment_fixed_size 0
		.amdhsa_private_segment_fixed_size 0
		.amdhsa_kernarg_size 360
		.amdhsa_user_sgpr_count 6
		.amdhsa_user_sgpr_private_segment_buffer 1
		.amdhsa_user_sgpr_dispatch_ptr 0
		.amdhsa_user_sgpr_queue_ptr 0
		.amdhsa_user_sgpr_kernarg_segment_ptr 1
		.amdhsa_user_sgpr_dispatch_id 0
		.amdhsa_user_sgpr_flat_scratch_init 0
		.amdhsa_user_sgpr_kernarg_preload_length 0
		.amdhsa_user_sgpr_kernarg_preload_offset 0
		.amdhsa_user_sgpr_private_segment_size 0
		.amdhsa_uses_dynamic_stack 0
		.amdhsa_system_sgpr_private_segment_wavefront_offset 0
		.amdhsa_system_sgpr_workgroup_id_x 1
		.amdhsa_system_sgpr_workgroup_id_y 1
		.amdhsa_system_sgpr_workgroup_id_z 1
		.amdhsa_system_sgpr_workgroup_info 0
		.amdhsa_system_vgpr_workitem_id 1
		.amdhsa_next_free_vgpr 12
		.amdhsa_next_free_sgpr 32
		.amdhsa_accum_offset 12
		.amdhsa_reserve_vcc 1
		.amdhsa_reserve_flat_scratch 0
		.amdhsa_float_round_mode_32 0
		.amdhsa_float_round_mode_16_64 0
		.amdhsa_float_denorm_mode_32 3
		.amdhsa_float_denorm_mode_16_64 3
		.amdhsa_dx10_clamp 1
		.amdhsa_ieee_mode 1
		.amdhsa_fp16_overflow 0
		.amdhsa_tg_split 0
		.amdhsa_exception_fp_ieee_invalid_op 0
		.amdhsa_exception_fp_denorm_src 0
		.amdhsa_exception_fp_ieee_div_zero 0
		.amdhsa_exception_fp_ieee_overflow 0
		.amdhsa_exception_fp_ieee_underflow 0
		.amdhsa_exception_fp_ieee_inexact 0
		.amdhsa_exception_int_div_zero 0
	.end_amdhsa_kernel
	.section	.text._ZL39rocblas_trsm_block_forward_substitutionIffPKfPfLb0ELb0ELb1EEv18rocblas_operation_llT0_T1_lllT2_lllib,"axG",@progbits,_ZL39rocblas_trsm_block_forward_substitutionIffPKfPfLb0ELb0ELb1EEv18rocblas_operation_llT0_T1_lllT2_lllib,comdat
.Lfunc_end48:
	.size	_ZL39rocblas_trsm_block_forward_substitutionIffPKfPfLb0ELb0ELb1EEv18rocblas_operation_llT0_T1_lllT2_lllib, .Lfunc_end48-_ZL39rocblas_trsm_block_forward_substitutionIffPKfPfLb0ELb0ELb1EEv18rocblas_operation_llT0_T1_lllT2_lllib
                                        ; -- End function
	.section	.AMDGPU.csdata,"",@progbits
; Kernel info:
; codeLenInByte = 720
; NumSgprs: 36
; NumVgprs: 12
; NumAgprs: 0
; TotalNumVgprs: 12
; ScratchSize: 0
; MemoryBound: 0
; FloatMode: 240
; IeeeMode: 1
; LDSByteSize: 0 bytes/workgroup (compile time only)
; SGPRBlocks: 4
; VGPRBlocks: 1
; NumSGPRsForWavesPerEU: 36
; NumVGPRsForWavesPerEU: 12
; AccumOffset: 12
; Occupancy: 8
; WaveLimiterHint : 1
; COMPUTE_PGM_RSRC2:SCRATCH_EN: 0
; COMPUTE_PGM_RSRC2:USER_SGPR: 6
; COMPUTE_PGM_RSRC2:TRAP_HANDLER: 0
; COMPUTE_PGM_RSRC2:TGID_X_EN: 1
; COMPUTE_PGM_RSRC2:TGID_Y_EN: 1
; COMPUTE_PGM_RSRC2:TGID_Z_EN: 1
; COMPUTE_PGM_RSRC2:TIDIG_COMP_CNT: 1
; COMPUTE_PGM_RSRC3_GFX90A:ACCUM_OFFSET: 2
; COMPUTE_PGM_RSRC3_GFX90A:TG_SPLIT: 0
	.section	.text._ZL40rocblas_trsm_block_backward_substitutionIffPKfPfLb0ELb0ELb1EEv18rocblas_operation_llT0_T1_lllT2_lllib,"axG",@progbits,_ZL40rocblas_trsm_block_backward_substitutionIffPKfPfLb0ELb0ELb1EEv18rocblas_operation_llT0_T1_lllT2_lllib,comdat
	.globl	_ZL40rocblas_trsm_block_backward_substitutionIffPKfPfLb0ELb0ELb1EEv18rocblas_operation_llT0_T1_lllT2_lllib ; -- Begin function _ZL40rocblas_trsm_block_backward_substitutionIffPKfPfLb0ELb0ELb1EEv18rocblas_operation_llT0_T1_lllT2_lllib
	.p2align	8
	.type	_ZL40rocblas_trsm_block_backward_substitutionIffPKfPfLb0ELb0ELb1EEv18rocblas_operation_llT0_T1_lllT2_lllib,@function
_ZL40rocblas_trsm_block_backward_substitutionIffPKfPfLb0ELb0ELb1EEv18rocblas_operation_llT0_T1_lllT2_lllib: ; @_ZL40rocblas_trsm_block_backward_substitutionIffPKfPfLb0ELb0ELb1EEv18rocblas_operation_llT0_T1_lllT2_lllib
; %bb.0:
	s_load_dwordx16 s[12:27], s[4:5], 0x20
	s_load_dwordx4 s[28:31], s[4:5], 0x8
	v_and_b32_e32 v2, 0x3ff, v0
	v_bfe_u32 v6, v0, 10, 10
	s_waitcnt lgkmcnt(0)
	s_mul_i32 s0, s8, s19
	s_mul_hi_u32 s1, s8, s18
	s_add_i32 s1, s1, s0
	s_mul_i32 s0, s8, s18
	s_lshl_b64 s[0:1], s[0:1], 2
	s_add_u32 s2, s12, s0
	s_addc_u32 s3, s13, s1
	s_lshl_b64 s[0:1], s[14:15], 2
	s_add_u32 s2, s2, s0
	s_addc_u32 s3, s3, s1
	s_load_dword s0, s[4:5], 0x64
	s_load_dword s1, s[4:5], 0x74
	s_add_u32 s12, s4, 0x68
	s_addc_u32 s13, s5, 0
	s_waitcnt lgkmcnt(0)
	s_lshr_b32 s6, s1, 16
	s_bitcmp0_b32 s0, 0
	s_mov_b64 s[0:1], 1
	s_cbranch_scc1 .LBB49_6
; %bb.1:
	s_lshl_b32 s0, s6, 2
	s_add_i32 s14, s0, 0
	v_cmp_lt_i64_e64 s[0:1], s[28:29], 1
	s_mov_b64 s[10:11], 1
	s_and_b64 vcc, exec, s[0:1]
	s_cbranch_vccnz .LBB49_7
; %bb.2:
	v_mad_u64_u32 v[0:1], s[18:19], v2, s16, 0
	v_mov_b32_e32 v4, v1
	v_mad_u64_u32 v[4:5], s[16:17], v2, s17, v[4:5]
	v_mov_b32_e32 v1, v4
	v_mov_b32_e32 v3, 0
	v_lshlrev_b64 v[0:1], 2, v[0:1]
	v_cmp_gt_u64_e64 s[0:1], s[28:29], v[2:3]
	v_mov_b32_e32 v4, s3
	v_add_co_u32_e32 v3, vcc, s2, v0
	v_lshl_add_u32 v7, v2, 2, s14
	v_addc_co_u32_e32 v8, vcc, v4, v1, vcc
	s_mov_b32 s16, 0
	v_pk_mov_b32 v[0:1], s[28:29], s[28:29] op_sel:[0,1]
	s_branch .LBB49_4
.LBB49_3:                               ;   in Loop: Header=BB49_4 Depth=1
	s_or_b64 exec, exec, s[2:3]
	s_add_i32 s16, s16, s6
	s_ashr_i32 s17, s16, 31
	v_cmp_ge_i64_e32 vcc, s[16:17], v[0:1]
	s_cbranch_vccnz .LBB49_7
.LBB49_4:                               ; =>This Inner Loop Header: Depth=1
	v_add_u32_e32 v4, s16, v6
	v_ashrrev_i32_e32 v5, 31, v4
	v_cmp_gt_i64_e32 vcc, s[28:29], v[4:5]
	v_cmp_lt_i32_e64 s[2:3], v2, v4
	s_and_b64 s[2:3], s[2:3], vcc
	s_and_b64 s[18:19], s[0:1], s[2:3]
	s_and_saveexec_b64 s[2:3], s[18:19]
	s_cbranch_execz .LBB49_3
; %bb.5:                                ;   in Loop: Header=BB49_4 Depth=1
	v_lshlrev_b64 v[10:11], 2, v[4:5]
	v_add_co_u32_e32 v10, vcc, v3, v10
	v_addc_co_u32_e32 v11, vcc, v8, v11, vcc
	global_load_dword v5, v[10:11], off
	s_load_dword s9, s[12:13], 0xc
	s_waitcnt lgkmcnt(0)
	s_and_b32 s9, s9, 0xffff
	v_mul_lo_u32 v4, v4, s9
	v_lshl_add_u32 v4, v4, 2, v7
	s_waitcnt vmcnt(0)
	ds_write_b32 v4, v5
	s_branch .LBB49_3
.LBB49_6:
	s_mov_b32 s10, s16
	s_mov_b32 s11, s17
	s_branch .LBB49_8
.LBB49_7:
	s_load_dword s2, s[12:13], 0xc
	s_mov_b64 s[0:1], src_shared_base
	s_mov_b32 s15, s1
	s_waitcnt lgkmcnt(0)
	s_and_b32 s0, s2, 0xffff
	s_mov_b64 s[2:3], s[14:15]
.LBB49_8:
	s_mul_i32 s7, s7, s6
	v_add_u32_e32 v0, s7, v6
	v_mov_b32_e32 v1, 0
	v_cmp_gt_i64_e32 vcc, s[30:31], v[0:1]
	s_and_saveexec_b64 s[6:7], vcc
	s_cbranch_execz .LBB49_19
; %bb.9:
	v_mov_b32_e32 v3, v1
	v_cmp_gt_i64_e32 vcc, s[28:29], v[2:3]
	s_and_b64 exec, exec, vcc
	s_cbranch_execz .LBB49_19
; %bb.10:
	s_mul_i32 s1, s8, s27
	s_mul_hi_u32 s6, s8, s26
	s_add_i32 s7, s6, s1
	s_mul_i32 s6, s8, s26
	s_lshl_b64 s[6:7], s[6:7], 2
	s_add_u32 s1, s20, s6
	s_addc_u32 s8, s21, s7
	s_lshl_b64 s[6:7], s[22:23], 2
	s_add_u32 s1, s1, s6
	s_addc_u32 s8, s8, s7
	v_mad_u64_u32 v[4:5], s[6:7], v2, s24, 0
	v_mov_b32_e32 v8, v5
	v_mad_u64_u32 v[8:9], s[6:7], v2, s25, v[8:9]
	v_mov_b32_e32 v5, v8
	v_lshlrev_b64 v[4:5], 2, v[4:5]
	v_mov_b32_e32 v7, s8
	v_add_co_u32_e32 v4, vcc, s1, v4
	v_addc_co_u32_e32 v5, vcc, v7, v5, vcc
	v_lshlrev_b64 v[0:1], 2, v[0:1]
	v_add_co_u32_e32 v0, vcc, v4, v0
	v_addc_co_u32_e32 v1, vcc, v5, v1, vcc
	global_load_dword v4, v[0:1], off
	s_load_dword s1, s[4:5], 0x18
	v_cmp_lt_u64_e64 s[4:5], s[28:29], 2
	s_and_b64 vcc, exec, s[4:5]
	s_waitcnt vmcnt(0) lgkmcnt(0)
	v_mul_f32_e32 v7, s1, v4
	s_cbranch_vccnz .LBB49_18
; %bb.11:
	v_mad_u64_u32 v[4:5], s[4:5], s10, v2, 0
	v_mov_b32_e32 v8, v5
	v_mad_u64_u32 v[8:9], s[4:5], s11, v2, v[8:9]
	s_add_u32 s4, s28, -1
	s_addc_u32 s5, s29, -1
	s_mul_i32 s1, s0, s5
	s_mul_hi_u32 s6, s0, s4
	s_add_i32 s7, s6, s1
	s_mul_i32 s6, s0, s4
	s_lshl_b64 s[6:7], s[6:7], 2
	s_add_u32 s1, s2, s6
	v_mov_b32_e32 v5, v8
	s_addc_u32 s2, s3, s7
	s_lshl_b32 s0, s0, 2
	v_lshlrev_b64 v[4:5], 2, v[4:5]
	v_mov_b32_e32 v8, s2
	s_sub_u32 s2, 0, s0
	v_add_co_u32_e32 v4, vcc, s1, v4
	s_subb_u32 s0, 0, 0
	v_lshl_add_u32 v6, v6, 2, 0
	v_addc_co_u32_e32 v5, vcc, v8, v5, vcc
	v_mov_b32_e32 v8, s0
.LBB49_12:                              ; =>This Inner Loop Header: Depth=1
	v_cmp_eq_u64_e32 vcc, s[4:5], v[2:3]
	s_barrier
	s_and_saveexec_b64 s[0:1], vcc
	s_cbranch_execz .LBB49_14
; %bb.13:                               ;   in Loop: Header=BB49_12 Depth=1
	ds_write_b32 v6, v7
.LBB49_14:                              ;   in Loop: Header=BB49_12 Depth=1
	s_or_b64 exec, exec, s[0:1]
	v_cmp_gt_i64_e32 vcc, s[4:5], v[2:3]
	s_waitcnt lgkmcnt(0)
	s_barrier
	s_and_saveexec_b64 s[0:1], vcc
	s_cbranch_execz .LBB49_16
; %bb.15:                               ;   in Loop: Header=BB49_12 Depth=1
	flat_load_dword v9, v[4:5]
	ds_read_b32 v10, v6
	s_waitcnt vmcnt(0) lgkmcnt(0)
	v_fma_f32 v7, -v9, v10, v7
.LBB49_16:                              ;   in Loop: Header=BB49_12 Depth=1
	s_or_b64 exec, exec, s[0:1]
	s_add_u32 s0, s4, -1
	s_addc_u32 s1, s5, -1
	s_add_u32 s4, s4, 1
	s_addc_u32 s5, s5, 0
	v_add_co_u32_e32 v4, vcc, s2, v4
	v_addc_co_u32_e32 v5, vcc, v5, v8, vcc
	v_cmp_lt_u64_e64 s[4:5], s[4:5], 3
	s_and_b64 vcc, exec, s[4:5]
	s_cbranch_vccnz .LBB49_18
; %bb.17:                               ;   in Loop: Header=BB49_12 Depth=1
	s_mov_b64 s[4:5], s[0:1]
	s_branch .LBB49_12
.LBB49_18:
	global_store_dword v[0:1], v7, off
.LBB49_19:
	s_endpgm
	.section	.rodata,"a",@progbits
	.p2align	6, 0x0
	.amdhsa_kernel _ZL40rocblas_trsm_block_backward_substitutionIffPKfPfLb0ELb0ELb1EEv18rocblas_operation_llT0_T1_lllT2_lllib
		.amdhsa_group_segment_fixed_size 0
		.amdhsa_private_segment_fixed_size 0
		.amdhsa_kernarg_size 360
		.amdhsa_user_sgpr_count 6
		.amdhsa_user_sgpr_private_segment_buffer 1
		.amdhsa_user_sgpr_dispatch_ptr 0
		.amdhsa_user_sgpr_queue_ptr 0
		.amdhsa_user_sgpr_kernarg_segment_ptr 1
		.amdhsa_user_sgpr_dispatch_id 0
		.amdhsa_user_sgpr_flat_scratch_init 0
		.amdhsa_user_sgpr_kernarg_preload_length 0
		.amdhsa_user_sgpr_kernarg_preload_offset 0
		.amdhsa_user_sgpr_private_segment_size 0
		.amdhsa_uses_dynamic_stack 0
		.amdhsa_system_sgpr_private_segment_wavefront_offset 0
		.amdhsa_system_sgpr_workgroup_id_x 1
		.amdhsa_system_sgpr_workgroup_id_y 1
		.amdhsa_system_sgpr_workgroup_id_z 1
		.amdhsa_system_sgpr_workgroup_info 0
		.amdhsa_system_vgpr_workitem_id 1
		.amdhsa_next_free_vgpr 12
		.amdhsa_next_free_sgpr 32
		.amdhsa_accum_offset 12
		.amdhsa_reserve_vcc 1
		.amdhsa_reserve_flat_scratch 0
		.amdhsa_float_round_mode_32 0
		.amdhsa_float_round_mode_16_64 0
		.amdhsa_float_denorm_mode_32 3
		.amdhsa_float_denorm_mode_16_64 3
		.amdhsa_dx10_clamp 1
		.amdhsa_ieee_mode 1
		.amdhsa_fp16_overflow 0
		.amdhsa_tg_split 0
		.amdhsa_exception_fp_ieee_invalid_op 0
		.amdhsa_exception_fp_denorm_src 0
		.amdhsa_exception_fp_ieee_div_zero 0
		.amdhsa_exception_fp_ieee_overflow 0
		.amdhsa_exception_fp_ieee_underflow 0
		.amdhsa_exception_fp_ieee_inexact 0
		.amdhsa_exception_int_div_zero 0
	.end_amdhsa_kernel
	.section	.text._ZL40rocblas_trsm_block_backward_substitutionIffPKfPfLb0ELb0ELb1EEv18rocblas_operation_llT0_T1_lllT2_lllib,"axG",@progbits,_ZL40rocblas_trsm_block_backward_substitutionIffPKfPfLb0ELb0ELb1EEv18rocblas_operation_llT0_T1_lllT2_lllib,comdat
.Lfunc_end49:
	.size	_ZL40rocblas_trsm_block_backward_substitutionIffPKfPfLb0ELb0ELb1EEv18rocblas_operation_llT0_T1_lllT2_lllib, .Lfunc_end49-_ZL40rocblas_trsm_block_backward_substitutionIffPKfPfLb0ELb0ELb1EEv18rocblas_operation_llT0_T1_lllT2_lllib
                                        ; -- End function
	.section	.AMDGPU.csdata,"",@progbits
; Kernel info:
; codeLenInByte = 832
; NumSgprs: 36
; NumVgprs: 12
; NumAgprs: 0
; TotalNumVgprs: 12
; ScratchSize: 0
; MemoryBound: 0
; FloatMode: 240
; IeeeMode: 1
; LDSByteSize: 0 bytes/workgroup (compile time only)
; SGPRBlocks: 4
; VGPRBlocks: 1
; NumSGPRsForWavesPerEU: 36
; NumVGPRsForWavesPerEU: 12
; AccumOffset: 12
; Occupancy: 8
; WaveLimiterHint : 1
; COMPUTE_PGM_RSRC2:SCRATCH_EN: 0
; COMPUTE_PGM_RSRC2:USER_SGPR: 6
; COMPUTE_PGM_RSRC2:TRAP_HANDLER: 0
; COMPUTE_PGM_RSRC2:TGID_X_EN: 1
; COMPUTE_PGM_RSRC2:TGID_Y_EN: 1
; COMPUTE_PGM_RSRC2:TGID_Z_EN: 1
; COMPUTE_PGM_RSRC2:TIDIG_COMP_CNT: 1
; COMPUTE_PGM_RSRC3_GFX90A:ACCUM_OFFSET: 2
; COMPUTE_PGM_RSRC3_GFX90A:TG_SPLIT: 0
	.section	.text._ZL39rocblas_trsm_block_forward_substitutionIffPKfPfLb0ELb1ELb0EEv18rocblas_operation_llT0_T1_lllT2_lllib,"axG",@progbits,_ZL39rocblas_trsm_block_forward_substitutionIffPKfPfLb0ELb1ELb0EEv18rocblas_operation_llT0_T1_lllT2_lllib,comdat
	.globl	_ZL39rocblas_trsm_block_forward_substitutionIffPKfPfLb0ELb1ELb0EEv18rocblas_operation_llT0_T1_lllT2_lllib ; -- Begin function _ZL39rocblas_trsm_block_forward_substitutionIffPKfPfLb0ELb1ELb0EEv18rocblas_operation_llT0_T1_lllT2_lllib
	.p2align	8
	.type	_ZL39rocblas_trsm_block_forward_substitutionIffPKfPfLb0ELb1ELb0EEv18rocblas_operation_llT0_T1_lllT2_lllib,@function
_ZL39rocblas_trsm_block_forward_substitutionIffPKfPfLb0ELb1ELb0EEv18rocblas_operation_llT0_T1_lllT2_lllib: ; @_ZL39rocblas_trsm_block_forward_substitutionIffPKfPfLb0ELb1ELb0EEv18rocblas_operation_llT0_T1_lllT2_lllib
; %bb.0:
	s_load_dword s9, s[4:5], 0x64
	s_load_dwordx16 s[12:27], s[4:5], 0x20
	s_load_dwordx4 s[28:31], s[4:5], 0x8
	s_load_dword s6, s[4:5], 0x74
	v_and_b32_e32 v2, 0x3ff, v0
	s_waitcnt lgkmcnt(0)
	s_bitcmp1_b32 s9, 0
	s_mul_i32 s2, s8, s19
	s_mul_hi_u32 s3, s8, s18
	s_cselect_b64 s[0:1], -1, 0
	s_add_i32 s3, s3, s2
	s_mul_i32 s2, s8, s18
	s_lshl_b64 s[2:3], s[2:3], 2
	s_add_u32 s10, s12, s2
	s_addc_u32 s11, s13, s3
	s_lshl_b64 s[2:3], s[14:15], 2
	s_add_u32 s2, s10, s2
	s_addc_u32 s3, s11, s3
	s_add_u32 s10, s4, 0x68
	s_addc_u32 s11, s5, 0
	s_lshr_b32 s6, s6, 16
	s_bitcmp0_b32 s9, 0
	v_bfe_u32 v6, v0, 10, 10
	s_cbranch_scc1 .LBB50_13
; %bb.1:
	s_lshl_b32 s9, s6, 2
	v_cmp_lt_i64_e64 s[14:15], s[28:29], 1
	s_add_i32 s12, s9, 0
	s_and_b64 vcc, exec, s[14:15]
	s_cbranch_vccnz .LBB50_12
; %bb.2:
	v_lshlrev_b32_e32 v0, 2, v2
	v_mov_b32_e32 v3, 0
	v_cmp_le_u64_e32 vcc, s[28:29], v[2:3]
	v_mov_b32_e32 v1, s3
	v_add_co_u32_e64 v3, s[2:3], s2, v0
	v_add_u32_e32 v7, s12, v0
	v_addc_co_u32_e64 v8, s[2:3], 0, v1, s[2:3]
	v_mad_u64_u32 v[0:1], s[2:3], v2, s16, 0
	v_mov_b32_e32 v4, v1
	v_mad_u64_u32 v[4:5], s[2:3], v2, s17, v[4:5]
	v_mov_b32_e32 v1, v4
	v_lshlrev_b64 v[0:1], 2, v[0:1]
	v_add_co_u32_e64 v0, s[2:3], v3, v0
	v_addc_co_u32_e64 v1, s[2:3], v8, v1, s[2:3]
	s_xor_b64 s[2:3], vcc, -1
	v_pk_mov_b32 v[4:5], s[28:29], s[28:29] op_sel:[0,1]
	s_mov_b32 s14, s6
	v_mov_b32_e32 v9, v6
	s_branch .LBB50_4
.LBB50_3:                               ;   in Loop: Header=BB50_4 Depth=1
	s_or_b64 exec, exec, s[34:35]
	s_ashr_i32 s15, s14, 31
	v_cmp_ge_i64_e32 vcc, s[14:15], v[4:5]
	v_add_u32_e32 v9, s6, v9
	s_add_i32 s14, s14, s6
	s_cbranch_vccnz .LBB50_12
.LBB50_4:                               ; =>This Inner Loop Header: Depth=1
	v_cmp_gt_i32_e32 vcc, v2, v9
	s_and_b64 s[34:35], s[2:3], vcc
	s_mov_b64 s[18:19], 0
                                        ; implicit-def: $vgpr10
	s_and_saveexec_b64 s[36:37], s[34:35]
	s_xor_b64 s[34:35], exec, s[36:37]
	s_cbranch_execnz .LBB50_7
; %bb.5:                                ;   in Loop: Header=BB50_4 Depth=1
	s_or_saveexec_b64 s[34:35], s[34:35]
	v_mov_b32_e32 v11, v9
	s_xor_b64 exec, exec, s[34:35]
	s_cbranch_execnz .LBB50_8
.LBB50_6:                               ;   in Loop: Header=BB50_4 Depth=1
	s_or_b64 exec, exec, s[34:35]
	s_and_saveexec_b64 s[34:35], s[18:19]
	s_cbranch_execz .LBB50_3
	s_branch .LBB50_11
.LBB50_7:                               ;   in Loop: Header=BB50_4 Depth=1
	s_waitcnt vmcnt(0)
	v_ashrrev_i32_e32 v10, 31, v9
	v_mul_lo_u32 v12, v9, s17
	v_mul_lo_u32 v13, v10, s16
	v_mad_u64_u32 v[10:11], s[36:37], v9, s16, 0
	v_add3_u32 v11, v11, v12, v13
	v_lshlrev_b64 v[10:11], 2, v[10:11]
	v_add_co_u32_e32 v10, vcc, v3, v10
	v_addc_co_u32_e32 v11, vcc, v8, v11, vcc
	global_load_dword v10, v[10:11], off
	s_mov_b64 s[18:19], exec
	s_or_saveexec_b64 s[34:35], s[34:35]
	v_mov_b32_e32 v11, v9
	s_xor_b64 exec, exec, s[34:35]
	s_cbranch_execz .LBB50_6
.LBB50_8:                               ;   in Loop: Header=BB50_4 Depth=1
	v_cmp_eq_u32_e32 vcc, v2, v9
	s_and_b64 s[40:41], s[2:3], vcc
	s_mov_b64 s[38:39], s[18:19]
                                        ; implicit-def: $vgpr10
	s_and_saveexec_b64 s[36:37], s[40:41]
	s_cbranch_execz .LBB50_10
; %bb.9:                                ;   in Loop: Header=BB50_4 Depth=1
	global_load_dword v10, v[0:1], off
	s_waitcnt vmcnt(0)
	v_div_scale_f32 v11, s[38:39], v10, v10, 1.0
	v_rcp_f32_e32 v12, v11
	v_div_scale_f32 v13, vcc, 1.0, v10, 1.0
	s_or_b64 s[38:39], s[18:19], exec
	v_fma_f32 v14, -v11, v12, 1.0
	v_fmac_f32_e32 v12, v14, v12
	v_mul_f32_e32 v14, v13, v12
	v_fma_f32 v15, -v11, v14, v13
	v_fmac_f32_e32 v14, v15, v12
	v_fma_f32 v11, -v11, v14, v13
	v_div_fmas_f32 v11, v11, v12, v14
	v_div_fixup_f32 v10, v11, v10, 1.0
.LBB50_10:                              ;   in Loop: Header=BB50_4 Depth=1
	s_or_b64 exec, exec, s[36:37]
	s_andn2_b64 s[18:19], s[18:19], exec
	s_and_b64 s[36:37], s[38:39], exec
	s_or_b64 s[18:19], s[18:19], s[36:37]
	v_mov_b32_e32 v11, v2
	s_or_b64 exec, exec, s[34:35]
	s_and_saveexec_b64 s[34:35], s[18:19]
	s_cbranch_execz .LBB50_3
.LBB50_11:                              ;   in Loop: Header=BB50_4 Depth=1
	s_load_dword s9, s[10:11], 0xc
	s_waitcnt lgkmcnt(0)
	s_and_b32 s9, s9, 0xffff
	v_mul_lo_u32 v11, v11, s9
	v_lshl_add_u32 v11, v11, 2, v7
	s_waitcnt vmcnt(0)
	ds_write_b32 v11, v10
	s_branch .LBB50_3
.LBB50_12:
	s_load_dword s9, s[10:11], 0xc
	s_mov_b64 s[2:3], src_shared_base
	s_mov_b32 s13, s3
	s_mov_b32 s17, 0
	s_mov_b64 s[2:3], s[12:13]
	s_waitcnt lgkmcnt(0)
	s_and_b32 s16, s9, 0xffff
.LBB50_13:
	s_mul_i32 s7, s7, s6
	v_add_u32_e32 v0, s7, v6
	v_mov_b32_e32 v1, 0
	v_cmp_gt_i64_e32 vcc, s[30:31], v[0:1]
	s_and_saveexec_b64 s[6:7], vcc
	s_cbranch_execz .LBB50_25
; %bb.14:
	v_mov_b32_e32 v3, v1
	v_cmp_gt_i64_e32 vcc, s[28:29], v[2:3]
	s_and_b64 exec, exec, vcc
	s_cbranch_execz .LBB50_25
; %bb.15:
	s_mul_i32 s6, s8, s27
	s_mul_hi_u32 s7, s8, s26
	s_add_i32 s7, s7, s6
	s_mul_i32 s6, s8, s26
	s_lshl_b64 s[6:7], s[6:7], 2
	s_add_u32 s8, s20, s6
	s_addc_u32 s9, s21, s7
	s_lshl_b64 s[6:7], s[22:23], 2
	s_add_u32 s8, s8, s6
	s_addc_u32 s9, s9, s7
	v_mad_u64_u32 v[4:5], s[6:7], v2, s24, 0
	v_mov_b32_e32 v8, v5
	v_mad_u64_u32 v[8:9], s[6:7], v2, s25, v[8:9]
	v_mov_b32_e32 v5, v8
	v_lshlrev_b64 v[4:5], 2, v[4:5]
	v_mov_b32_e32 v7, s9
	v_add_co_u32_e32 v4, vcc, s8, v4
	v_addc_co_u32_e32 v5, vcc, v7, v5, vcc
	v_lshlrev_b64 v[0:1], 2, v[0:1]
	v_add_co_u32_e32 v0, vcc, v4, v0
	v_addc_co_u32_e32 v1, vcc, v5, v1, vcc
	global_load_dword v4, v[0:1], off
	s_load_dword s8, s[4:5], 0x18
	v_cmp_lt_u64_e64 s[6:7], s[28:29], 2
	s_add_u32 s4, s28, -1
	s_addc_u32 s5, s29, -1
	s_and_b64 vcc, exec, s[6:7]
	s_waitcnt vmcnt(0) lgkmcnt(0)
	v_mul_f32_e32 v8, s8, v4
	s_cbranch_vccnz .LBB50_22
; %bb.16:
	v_mad_u64_u32 v[4:5], s[6:7], v2, s16, v[2:3]
	v_mov_b32_e32 v10, v5
	v_mad_u64_u32 v[10:11], s[6:7], v2, s17, v[10:11]
	v_mov_b32_e32 v5, v10
	v_lshlrev_b64 v[4:5], 2, v[4:5]
	v_mov_b32_e32 v7, s3
	v_add_co_u32_e32 v4, vcc, s2, v4
	v_addc_co_u32_e32 v5, vcc, v7, v5, vcc
	v_lshl_add_u32 v9, v6, 2, 0
	v_lshlrev_b32_e32 v6, 2, v2
	v_add_co_u32_e32 v6, vcc, s2, v6
	s_lshl_b64 s[6:7], s[16:17], 2
	v_addc_co_u32_e32 v7, vcc, 0, v7, vcc
	s_mov_b64 s[8:9], 0
	v_mov_b32_e32 v10, s7
	s_branch .LBB50_18
.LBB50_17:                              ;   in Loop: Header=BB50_18 Depth=1
	s_or_b64 exec, exec, s[10:11]
	s_add_u32 s8, s8, 1
	s_addc_u32 s9, s9, 0
	v_add_co_u32_e32 v6, vcc, s6, v6
	s_cmp_eq_u64 s[4:5], s[8:9]
	v_addc_co_u32_e32 v7, vcc, v7, v10, vcc
	s_cbranch_scc1 .LBB50_22
.LBB50_18:                              ; =>This Inner Loop Header: Depth=1
	v_cmp_eq_u64_e32 vcc, s[8:9], v[2:3]
	s_barrier
	s_and_saveexec_b64 s[10:11], vcc
	s_cbranch_execz .LBB50_20
; %bb.19:                               ;   in Loop: Header=BB50_18 Depth=1
	flat_load_dword v11, v[4:5]
	s_waitcnt vmcnt(0) lgkmcnt(0)
	v_div_scale_f32 v12, s[12:13], v11, v11, 1.0
	v_rcp_f32_e32 v13, v12
	v_div_scale_f32 v14, vcc, 1.0, v11, 1.0
	v_fma_f32 v15, -v12, v13, 1.0
	v_fmac_f32_e32 v13, v15, v13
	v_mul_f32_e32 v15, v14, v13
	v_fma_f32 v16, -v12, v15, v14
	v_fmac_f32_e32 v15, v16, v13
	v_fma_f32 v12, -v12, v15, v14
	v_div_fmas_f32 v12, v12, v13, v15
	v_div_fixup_f32 v12, v12, v11, 1.0
	v_cndmask_b32_e64 v11, v12, v11, s[0:1]
	v_mul_f32_e32 v8, v8, v11
	ds_write_b32 v9, v8
.LBB50_20:                              ;   in Loop: Header=BB50_18 Depth=1
	s_or_b64 exec, exec, s[10:11]
	v_cmp_lt_u64_e32 vcc, s[8:9], v[2:3]
	s_waitcnt lgkmcnt(0)
	s_barrier
	s_and_saveexec_b64 s[10:11], vcc
	s_cbranch_execz .LBB50_17
; %bb.21:                               ;   in Loop: Header=BB50_18 Depth=1
	flat_load_dword v11, v[6:7]
	ds_read_b32 v12, v9
	s_waitcnt vmcnt(0) lgkmcnt(0)
	v_fma_f32 v8, -v11, v12, v8
	s_branch .LBB50_17
.LBB50_22:
	v_cmp_eq_u64_e32 vcc, s[4:5], v[2:3]
	s_and_saveexec_b64 s[4:5], vcc
	s_cbranch_execz .LBB50_24
; %bb.23:
	v_mad_u64_u32 v[4:5], s[6:7], v2, s16, v[2:3]
	v_mov_b32_e32 v6, v5
	v_mad_u64_u32 v[2:3], s[6:7], v2, s17, v[6:7]
	v_mov_b32_e32 v5, v2
	v_lshlrev_b64 v[2:3], 2, v[4:5]
	v_mov_b32_e32 v4, s3
	v_add_co_u32_e32 v2, vcc, s2, v2
	v_addc_co_u32_e32 v3, vcc, v4, v3, vcc
	flat_load_dword v2, v[2:3]
	s_waitcnt vmcnt(0) lgkmcnt(0)
	v_div_scale_f32 v3, s[2:3], v2, v2, 1.0
	v_rcp_f32_e32 v4, v3
	v_div_scale_f32 v5, vcc, 1.0, v2, 1.0
	v_fma_f32 v6, -v3, v4, 1.0
	v_fmac_f32_e32 v4, v6, v4
	v_mul_f32_e32 v6, v5, v4
	v_fma_f32 v7, -v3, v6, v5
	v_fmac_f32_e32 v6, v7, v4
	v_fma_f32 v3, -v3, v6, v5
	v_div_fmas_f32 v3, v3, v4, v6
	v_div_fixup_f32 v3, v3, v2, 1.0
	v_cndmask_b32_e64 v2, v3, v2, s[0:1]
	v_mul_f32_e32 v8, v8, v2
.LBB50_24:
	s_or_b64 exec, exec, s[4:5]
	global_store_dword v[0:1], v8, off
.LBB50_25:
	s_endpgm
	.section	.rodata,"a",@progbits
	.p2align	6, 0x0
	.amdhsa_kernel _ZL39rocblas_trsm_block_forward_substitutionIffPKfPfLb0ELb1ELb0EEv18rocblas_operation_llT0_T1_lllT2_lllib
		.amdhsa_group_segment_fixed_size 0
		.amdhsa_private_segment_fixed_size 0
		.amdhsa_kernarg_size 360
		.amdhsa_user_sgpr_count 6
		.amdhsa_user_sgpr_private_segment_buffer 1
		.amdhsa_user_sgpr_dispatch_ptr 0
		.amdhsa_user_sgpr_queue_ptr 0
		.amdhsa_user_sgpr_kernarg_segment_ptr 1
		.amdhsa_user_sgpr_dispatch_id 0
		.amdhsa_user_sgpr_flat_scratch_init 0
		.amdhsa_user_sgpr_kernarg_preload_length 0
		.amdhsa_user_sgpr_kernarg_preload_offset 0
		.amdhsa_user_sgpr_private_segment_size 0
		.amdhsa_uses_dynamic_stack 0
		.amdhsa_system_sgpr_private_segment_wavefront_offset 0
		.amdhsa_system_sgpr_workgroup_id_x 1
		.amdhsa_system_sgpr_workgroup_id_y 1
		.amdhsa_system_sgpr_workgroup_id_z 1
		.amdhsa_system_sgpr_workgroup_info 0
		.amdhsa_system_vgpr_workitem_id 1
		.amdhsa_next_free_vgpr 17
		.amdhsa_next_free_sgpr 42
		.amdhsa_accum_offset 20
		.amdhsa_reserve_vcc 1
		.amdhsa_reserve_flat_scratch 0
		.amdhsa_float_round_mode_32 0
		.amdhsa_float_round_mode_16_64 0
		.amdhsa_float_denorm_mode_32 3
		.amdhsa_float_denorm_mode_16_64 3
		.amdhsa_dx10_clamp 1
		.amdhsa_ieee_mode 1
		.amdhsa_fp16_overflow 0
		.amdhsa_tg_split 0
		.amdhsa_exception_fp_ieee_invalid_op 0
		.amdhsa_exception_fp_denorm_src 0
		.amdhsa_exception_fp_ieee_div_zero 0
		.amdhsa_exception_fp_ieee_overflow 0
		.amdhsa_exception_fp_ieee_underflow 0
		.amdhsa_exception_fp_ieee_inexact 0
		.amdhsa_exception_int_div_zero 0
	.end_amdhsa_kernel
	.section	.text._ZL39rocblas_trsm_block_forward_substitutionIffPKfPfLb0ELb1ELb0EEv18rocblas_operation_llT0_T1_lllT2_lllib,"axG",@progbits,_ZL39rocblas_trsm_block_forward_substitutionIffPKfPfLb0ELb1ELb0EEv18rocblas_operation_llT0_T1_lllT2_lllib,comdat
.Lfunc_end50:
	.size	_ZL39rocblas_trsm_block_forward_substitutionIffPKfPfLb0ELb1ELb0EEv18rocblas_operation_llT0_T1_lllT2_lllib, .Lfunc_end50-_ZL39rocblas_trsm_block_forward_substitutionIffPKfPfLb0ELb1ELb0EEv18rocblas_operation_llT0_T1_lllT2_lllib
                                        ; -- End function
	.section	.AMDGPU.csdata,"",@progbits
; Kernel info:
; codeLenInByte = 1288
; NumSgprs: 46
; NumVgprs: 17
; NumAgprs: 0
; TotalNumVgprs: 17
; ScratchSize: 0
; MemoryBound: 0
; FloatMode: 240
; IeeeMode: 1
; LDSByteSize: 0 bytes/workgroup (compile time only)
; SGPRBlocks: 5
; VGPRBlocks: 2
; NumSGPRsForWavesPerEU: 46
; NumVGPRsForWavesPerEU: 17
; AccumOffset: 20
; Occupancy: 8
; WaveLimiterHint : 1
; COMPUTE_PGM_RSRC2:SCRATCH_EN: 0
; COMPUTE_PGM_RSRC2:USER_SGPR: 6
; COMPUTE_PGM_RSRC2:TRAP_HANDLER: 0
; COMPUTE_PGM_RSRC2:TGID_X_EN: 1
; COMPUTE_PGM_RSRC2:TGID_Y_EN: 1
; COMPUTE_PGM_RSRC2:TGID_Z_EN: 1
; COMPUTE_PGM_RSRC2:TIDIG_COMP_CNT: 1
; COMPUTE_PGM_RSRC3_GFX90A:ACCUM_OFFSET: 4
; COMPUTE_PGM_RSRC3_GFX90A:TG_SPLIT: 0
	.section	.text._ZL40rocblas_trsm_block_backward_substitutionIffPKfPfLb0ELb1ELb0EEv18rocblas_operation_llT0_T1_lllT2_lllib,"axG",@progbits,_ZL40rocblas_trsm_block_backward_substitutionIffPKfPfLb0ELb1ELb0EEv18rocblas_operation_llT0_T1_lllT2_lllib,comdat
	.globl	_ZL40rocblas_trsm_block_backward_substitutionIffPKfPfLb0ELb1ELb0EEv18rocblas_operation_llT0_T1_lllT2_lllib ; -- Begin function _ZL40rocblas_trsm_block_backward_substitutionIffPKfPfLb0ELb1ELb0EEv18rocblas_operation_llT0_T1_lllT2_lllib
	.p2align	8
	.type	_ZL40rocblas_trsm_block_backward_substitutionIffPKfPfLb0ELb1ELb0EEv18rocblas_operation_llT0_T1_lllT2_lllib,@function
_ZL40rocblas_trsm_block_backward_substitutionIffPKfPfLb0ELb1ELb0EEv18rocblas_operation_llT0_T1_lllT2_lllib: ; @_ZL40rocblas_trsm_block_backward_substitutionIffPKfPfLb0ELb1ELb0EEv18rocblas_operation_llT0_T1_lllT2_lllib
; %bb.0:
	s_load_dwordx16 s[12:27], s[4:5], 0x20
	s_load_dword s9, s[4:5], 0x64
	s_load_dwordx4 s[28:31], s[4:5], 0x8
	s_load_dword s6, s[4:5], 0x74
	v_and_b32_e32 v2, 0x3ff, v0
	s_waitcnt lgkmcnt(0)
	s_mul_i32 s2, s8, s19
	s_bitcmp1_b32 s9, 0
	s_mul_hi_u32 s3, s8, s18
	s_cselect_b64 s[0:1], -1, 0
	s_add_i32 s3, s3, s2
	s_mul_i32 s2, s8, s18
	s_lshl_b64 s[2:3], s[2:3], 2
	s_add_u32 s10, s12, s2
	s_addc_u32 s11, s13, s3
	s_lshl_b64 s[2:3], s[14:15], 2
	s_add_u32 s10, s10, s2
	s_addc_u32 s11, s11, s3
	s_add_u32 s12, s4, 0x68
	s_addc_u32 s13, s5, 0
	s_lshr_b32 s6, s6, 16
	v_bfe_u32 v8, v0, 10, 10
	s_bitcmp0_b32 s9, 0
	s_mov_b64 s[2:3], 1
	s_cbranch_scc1 .LBB51_14
; %bb.1:
	s_lshl_b32 s2, s6, 2
	s_add_i32 s14, s2, 0
	v_cmp_lt_i64_e64 s[2:3], s[28:29], 1
	s_mov_b64 s[34:35], 1
	s_and_b64 vcc, exec, s[2:3]
	s_cbranch_vccnz .LBB51_15
; %bb.2:
	v_mad_u64_u32 v[0:1], s[36:37], v2, s16, 0
	v_mov_b32_e32 v4, v1
	v_mad_u64_u32 v[4:5], s[16:17], v2, s17, v[4:5]
	v_mov_b32_e32 v1, v4
	v_mov_b32_e32 v3, 0
	v_lshlrev_b64 v[0:1], 2, v[0:1]
	v_cmp_le_u64_e64 s[18:19], s[28:29], v[2:3]
	v_cmp_gt_u64_e64 s[2:3], s[28:29], v[2:3]
	v_mov_b32_e32 v4, s11
	v_add_co_u32_e32 v3, vcc, s10, v0
	v_lshlrev_b32_e32 v6, 2, v2
	v_addc_co_u32_e32 v10, vcc, v4, v1, vcc
	v_add_co_u32_e32 v0, vcc, v3, v6
	v_add_u32_e32 v9, s14, v6
	v_addc_co_u32_e32 v1, vcc, 0, v10, vcc
	s_xor_b64 s[16:17], s[18:19], -1
	v_pk_mov_b32 v[4:5], s[28:29], s[28:29] op_sel:[0,1]
	s_mov_b32 s36, s6
	v_mov_b32_e32 v6, v8
	s_branch .LBB51_4
.LBB51_3:                               ;   in Loop: Header=BB51_4 Depth=1
	s_or_b64 exec, exec, s[38:39]
	s_ashr_i32 s37, s36, 31
	v_cmp_ge_i64_e32 vcc, s[36:37], v[4:5]
	v_add_u32_e32 v6, s6, v6
	s_add_i32 s36, s36, s6
	s_cbranch_vccnz .LBB51_15
.LBB51_4:                               ; =>This Inner Loop Header: Depth=1
	s_mov_b64 s[10:11], 0
	s_mov_b64 s[40:41], s[18:19]
                                        ; implicit-def: $vgpr11
                                        ; implicit-def: $vgpr7
	s_and_saveexec_b64 s[38:39], s[2:3]
	s_cbranch_execnz .LBB51_7
; %bb.5:                                ;   in Loop: Header=BB51_4 Depth=1
	s_or_b64 exec, exec, s[38:39]
	s_and_saveexec_b64 s[38:39], s[40:41]
	s_cbranch_execnz .LBB51_10
.LBB51_6:                               ;   in Loop: Header=BB51_4 Depth=1
	s_or_b64 exec, exec, s[38:39]
	s_and_saveexec_b64 s[38:39], s[10:11]
	s_cbranch_execz .LBB51_3
	s_branch .LBB51_13
.LBB51_7:                               ;   in Loop: Header=BB51_4 Depth=1
	v_ashrrev_i32_e32 v7, 31, v6
	v_cmp_gt_i64_e32 vcc, s[28:29], v[6:7]
	v_cmp_lt_i32_e64 s[10:11], v2, v6
	s_and_b64 s[44:45], s[10:11], vcc
	s_mov_b64 s[40:41], -1
	s_mov_b64 s[10:11], 0
                                        ; implicit-def: $vgpr11
	s_and_saveexec_b64 s[42:43], s[44:45]
	s_cbranch_execz .LBB51_9
; %bb.8:                                ;   in Loop: Header=BB51_4 Depth=1
	v_lshlrev_b64 v[12:13], 2, v[6:7]
	v_add_co_u32_e32 v12, vcc, v3, v12
	v_addc_co_u32_e32 v13, vcc, v10, v13, vcc
	global_load_dword v11, v[12:13], off
	s_mov_b64 s[10:11], exec
	s_xor_b64 s[40:41], exec, -1
.LBB51_9:                               ;   in Loop: Header=BB51_4 Depth=1
	s_or_b64 exec, exec, s[42:43]
	s_andn2_b64 s[42:43], s[18:19], exec
	s_and_b64 s[40:41], s[40:41], exec
	s_and_b64 s[10:11], s[10:11], exec
	s_or_b64 s[40:41], s[42:43], s[40:41]
	v_mov_b32_e32 v7, v6
	s_or_b64 exec, exec, s[38:39]
	s_and_saveexec_b64 s[38:39], s[40:41]
	s_cbranch_execz .LBB51_6
.LBB51_10:                              ;   in Loop: Header=BB51_4 Depth=1
	v_cmp_eq_u32_e32 vcc, v2, v6
	s_and_b64 s[44:45], s[16:17], vcc
	s_mov_b64 s[42:43], s[10:11]
                                        ; implicit-def: $vgpr11
	s_and_saveexec_b64 s[40:41], s[44:45]
	s_cbranch_execz .LBB51_12
; %bb.11:                               ;   in Loop: Header=BB51_4 Depth=1
	global_load_dword v7, v[0:1], off
	s_waitcnt vmcnt(0)
	v_div_scale_f32 v11, s[42:43], v7, v7, 1.0
	v_rcp_f32_e32 v12, v11
	v_div_scale_f32 v13, vcc, 1.0, v7, 1.0
	s_or_b64 s[42:43], s[10:11], exec
	v_fma_f32 v14, -v11, v12, 1.0
	v_fmac_f32_e32 v12, v14, v12
	v_mul_f32_e32 v14, v13, v12
	v_fma_f32 v15, -v11, v14, v13
	v_fmac_f32_e32 v14, v15, v12
	v_fma_f32 v11, -v11, v14, v13
	v_div_fmas_f32 v11, v11, v12, v14
	v_div_fixup_f32 v11, v11, v7, 1.0
.LBB51_12:                              ;   in Loop: Header=BB51_4 Depth=1
	s_or_b64 exec, exec, s[40:41]
	s_andn2_b64 s[10:11], s[10:11], exec
	s_and_b64 s[40:41], s[42:43], exec
	s_or_b64 s[10:11], s[10:11], s[40:41]
	v_mov_b32_e32 v7, v2
	s_or_b64 exec, exec, s[38:39]
	s_and_saveexec_b64 s[38:39], s[10:11]
	s_cbranch_execz .LBB51_3
.LBB51_13:                              ;   in Loop: Header=BB51_4 Depth=1
	s_load_dword s9, s[12:13], 0xc
	s_waitcnt lgkmcnt(0)
	s_and_b32 s9, s9, 0xffff
	v_mul_lo_u32 v7, v7, s9
	v_lshl_add_u32 v7, v7, 2, v9
	s_waitcnt vmcnt(0)
	ds_write_b32 v7, v11
	s_branch .LBB51_3
.LBB51_14:
	s_mov_b32 s34, s16
	s_mov_b32 s35, s17
	s_branch .LBB51_16
.LBB51_15:
	s_load_dword s2, s[12:13], 0xc
	s_mov_b64 s[10:11], src_shared_base
	s_mov_b32 s15, s11
	s_mov_b32 s3, 0
	s_mov_b64 s[10:11], s[14:15]
	s_waitcnt lgkmcnt(0)
	s_and_b32 s2, s2, 0xffff
.LBB51_16:
	s_mul_i32 s7, s7, s6
	v_add_u32_e32 v0, s7, v8
	v_mov_b32_e32 v1, 0
	v_cmp_gt_i64_e32 vcc, s[30:31], v[0:1]
	s_and_saveexec_b64 s[6:7], vcc
	s_cbranch_execz .LBB51_29
; %bb.17:
	v_mov_b32_e32 v3, v1
	v_cmp_gt_i64_e32 vcc, s[28:29], v[2:3]
	s_and_b64 exec, exec, vcc
	s_cbranch_execz .LBB51_29
; %bb.18:
	s_mul_i32 s6, s8, s27
	s_mul_hi_u32 s7, s8, s26
	s_add_i32 s7, s7, s6
	s_mul_i32 s6, s8, s26
	s_lshl_b64 s[6:7], s[6:7], 2
	s_add_u32 s8, s20, s6
	s_addc_u32 s9, s21, s7
	s_lshl_b64 s[6:7], s[22:23], 2
	s_add_u32 s8, s8, s6
	s_addc_u32 s9, s9, s7
	v_mad_u64_u32 v[4:5], s[6:7], v0, s24, 0
	v_mov_b32_e32 v6, v5
	v_mad_u64_u32 v[0:1], s[6:7], v0, s25, v[6:7]
	v_mov_b32_e32 v5, v0
	v_lshlrev_b64 v[0:1], 2, v[4:5]
	v_mov_b32_e32 v4, s9
	v_add_co_u32_e32 v0, vcc, s8, v0
	v_addc_co_u32_e32 v1, vcc, v4, v1, vcc
	v_lshlrev_b32_e32 v4, 2, v2
	v_add_co_u32_e32 v0, vcc, v0, v4
	v_addc_co_u32_e32 v1, vcc, 0, v1, vcc
	global_load_dword v4, v[0:1], off
	s_load_dword s6, s[4:5], 0x18
	v_cmp_lt_u64_e64 s[4:5], s[28:29], 2
	s_and_b64 vcc, exec, s[4:5]
	s_waitcnt vmcnt(0) lgkmcnt(0)
	v_mul_f32_e32 v9, s6, v4
	s_cbranch_vccnz .LBB51_26
; %bb.19:
	s_add_u32 s4, s2, s34
	v_mad_u64_u32 v[4:5], s[4:5], s4, v2, 0
	s_addc_u32 s6, s3, s35
	v_mov_b32_e32 v6, v5
	v_mad_u64_u32 v[6:7], s[4:5], s6, v2, v[6:7]
	v_mov_b32_e32 v5, v6
	v_lshlrev_b64 v[4:5], 2, v[4:5]
	v_mov_b32_e32 v6, s11
	v_add_co_u32_e32 v4, vcc, s10, v4
	v_addc_co_u32_e32 v5, vcc, v6, v5, vcc
	v_mad_u64_u32 v[6:7], s[4:5], s34, v2, 0
	v_mov_b32_e32 v10, v7
	v_mad_u64_u32 v[10:11], s[4:5], s35, v2, v[10:11]
	s_add_u32 s4, s28, -1
	s_addc_u32 s5, s29, -1
	s_mul_i32 s6, s2, s5
	s_mul_hi_u32 s7, s2, s4
	s_add_i32 s7, s7, s6
	s_mul_i32 s6, s2, s4
	v_mov_b32_e32 v7, v10
	s_lshl_b64 s[6:7], s[6:7], 2
	v_lshlrev_b64 v[6:7], 2, v[6:7]
	s_add_u32 s6, s10, s6
	s_addc_u32 s7, s11, s7
	v_add_co_u32_e32 v6, vcc, s6, v6
	s_lshl_b32 s6, s2, 2
	s_sub_u32 s8, 0, s6
	v_mov_b32_e32 v10, s7
	s_subb_u32 s6, 0, 0
	v_lshl_add_u32 v8, v8, 2, 0
	v_addc_co_u32_e32 v7, vcc, v10, v7, vcc
	v_mov_b32_e32 v10, s6
.LBB51_20:                              ; =>This Inner Loop Header: Depth=1
	v_cmp_eq_u64_e32 vcc, s[4:5], v[2:3]
	s_barrier
	s_and_saveexec_b64 s[6:7], vcc
	s_cbranch_execz .LBB51_22
; %bb.21:                               ;   in Loop: Header=BB51_20 Depth=1
	flat_load_dword v11, v[4:5]
	s_waitcnt vmcnt(0) lgkmcnt(0)
	v_div_scale_f32 v12, s[12:13], v11, v11, 1.0
	v_rcp_f32_e32 v13, v12
	v_div_scale_f32 v14, vcc, 1.0, v11, 1.0
	v_fma_f32 v15, -v12, v13, 1.0
	v_fmac_f32_e32 v13, v15, v13
	v_mul_f32_e32 v15, v14, v13
	v_fma_f32 v16, -v12, v15, v14
	v_fmac_f32_e32 v15, v16, v13
	v_fma_f32 v12, -v12, v15, v14
	v_div_fmas_f32 v12, v12, v13, v15
	v_div_fixup_f32 v12, v12, v11, 1.0
	v_cndmask_b32_e64 v11, v12, v11, s[0:1]
	v_mul_f32_e32 v9, v9, v11
	ds_write_b32 v8, v9
.LBB51_22:                              ;   in Loop: Header=BB51_20 Depth=1
	s_or_b64 exec, exec, s[6:7]
	v_cmp_gt_i64_e32 vcc, s[4:5], v[2:3]
	s_waitcnt lgkmcnt(0)
	s_barrier
	s_and_saveexec_b64 s[6:7], vcc
	s_cbranch_execz .LBB51_24
; %bb.23:                               ;   in Loop: Header=BB51_20 Depth=1
	flat_load_dword v11, v[6:7]
	ds_read_b32 v12, v8
	s_waitcnt vmcnt(0) lgkmcnt(0)
	v_fma_f32 v9, -v11, v12, v9
.LBB51_24:                              ;   in Loop: Header=BB51_20 Depth=1
	s_or_b64 exec, exec, s[6:7]
	s_add_u32 s6, s4, -1
	s_addc_u32 s7, s5, -1
	s_add_u32 s4, s4, 1
	s_addc_u32 s5, s5, 0
	v_add_co_u32_e32 v6, vcc, s8, v6
	v_addc_co_u32_e32 v7, vcc, v7, v10, vcc
	v_cmp_lt_u64_e64 s[4:5], s[4:5], 3
	s_and_b64 vcc, exec, s[4:5]
	s_cbranch_vccnz .LBB51_26
; %bb.25:                               ;   in Loop: Header=BB51_20 Depth=1
	s_mov_b64 s[4:5], s[6:7]
	s_branch .LBB51_20
.LBB51_26:
	v_cmp_eq_u32_e32 vcc, 0, v2
	s_and_saveexec_b64 s[4:5], vcc
	s_cbranch_execz .LBB51_28
; %bb.27:
	s_add_u32 s2, s2, s34
	s_addc_u32 s6, s3, s35
	v_mad_u64_u32 v[4:5], s[2:3], s2, v2, 0
	v_mov_b32_e32 v6, v5
	v_mad_u64_u32 v[2:3], s[2:3], s6, v2, v[6:7]
	v_mov_b32_e32 v5, v2
	v_lshlrev_b64 v[2:3], 2, v[4:5]
	v_mov_b32_e32 v4, s11
	v_add_co_u32_e32 v2, vcc, s10, v2
	v_addc_co_u32_e32 v3, vcc, v4, v3, vcc
	flat_load_dword v2, v[2:3]
	s_waitcnt vmcnt(0) lgkmcnt(0)
	v_div_scale_f32 v3, s[2:3], v2, v2, 1.0
	v_rcp_f32_e32 v4, v3
	v_div_scale_f32 v5, vcc, 1.0, v2, 1.0
	v_fma_f32 v6, -v3, v4, 1.0
	v_fmac_f32_e32 v4, v6, v4
	v_mul_f32_e32 v6, v5, v4
	v_fma_f32 v7, -v3, v6, v5
	v_fmac_f32_e32 v6, v7, v4
	v_fma_f32 v3, -v3, v6, v5
	v_div_fmas_f32 v3, v3, v4, v6
	v_div_fixup_f32 v3, v3, v2, 1.0
	v_cndmask_b32_e64 v2, v3, v2, s[0:1]
	v_mul_f32_e32 v9, v9, v2
.LBB51_28:
	s_or_b64 exec, exec, s[4:5]
	global_store_dword v[0:1], v9, off
.LBB51_29:
	s_endpgm
	.section	.rodata,"a",@progbits
	.p2align	6, 0x0
	.amdhsa_kernel _ZL40rocblas_trsm_block_backward_substitutionIffPKfPfLb0ELb1ELb0EEv18rocblas_operation_llT0_T1_lllT2_lllib
		.amdhsa_group_segment_fixed_size 0
		.amdhsa_private_segment_fixed_size 0
		.amdhsa_kernarg_size 360
		.amdhsa_user_sgpr_count 6
		.amdhsa_user_sgpr_private_segment_buffer 1
		.amdhsa_user_sgpr_dispatch_ptr 0
		.amdhsa_user_sgpr_queue_ptr 0
		.amdhsa_user_sgpr_kernarg_segment_ptr 1
		.amdhsa_user_sgpr_dispatch_id 0
		.amdhsa_user_sgpr_flat_scratch_init 0
		.amdhsa_user_sgpr_kernarg_preload_length 0
		.amdhsa_user_sgpr_kernarg_preload_offset 0
		.amdhsa_user_sgpr_private_segment_size 0
		.amdhsa_uses_dynamic_stack 0
		.amdhsa_system_sgpr_private_segment_wavefront_offset 0
		.amdhsa_system_sgpr_workgroup_id_x 1
		.amdhsa_system_sgpr_workgroup_id_y 1
		.amdhsa_system_sgpr_workgroup_id_z 1
		.amdhsa_system_sgpr_workgroup_info 0
		.amdhsa_system_vgpr_workitem_id 1
		.amdhsa_next_free_vgpr 17
		.amdhsa_next_free_sgpr 46
		.amdhsa_accum_offset 20
		.amdhsa_reserve_vcc 1
		.amdhsa_reserve_flat_scratch 0
		.amdhsa_float_round_mode_32 0
		.amdhsa_float_round_mode_16_64 0
		.amdhsa_float_denorm_mode_32 3
		.amdhsa_float_denorm_mode_16_64 3
		.amdhsa_dx10_clamp 1
		.amdhsa_ieee_mode 1
		.amdhsa_fp16_overflow 0
		.amdhsa_tg_split 0
		.amdhsa_exception_fp_ieee_invalid_op 0
		.amdhsa_exception_fp_denorm_src 0
		.amdhsa_exception_fp_ieee_div_zero 0
		.amdhsa_exception_fp_ieee_overflow 0
		.amdhsa_exception_fp_ieee_underflow 0
		.amdhsa_exception_fp_ieee_inexact 0
		.amdhsa_exception_int_div_zero 0
	.end_amdhsa_kernel
	.section	.text._ZL40rocblas_trsm_block_backward_substitutionIffPKfPfLb0ELb1ELb0EEv18rocblas_operation_llT0_T1_lllT2_lllib,"axG",@progbits,_ZL40rocblas_trsm_block_backward_substitutionIffPKfPfLb0ELb1ELb0EEv18rocblas_operation_llT0_T1_lllT2_lllib,comdat
.Lfunc_end51:
	.size	_ZL40rocblas_trsm_block_backward_substitutionIffPKfPfLb0ELb1ELb0EEv18rocblas_operation_llT0_T1_lllT2_lllib, .Lfunc_end51-_ZL40rocblas_trsm_block_backward_substitutionIffPKfPfLb0ELb1ELb0EEv18rocblas_operation_llT0_T1_lllT2_lllib
                                        ; -- End function
	.section	.AMDGPU.csdata,"",@progbits
; Kernel info:
; codeLenInByte = 1404
; NumSgprs: 50
; NumVgprs: 17
; NumAgprs: 0
; TotalNumVgprs: 17
; ScratchSize: 0
; MemoryBound: 0
; FloatMode: 240
; IeeeMode: 1
; LDSByteSize: 0 bytes/workgroup (compile time only)
; SGPRBlocks: 6
; VGPRBlocks: 2
; NumSGPRsForWavesPerEU: 50
; NumVGPRsForWavesPerEU: 17
; AccumOffset: 20
; Occupancy: 8
; WaveLimiterHint : 1
; COMPUTE_PGM_RSRC2:SCRATCH_EN: 0
; COMPUTE_PGM_RSRC2:USER_SGPR: 6
; COMPUTE_PGM_RSRC2:TRAP_HANDLER: 0
; COMPUTE_PGM_RSRC2:TGID_X_EN: 1
; COMPUTE_PGM_RSRC2:TGID_Y_EN: 1
; COMPUTE_PGM_RSRC2:TGID_Z_EN: 1
; COMPUTE_PGM_RSRC2:TIDIG_COMP_CNT: 1
; COMPUTE_PGM_RSRC3_GFX90A:ACCUM_OFFSET: 4
; COMPUTE_PGM_RSRC3_GFX90A:TG_SPLIT: 0
	.section	.text._ZL39rocblas_trsm_block_forward_substitutionIffPKfPfLb0ELb1ELb1EEv18rocblas_operation_llT0_T1_lllT2_lllib,"axG",@progbits,_ZL39rocblas_trsm_block_forward_substitutionIffPKfPfLb0ELb1ELb1EEv18rocblas_operation_llT0_T1_lllT2_lllib,comdat
	.globl	_ZL39rocblas_trsm_block_forward_substitutionIffPKfPfLb0ELb1ELb1EEv18rocblas_operation_llT0_T1_lllT2_lllib ; -- Begin function _ZL39rocblas_trsm_block_forward_substitutionIffPKfPfLb0ELb1ELb1EEv18rocblas_operation_llT0_T1_lllT2_lllib
	.p2align	8
	.type	_ZL39rocblas_trsm_block_forward_substitutionIffPKfPfLb0ELb1ELb1EEv18rocblas_operation_llT0_T1_lllT2_lllib,@function
_ZL39rocblas_trsm_block_forward_substitutionIffPKfPfLb0ELb1ELb1EEv18rocblas_operation_llT0_T1_lllT2_lllib: ; @_ZL39rocblas_trsm_block_forward_substitutionIffPKfPfLb0ELb1ELb1EEv18rocblas_operation_llT0_T1_lllT2_lllib
; %bb.0:
	s_load_dwordx16 s[12:27], s[4:5], 0x20
	s_load_dwordx4 s[28:31], s[4:5], 0x8
	v_and_b32_e32 v2, 0x3ff, v0
	v_bfe_u32 v4, v0, 10, 10
	s_waitcnt lgkmcnt(0)
	s_mul_i32 s0, s8, s19
	s_mul_hi_u32 s1, s8, s18
	s_add_i32 s1, s1, s0
	s_mul_i32 s0, s8, s18
	s_lshl_b64 s[0:1], s[0:1], 2
	s_add_u32 s2, s12, s0
	s_addc_u32 s3, s13, s1
	s_lshl_b64 s[0:1], s[14:15], 2
	s_add_u32 s2, s2, s0
	s_load_dword s0, s[4:5], 0x64
	s_load_dword s6, s[4:5], 0x74
	s_addc_u32 s3, s3, s1
	s_add_u32 s10, s4, 0x68
	s_addc_u32 s11, s5, 0
	s_waitcnt lgkmcnt(0)
	s_lshr_b32 s6, s6, 16
	s_bitcmp0_b32 s0, 0
	s_cbranch_scc1 .LBB52_7
; %bb.1:
	s_lshl_b32 s0, s6, 2
	s_add_i32 s12, s0, 0
	v_cmp_lt_i64_e64 s[0:1], s[28:29], 1
	s_and_b64 vcc, exec, s[0:1]
	s_cbranch_vccnz .LBB52_6
; %bb.2:
	v_lshlrev_b32_e32 v0, 2, v2
	v_mov_b32_e32 v3, 0
	v_cmp_gt_u64_e64 s[0:1], s[28:29], v[2:3]
	v_mov_b32_e32 v1, s3
	v_add_co_u32_e32 v3, vcc, s2, v0
	v_add_u32_e32 v5, s12, v0
	s_mov_b32 s14, 0
	v_addc_co_u32_e32 v6, vcc, 0, v1, vcc
	v_pk_mov_b32 v[0:1], s[28:29], s[28:29] op_sel:[0,1]
	s_branch .LBB52_4
.LBB52_3:                               ;   in Loop: Header=BB52_4 Depth=1
	s_or_b64 exec, exec, s[2:3]
	s_add_i32 s14, s14, s6
	s_ashr_i32 s15, s14, 31
	v_cmp_ge_i64_e32 vcc, s[14:15], v[0:1]
	s_cbranch_vccnz .LBB52_6
.LBB52_4:                               ; =>This Inner Loop Header: Depth=1
	v_add_u32_e32 v7, s14, v4
	v_cmp_gt_i32_e32 vcc, v2, v7
	s_and_b64 s[18:19], s[0:1], vcc
	s_and_saveexec_b64 s[2:3], s[18:19]
	s_cbranch_execz .LBB52_3
; %bb.5:                                ;   in Loop: Header=BB52_4 Depth=1
	v_ashrrev_i32_e32 v8, 31, v7
	v_mul_lo_u32 v10, v7, s17
	v_mul_lo_u32 v11, v8, s16
	v_mad_u64_u32 v[8:9], s[18:19], v7, s16, 0
	v_add3_u32 v9, v9, v10, v11
	v_lshlrev_b64 v[8:9], 2, v[8:9]
	v_add_co_u32_e32 v8, vcc, v3, v8
	v_addc_co_u32_e32 v9, vcc, v6, v9, vcc
	global_load_dword v8, v[8:9], off
	s_load_dword s9, s[10:11], 0xc
	s_waitcnt lgkmcnt(0)
	s_and_b32 s9, s9, 0xffff
	v_mul_lo_u32 v7, v7, s9
	v_lshl_add_u32 v7, v7, 2, v5
	s_waitcnt vmcnt(0)
	ds_write_b32 v7, v8
	s_branch .LBB52_3
.LBB52_6:
	s_load_dword s2, s[10:11], 0xc
	s_mov_b64 s[0:1], src_shared_base
	s_mov_b32 s13, s1
	s_mov_b32 s17, 0
	s_waitcnt lgkmcnt(0)
	s_and_b32 s16, s2, 0xffff
	s_mov_b64 s[2:3], s[12:13]
.LBB52_7:
	s_mul_i32 s7, s7, s6
	v_add_u32_e32 v0, s7, v4
	v_mov_b32_e32 v1, 0
	v_cmp_gt_i64_e32 vcc, s[30:31], v[0:1]
	s_and_saveexec_b64 s[0:1], vcc
	s_cbranch_execz .LBB52_17
; %bb.8:
	v_mov_b32_e32 v3, v1
	v_cmp_gt_i64_e32 vcc, s[28:29], v[2:3]
	s_and_b64 exec, exec, vcc
	s_cbranch_execz .LBB52_17
; %bb.9:
	s_mul_i32 s0, s8, s27
	s_mul_hi_u32 s1, s8, s26
	s_add_i32 s1, s1, s0
	s_mul_i32 s0, s8, s26
	s_lshl_b64 s[0:1], s[0:1], 2
	s_add_u32 s6, s20, s0
	s_addc_u32 s7, s21, s1
	s_lshl_b64 s[0:1], s[22:23], 2
	s_add_u32 s6, s6, s0
	s_addc_u32 s7, s7, s1
	v_mad_u64_u32 v[6:7], s[0:1], v2, s24, 0
	v_mov_b32_e32 v8, v7
	v_mad_u64_u32 v[8:9], s[0:1], v2, s25, v[8:9]
	v_mov_b32_e32 v7, v8
	v_lshlrev_b64 v[6:7], 2, v[6:7]
	v_mov_b32_e32 v5, s7
	v_add_co_u32_e32 v6, vcc, s6, v6
	v_addc_co_u32_e32 v5, vcc, v5, v7, vcc
	v_lshlrev_b64 v[0:1], 2, v[0:1]
	v_add_co_u32_e32 v0, vcc, v6, v0
	v_addc_co_u32_e32 v1, vcc, v5, v1, vcc
	global_load_dword v5, v[0:1], off
	s_load_dword s4, s[4:5], 0x18
	v_cmp_lt_u64_e64 s[0:1], s[28:29], 2
	s_and_b64 vcc, exec, s[0:1]
	s_waitcnt vmcnt(0) lgkmcnt(0)
	v_mul_f32_e32 v6, s4, v5
	s_cbranch_vccnz .LBB52_16
; %bb.10:
	v_lshl_add_u32 v7, v4, 2, 0
	s_add_u32 s0, s28, -1
	v_lshlrev_b32_e32 v4, 2, v2
	s_addc_u32 s1, s29, -1
	v_mov_b32_e32 v5, s3
	v_add_co_u32_e32 v4, vcc, s2, v4
	s_lshl_b64 s[2:3], s[16:17], 2
	v_addc_co_u32_e32 v5, vcc, 0, v5, vcc
	s_mov_b64 s[4:5], 0
	v_mov_b32_e32 v8, s3
	s_branch .LBB52_12
.LBB52_11:                              ;   in Loop: Header=BB52_12 Depth=1
	s_or_b64 exec, exec, s[6:7]
	s_add_u32 s4, s4, 1
	s_addc_u32 s5, s5, 0
	v_add_co_u32_e32 v4, vcc, s2, v4
	s_cmp_eq_u64 s[0:1], s[4:5]
	v_addc_co_u32_e32 v5, vcc, v5, v8, vcc
	s_cbranch_scc1 .LBB52_16
.LBB52_12:                              ; =>This Inner Loop Header: Depth=1
	v_cmp_eq_u64_e32 vcc, s[4:5], v[2:3]
	s_barrier
	s_and_saveexec_b64 s[6:7], vcc
	s_cbranch_execz .LBB52_14
; %bb.13:                               ;   in Loop: Header=BB52_12 Depth=1
	ds_write_b32 v7, v6
.LBB52_14:                              ;   in Loop: Header=BB52_12 Depth=1
	s_or_b64 exec, exec, s[6:7]
	v_cmp_lt_u64_e32 vcc, s[4:5], v[2:3]
	s_waitcnt lgkmcnt(0)
	s_barrier
	s_and_saveexec_b64 s[6:7], vcc
	s_cbranch_execz .LBB52_11
; %bb.15:                               ;   in Loop: Header=BB52_12 Depth=1
	flat_load_dword v9, v[4:5]
	ds_read_b32 v10, v7
	s_waitcnt vmcnt(0) lgkmcnt(0)
	v_fma_f32 v6, -v9, v10, v6
	s_branch .LBB52_11
.LBB52_16:
	global_store_dword v[0:1], v6, off
.LBB52_17:
	s_endpgm
	.section	.rodata,"a",@progbits
	.p2align	6, 0x0
	.amdhsa_kernel _ZL39rocblas_trsm_block_forward_substitutionIffPKfPfLb0ELb1ELb1EEv18rocblas_operation_llT0_T1_lllT2_lllib
		.amdhsa_group_segment_fixed_size 0
		.amdhsa_private_segment_fixed_size 0
		.amdhsa_kernarg_size 360
		.amdhsa_user_sgpr_count 6
		.amdhsa_user_sgpr_private_segment_buffer 1
		.amdhsa_user_sgpr_dispatch_ptr 0
		.amdhsa_user_sgpr_queue_ptr 0
		.amdhsa_user_sgpr_kernarg_segment_ptr 1
		.amdhsa_user_sgpr_dispatch_id 0
		.amdhsa_user_sgpr_flat_scratch_init 0
		.amdhsa_user_sgpr_kernarg_preload_length 0
		.amdhsa_user_sgpr_kernarg_preload_offset 0
		.amdhsa_user_sgpr_private_segment_size 0
		.amdhsa_uses_dynamic_stack 0
		.amdhsa_system_sgpr_private_segment_wavefront_offset 0
		.amdhsa_system_sgpr_workgroup_id_x 1
		.amdhsa_system_sgpr_workgroup_id_y 1
		.amdhsa_system_sgpr_workgroup_id_z 1
		.amdhsa_system_sgpr_workgroup_info 0
		.amdhsa_system_vgpr_workitem_id 1
		.amdhsa_next_free_vgpr 12
		.amdhsa_next_free_sgpr 32
		.amdhsa_accum_offset 12
		.amdhsa_reserve_vcc 1
		.amdhsa_reserve_flat_scratch 0
		.amdhsa_float_round_mode_32 0
		.amdhsa_float_round_mode_16_64 0
		.amdhsa_float_denorm_mode_32 3
		.amdhsa_float_denorm_mode_16_64 3
		.amdhsa_dx10_clamp 1
		.amdhsa_ieee_mode 1
		.amdhsa_fp16_overflow 0
		.amdhsa_tg_split 0
		.amdhsa_exception_fp_ieee_invalid_op 0
		.amdhsa_exception_fp_denorm_src 0
		.amdhsa_exception_fp_ieee_div_zero 0
		.amdhsa_exception_fp_ieee_overflow 0
		.amdhsa_exception_fp_ieee_underflow 0
		.amdhsa_exception_fp_ieee_inexact 0
		.amdhsa_exception_int_div_zero 0
	.end_amdhsa_kernel
	.section	.text._ZL39rocblas_trsm_block_forward_substitutionIffPKfPfLb0ELb1ELb1EEv18rocblas_operation_llT0_T1_lllT2_lllib,"axG",@progbits,_ZL39rocblas_trsm_block_forward_substitutionIffPKfPfLb0ELb1ELb1EEv18rocblas_operation_llT0_T1_lllT2_lllib,comdat
.Lfunc_end52:
	.size	_ZL39rocblas_trsm_block_forward_substitutionIffPKfPfLb0ELb1ELb1EEv18rocblas_operation_llT0_T1_lllT2_lllib, .Lfunc_end52-_ZL39rocblas_trsm_block_forward_substitutionIffPKfPfLb0ELb1ELb1EEv18rocblas_operation_llT0_T1_lllT2_lllib
                                        ; -- End function
	.section	.AMDGPU.csdata,"",@progbits
; Kernel info:
; codeLenInByte = 728
; NumSgprs: 36
; NumVgprs: 12
; NumAgprs: 0
; TotalNumVgprs: 12
; ScratchSize: 0
; MemoryBound: 0
; FloatMode: 240
; IeeeMode: 1
; LDSByteSize: 0 bytes/workgroup (compile time only)
; SGPRBlocks: 4
; VGPRBlocks: 1
; NumSGPRsForWavesPerEU: 36
; NumVGPRsForWavesPerEU: 12
; AccumOffset: 12
; Occupancy: 8
; WaveLimiterHint : 1
; COMPUTE_PGM_RSRC2:SCRATCH_EN: 0
; COMPUTE_PGM_RSRC2:USER_SGPR: 6
; COMPUTE_PGM_RSRC2:TRAP_HANDLER: 0
; COMPUTE_PGM_RSRC2:TGID_X_EN: 1
; COMPUTE_PGM_RSRC2:TGID_Y_EN: 1
; COMPUTE_PGM_RSRC2:TGID_Z_EN: 1
; COMPUTE_PGM_RSRC2:TIDIG_COMP_CNT: 1
; COMPUTE_PGM_RSRC3_GFX90A:ACCUM_OFFSET: 2
; COMPUTE_PGM_RSRC3_GFX90A:TG_SPLIT: 0
	.section	.text._ZL40rocblas_trsm_block_backward_substitutionIffPKfPfLb0ELb1ELb1EEv18rocblas_operation_llT0_T1_lllT2_lllib,"axG",@progbits,_ZL40rocblas_trsm_block_backward_substitutionIffPKfPfLb0ELb1ELb1EEv18rocblas_operation_llT0_T1_lllT2_lllib,comdat
	.globl	_ZL40rocblas_trsm_block_backward_substitutionIffPKfPfLb0ELb1ELb1EEv18rocblas_operation_llT0_T1_lllT2_lllib ; -- Begin function _ZL40rocblas_trsm_block_backward_substitutionIffPKfPfLb0ELb1ELb1EEv18rocblas_operation_llT0_T1_lllT2_lllib
	.p2align	8
	.type	_ZL40rocblas_trsm_block_backward_substitutionIffPKfPfLb0ELb1ELb1EEv18rocblas_operation_llT0_T1_lllT2_lllib,@function
_ZL40rocblas_trsm_block_backward_substitutionIffPKfPfLb0ELb1ELb1EEv18rocblas_operation_llT0_T1_lllT2_lllib: ; @_ZL40rocblas_trsm_block_backward_substitutionIffPKfPfLb0ELb1ELb1EEv18rocblas_operation_llT0_T1_lllT2_lllib
; %bb.0:
	s_load_dwordx16 s[12:27], s[4:5], 0x20
	s_load_dwordx4 s[28:31], s[4:5], 0x8
	v_and_b32_e32 v2, 0x3ff, v0
	v_bfe_u32 v6, v0, 10, 10
	s_waitcnt lgkmcnt(0)
	s_mul_i32 s0, s8, s19
	s_mul_hi_u32 s1, s8, s18
	s_add_i32 s1, s1, s0
	s_mul_i32 s0, s8, s18
	s_lshl_b64 s[0:1], s[0:1], 2
	s_add_u32 s2, s12, s0
	s_addc_u32 s3, s13, s1
	s_lshl_b64 s[0:1], s[14:15], 2
	s_add_u32 s2, s2, s0
	s_addc_u32 s3, s3, s1
	s_load_dword s0, s[4:5], 0x64
	s_load_dword s1, s[4:5], 0x74
	s_add_u32 s12, s4, 0x68
	s_addc_u32 s13, s5, 0
	s_waitcnt lgkmcnt(0)
	s_lshr_b32 s6, s1, 16
	s_bitcmp0_b32 s0, 0
	s_mov_b64 s[0:1], 1
	s_cbranch_scc1 .LBB53_6
; %bb.1:
	s_lshl_b32 s0, s6, 2
	s_add_i32 s14, s0, 0
	v_cmp_lt_i64_e64 s[0:1], s[28:29], 1
	s_mov_b64 s[10:11], 1
	s_and_b64 vcc, exec, s[0:1]
	s_cbranch_vccnz .LBB53_7
; %bb.2:
	v_mad_u64_u32 v[0:1], s[18:19], v2, s16, 0
	v_mov_b32_e32 v4, v1
	v_mad_u64_u32 v[4:5], s[16:17], v2, s17, v[4:5]
	v_mov_b32_e32 v1, v4
	v_mov_b32_e32 v3, 0
	v_lshlrev_b64 v[0:1], 2, v[0:1]
	v_cmp_gt_u64_e64 s[0:1], s[28:29], v[2:3]
	v_mov_b32_e32 v4, s3
	v_add_co_u32_e32 v3, vcc, s2, v0
	v_lshl_add_u32 v7, v2, 2, s14
	v_addc_co_u32_e32 v8, vcc, v4, v1, vcc
	s_mov_b32 s16, 0
	v_pk_mov_b32 v[0:1], s[28:29], s[28:29] op_sel:[0,1]
	s_branch .LBB53_4
.LBB53_3:                               ;   in Loop: Header=BB53_4 Depth=1
	s_or_b64 exec, exec, s[2:3]
	s_add_i32 s16, s16, s6
	s_ashr_i32 s17, s16, 31
	v_cmp_ge_i64_e32 vcc, s[16:17], v[0:1]
	s_cbranch_vccnz .LBB53_7
.LBB53_4:                               ; =>This Inner Loop Header: Depth=1
	v_add_u32_e32 v4, s16, v6
	v_ashrrev_i32_e32 v5, 31, v4
	v_cmp_gt_i64_e32 vcc, s[28:29], v[4:5]
	v_cmp_lt_i32_e64 s[2:3], v2, v4
	s_and_b64 s[2:3], s[2:3], vcc
	s_and_b64 s[18:19], s[0:1], s[2:3]
	s_and_saveexec_b64 s[2:3], s[18:19]
	s_cbranch_execz .LBB53_3
; %bb.5:                                ;   in Loop: Header=BB53_4 Depth=1
	v_lshlrev_b64 v[10:11], 2, v[4:5]
	v_add_co_u32_e32 v10, vcc, v3, v10
	v_addc_co_u32_e32 v11, vcc, v8, v11, vcc
	global_load_dword v5, v[10:11], off
	s_load_dword s9, s[12:13], 0xc
	s_waitcnt lgkmcnt(0)
	s_and_b32 s9, s9, 0xffff
	v_mul_lo_u32 v4, v4, s9
	v_lshl_add_u32 v4, v4, 2, v7
	s_waitcnt vmcnt(0)
	ds_write_b32 v4, v5
	s_branch .LBB53_3
.LBB53_6:
	s_mov_b32 s10, s16
	s_mov_b32 s11, s17
	s_branch .LBB53_8
.LBB53_7:
	s_load_dword s2, s[12:13], 0xc
	s_mov_b64 s[0:1], src_shared_base
	s_mov_b32 s15, s1
	s_waitcnt lgkmcnt(0)
	s_and_b32 s0, s2, 0xffff
	s_mov_b64 s[2:3], s[14:15]
.LBB53_8:
	s_mul_i32 s7, s7, s6
	v_add_u32_e32 v0, s7, v6
	v_mov_b32_e32 v1, 0
	v_cmp_gt_i64_e32 vcc, s[30:31], v[0:1]
	s_and_saveexec_b64 s[6:7], vcc
	s_cbranch_execz .LBB53_19
; %bb.9:
	v_mov_b32_e32 v3, v1
	v_cmp_gt_i64_e32 vcc, s[28:29], v[2:3]
	s_and_b64 exec, exec, vcc
	s_cbranch_execz .LBB53_19
; %bb.10:
	s_mul_i32 s1, s8, s27
	s_mul_hi_u32 s6, s8, s26
	s_add_i32 s7, s6, s1
	s_mul_i32 s6, s8, s26
	s_lshl_b64 s[6:7], s[6:7], 2
	s_add_u32 s1, s20, s6
	s_addc_u32 s8, s21, s7
	s_lshl_b64 s[6:7], s[22:23], 2
	s_add_u32 s1, s1, s6
	s_addc_u32 s8, s8, s7
	v_mad_u64_u32 v[4:5], s[6:7], v0, s24, 0
	v_mov_b32_e32 v8, v5
	v_mad_u64_u32 v[0:1], s[6:7], v0, s25, v[8:9]
	v_mov_b32_e32 v5, v0
	v_lshlrev_b64 v[0:1], 2, v[4:5]
	v_mov_b32_e32 v4, s8
	v_add_co_u32_e32 v0, vcc, s1, v0
	v_addc_co_u32_e32 v1, vcc, v4, v1, vcc
	v_lshlrev_b32_e32 v4, 2, v2
	v_add_co_u32_e32 v0, vcc, v0, v4
	v_addc_co_u32_e32 v1, vcc, 0, v1, vcc
	global_load_dword v4, v[0:1], off
	s_load_dword s1, s[4:5], 0x18
	v_cmp_lt_u64_e64 s[4:5], s[28:29], 2
	s_and_b64 vcc, exec, s[4:5]
	s_waitcnt vmcnt(0) lgkmcnt(0)
	v_mul_f32_e32 v7, s1, v4
	s_cbranch_vccnz .LBB53_18
; %bb.11:
	v_mad_u64_u32 v[4:5], s[4:5], s10, v2, 0
	v_mov_b32_e32 v8, v5
	v_mad_u64_u32 v[8:9], s[4:5], s11, v2, v[8:9]
	s_add_u32 s4, s28, -1
	s_addc_u32 s5, s29, -1
	s_mul_i32 s1, s0, s5
	s_mul_hi_u32 s6, s0, s4
	s_add_i32 s7, s6, s1
	s_mul_i32 s6, s0, s4
	s_lshl_b64 s[6:7], s[6:7], 2
	s_add_u32 s1, s2, s6
	v_mov_b32_e32 v5, v8
	s_addc_u32 s2, s3, s7
	s_lshl_b32 s0, s0, 2
	v_lshlrev_b64 v[4:5], 2, v[4:5]
	v_mov_b32_e32 v8, s2
	s_sub_u32 s2, 0, s0
	v_add_co_u32_e32 v4, vcc, s1, v4
	s_subb_u32 s0, 0, 0
	v_lshl_add_u32 v6, v6, 2, 0
	v_addc_co_u32_e32 v5, vcc, v8, v5, vcc
	v_mov_b32_e32 v8, s0
.LBB53_12:                              ; =>This Inner Loop Header: Depth=1
	v_cmp_eq_u64_e32 vcc, s[4:5], v[2:3]
	s_barrier
	s_and_saveexec_b64 s[0:1], vcc
	s_cbranch_execz .LBB53_14
; %bb.13:                               ;   in Loop: Header=BB53_12 Depth=1
	ds_write_b32 v6, v7
.LBB53_14:                              ;   in Loop: Header=BB53_12 Depth=1
	s_or_b64 exec, exec, s[0:1]
	v_cmp_gt_i64_e32 vcc, s[4:5], v[2:3]
	s_waitcnt lgkmcnt(0)
	s_barrier
	s_and_saveexec_b64 s[0:1], vcc
	s_cbranch_execz .LBB53_16
; %bb.15:                               ;   in Loop: Header=BB53_12 Depth=1
	flat_load_dword v9, v[4:5]
	ds_read_b32 v10, v6
	s_waitcnt vmcnt(0) lgkmcnt(0)
	v_fma_f32 v7, -v9, v10, v7
.LBB53_16:                              ;   in Loop: Header=BB53_12 Depth=1
	s_or_b64 exec, exec, s[0:1]
	s_add_u32 s0, s4, -1
	s_addc_u32 s1, s5, -1
	s_add_u32 s4, s4, 1
	s_addc_u32 s5, s5, 0
	v_add_co_u32_e32 v4, vcc, s2, v4
	v_addc_co_u32_e32 v5, vcc, v5, v8, vcc
	v_cmp_lt_u64_e64 s[4:5], s[4:5], 3
	s_and_b64 vcc, exec, s[4:5]
	s_cbranch_vccnz .LBB53_18
; %bb.17:                               ;   in Loop: Header=BB53_12 Depth=1
	s_mov_b64 s[4:5], s[0:1]
	s_branch .LBB53_12
.LBB53_18:
	global_store_dword v[0:1], v7, off
.LBB53_19:
	s_endpgm
	.section	.rodata,"a",@progbits
	.p2align	6, 0x0
	.amdhsa_kernel _ZL40rocblas_trsm_block_backward_substitutionIffPKfPfLb0ELb1ELb1EEv18rocblas_operation_llT0_T1_lllT2_lllib
		.amdhsa_group_segment_fixed_size 0
		.amdhsa_private_segment_fixed_size 0
		.amdhsa_kernarg_size 360
		.amdhsa_user_sgpr_count 6
		.amdhsa_user_sgpr_private_segment_buffer 1
		.amdhsa_user_sgpr_dispatch_ptr 0
		.amdhsa_user_sgpr_queue_ptr 0
		.amdhsa_user_sgpr_kernarg_segment_ptr 1
		.amdhsa_user_sgpr_dispatch_id 0
		.amdhsa_user_sgpr_flat_scratch_init 0
		.amdhsa_user_sgpr_kernarg_preload_length 0
		.amdhsa_user_sgpr_kernarg_preload_offset 0
		.amdhsa_user_sgpr_private_segment_size 0
		.amdhsa_uses_dynamic_stack 0
		.amdhsa_system_sgpr_private_segment_wavefront_offset 0
		.amdhsa_system_sgpr_workgroup_id_x 1
		.amdhsa_system_sgpr_workgroup_id_y 1
		.amdhsa_system_sgpr_workgroup_id_z 1
		.amdhsa_system_sgpr_workgroup_info 0
		.amdhsa_system_vgpr_workitem_id 1
		.amdhsa_next_free_vgpr 12
		.amdhsa_next_free_sgpr 32
		.amdhsa_accum_offset 12
		.amdhsa_reserve_vcc 1
		.amdhsa_reserve_flat_scratch 0
		.amdhsa_float_round_mode_32 0
		.amdhsa_float_round_mode_16_64 0
		.amdhsa_float_denorm_mode_32 3
		.amdhsa_float_denorm_mode_16_64 3
		.amdhsa_dx10_clamp 1
		.amdhsa_ieee_mode 1
		.amdhsa_fp16_overflow 0
		.amdhsa_tg_split 0
		.amdhsa_exception_fp_ieee_invalid_op 0
		.amdhsa_exception_fp_denorm_src 0
		.amdhsa_exception_fp_ieee_div_zero 0
		.amdhsa_exception_fp_ieee_overflow 0
		.amdhsa_exception_fp_ieee_underflow 0
		.amdhsa_exception_fp_ieee_inexact 0
		.amdhsa_exception_int_div_zero 0
	.end_amdhsa_kernel
	.section	.text._ZL40rocblas_trsm_block_backward_substitutionIffPKfPfLb0ELb1ELb1EEv18rocblas_operation_llT0_T1_lllT2_lllib,"axG",@progbits,_ZL40rocblas_trsm_block_backward_substitutionIffPKfPfLb0ELb1ELb1EEv18rocblas_operation_llT0_T1_lllT2_lllib,comdat
.Lfunc_end53:
	.size	_ZL40rocblas_trsm_block_backward_substitutionIffPKfPfLb0ELb1ELb1EEv18rocblas_operation_llT0_T1_lllT2_lllib, .Lfunc_end53-_ZL40rocblas_trsm_block_backward_substitutionIffPKfPfLb0ELb1ELb1EEv18rocblas_operation_llT0_T1_lllT2_lllib
                                        ; -- End function
	.section	.AMDGPU.csdata,"",@progbits
; Kernel info:
; codeLenInByte = 828
; NumSgprs: 36
; NumVgprs: 12
; NumAgprs: 0
; TotalNumVgprs: 12
; ScratchSize: 0
; MemoryBound: 0
; FloatMode: 240
; IeeeMode: 1
; LDSByteSize: 0 bytes/workgroup (compile time only)
; SGPRBlocks: 4
; VGPRBlocks: 1
; NumSGPRsForWavesPerEU: 36
; NumVGPRsForWavesPerEU: 12
; AccumOffset: 12
; Occupancy: 8
; WaveLimiterHint : 1
; COMPUTE_PGM_RSRC2:SCRATCH_EN: 0
; COMPUTE_PGM_RSRC2:USER_SGPR: 6
; COMPUTE_PGM_RSRC2:TRAP_HANDLER: 0
; COMPUTE_PGM_RSRC2:TGID_X_EN: 1
; COMPUTE_PGM_RSRC2:TGID_Y_EN: 1
; COMPUTE_PGM_RSRC2:TGID_Z_EN: 1
; COMPUTE_PGM_RSRC2:TIDIG_COMP_CNT: 1
; COMPUTE_PGM_RSRC3_GFX90A:ACCUM_OFFSET: 2
; COMPUTE_PGM_RSRC3_GFX90A:TG_SPLIT: 0
	.section	.text._ZL39rocblas_trsm_block_forward_substitutionIffPKfPfLb1ELb1ELb0EEv18rocblas_operation_llT0_T1_lllT2_lllib,"axG",@progbits,_ZL39rocblas_trsm_block_forward_substitutionIffPKfPfLb1ELb1ELb0EEv18rocblas_operation_llT0_T1_lllT2_lllib,comdat
	.globl	_ZL39rocblas_trsm_block_forward_substitutionIffPKfPfLb1ELb1ELb0EEv18rocblas_operation_llT0_T1_lllT2_lllib ; -- Begin function _ZL39rocblas_trsm_block_forward_substitutionIffPKfPfLb1ELb1ELb0EEv18rocblas_operation_llT0_T1_lllT2_lllib
	.p2align	8
	.type	_ZL39rocblas_trsm_block_forward_substitutionIffPKfPfLb1ELb1ELb0EEv18rocblas_operation_llT0_T1_lllT2_lllib,@function
_ZL39rocblas_trsm_block_forward_substitutionIffPKfPfLb1ELb1ELb0EEv18rocblas_operation_llT0_T1_lllT2_lllib: ; @_ZL39rocblas_trsm_block_forward_substitutionIffPKfPfLb1ELb1ELb0EEv18rocblas_operation_llT0_T1_lllT2_lllib
; %bb.0:
	s_load_dwordx16 s[12:27], s[4:5], 0x20
	s_load_dword s9, s[4:5], 0x64
	s_load_dwordx4 s[28:31], s[4:5], 0x8
	s_load_dword s6, s[4:5], 0x74
	v_and_b32_e32 v2, 0x3ff, v0
	s_waitcnt lgkmcnt(0)
	s_mul_i32 s2, s8, s19
	s_bitcmp1_b32 s9, 0
	s_mul_hi_u32 s3, s8, s18
	s_cselect_b64 s[0:1], -1, 0
	s_add_i32 s3, s3, s2
	s_mul_i32 s2, s8, s18
	s_lshl_b64 s[2:3], s[2:3], 2
	s_add_u32 s12, s12, s2
	s_addc_u32 s13, s13, s3
	s_lshl_b64 s[2:3], s[14:15], 2
	s_add_u32 s2, s12, s2
	s_addc_u32 s3, s13, s3
	s_add_u32 s14, s4, 0x68
	s_addc_u32 s15, s5, 0
	s_lshr_b32 s6, s6, 16
	v_bfe_u32 v8, v0, 10, 10
	s_bitcmp0_b32 s9, 0
	s_mov_b64 s[12:13], 1
	s_cbranch_scc1 .LBB54_12
; %bb.1:
	s_lshl_b32 s9, s6, 2
	v_cmp_lt_i64_e64 s[12:13], s[28:29], 1
	s_add_i32 s18, s9, 0
	s_mov_b64 s[10:11], 1
	s_and_b64 vcc, exec, s[12:13]
	s_cbranch_vccnz .LBB54_13
; %bb.2:
	v_mad_u64_u32 v[0:1], s[12:13], v2, s16, 0
	v_mov_b32_e32 v4, v1
	v_mad_u64_u32 v[4:5], s[12:13], v2, s17, v[4:5]
	v_mov_b32_e32 v1, v4
	v_mov_b32_e32 v3, 0
	v_lshlrev_b64 v[0:1], 2, v[0:1]
	v_cmp_le_u64_e32 vcc, s[28:29], v[2:3]
	v_mov_b32_e32 v4, s3
	v_add_co_u32_e64 v3, s[2:3], s2, v0
	v_lshlrev_b32_e32 v6, 2, v2
	v_addc_co_u32_e64 v10, s[2:3], v4, v1, s[2:3]
	v_add_co_u32_e64 v0, s[2:3], v3, v6
	v_addc_co_u32_e64 v1, s[2:3], 0, v10, s[2:3]
	v_add_u32_e32 v9, s18, v6
	s_xor_b64 s[2:3], vcc, -1
	v_pk_mov_b32 v[4:5], s[28:29], s[28:29] op_sel:[0,1]
	s_mov_b32 s12, s6
	v_mov_b32_e32 v6, v8
	s_branch .LBB54_4
.LBB54_3:                               ;   in Loop: Header=BB54_4 Depth=1
	s_or_b64 exec, exec, s[34:35]
	s_ashr_i32 s13, s12, 31
	v_cmp_ge_i64_e32 vcc, s[12:13], v[4:5]
	v_add_u32_e32 v6, s6, v6
	s_add_i32 s12, s12, s6
	s_cbranch_vccnz .LBB54_13
.LBB54_4:                               ; =>This Inner Loop Header: Depth=1
	v_cmp_gt_i32_e32 vcc, v2, v6
	s_and_b64 s[34:35], s[2:3], vcc
	s_mov_b64 s[16:17], 0
                                        ; implicit-def: $vgpr7
	s_and_saveexec_b64 s[36:37], s[34:35]
	s_xor_b64 s[34:35], exec, s[36:37]
	s_cbranch_execnz .LBB54_7
; %bb.5:                                ;   in Loop: Header=BB54_4 Depth=1
	s_or_saveexec_b64 s[34:35], s[34:35]
	v_mov_b32_e32 v11, v6
	s_xor_b64 exec, exec, s[34:35]
	s_cbranch_execnz .LBB54_8
.LBB54_6:                               ;   in Loop: Header=BB54_4 Depth=1
	s_or_b64 exec, exec, s[34:35]
	s_and_saveexec_b64 s[34:35], s[16:17]
	s_cbranch_execz .LBB54_3
	s_branch .LBB54_11
.LBB54_7:                               ;   in Loop: Header=BB54_4 Depth=1
	s_waitcnt vmcnt(0)
	v_ashrrev_i32_e32 v7, 31, v6
	v_lshlrev_b64 v[12:13], 2, v[6:7]
	v_add_co_u32_e32 v12, vcc, v3, v12
	v_addc_co_u32_e32 v13, vcc, v10, v13, vcc
	global_load_dword v7, v[12:13], off
	s_mov_b64 s[16:17], exec
	s_or_saveexec_b64 s[34:35], s[34:35]
	v_mov_b32_e32 v11, v6
	s_xor_b64 exec, exec, s[34:35]
	s_cbranch_execz .LBB54_6
.LBB54_8:                               ;   in Loop: Header=BB54_4 Depth=1
	v_cmp_eq_u32_e32 vcc, v2, v6
	s_and_b64 s[40:41], s[2:3], vcc
	s_mov_b64 s[38:39], s[16:17]
                                        ; implicit-def: $vgpr7
	s_and_saveexec_b64 s[36:37], s[40:41]
	s_cbranch_execz .LBB54_10
; %bb.9:                                ;   in Loop: Header=BB54_4 Depth=1
	global_load_dword v7, v[0:1], off
	s_waitcnt vmcnt(0)
	v_div_scale_f32 v11, s[38:39], v7, v7, 1.0
	v_rcp_f32_e32 v12, v11
	v_div_scale_f32 v13, vcc, 1.0, v7, 1.0
	s_or_b64 s[38:39], s[16:17], exec
	v_fma_f32 v14, -v11, v12, 1.0
	v_fmac_f32_e32 v12, v14, v12
	v_mul_f32_e32 v14, v13, v12
	v_fma_f32 v15, -v11, v14, v13
	v_fmac_f32_e32 v14, v15, v12
	v_fma_f32 v11, -v11, v14, v13
	v_div_fmas_f32 v11, v11, v12, v14
	v_div_fixup_f32 v7, v11, v7, 1.0
.LBB54_10:                              ;   in Loop: Header=BB54_4 Depth=1
	s_or_b64 exec, exec, s[36:37]
	s_andn2_b64 s[16:17], s[16:17], exec
	s_and_b64 s[36:37], s[38:39], exec
	s_or_b64 s[16:17], s[16:17], s[36:37]
	v_mov_b32_e32 v11, v2
	s_or_b64 exec, exec, s[34:35]
	s_and_saveexec_b64 s[34:35], s[16:17]
	s_cbranch_execz .LBB54_3
.LBB54_11:                              ;   in Loop: Header=BB54_4 Depth=1
	s_load_dword s9, s[14:15], 0xc
	s_waitcnt lgkmcnt(0)
	s_and_b32 s9, s9, 0xffff
	v_mul_lo_u32 v11, v11, s9
	v_lshl_add_u32 v11, v11, 2, v9
	s_waitcnt vmcnt(0)
	ds_write_b32 v11, v7
	s_branch .LBB54_3
.LBB54_12:
	s_mov_b32 s10, s16
	s_mov_b32 s11, s17
	s_branch .LBB54_14
.LBB54_13:
	s_load_dword s9, s[14:15], 0xc
	s_mov_b64 s[2:3], src_shared_base
	s_mov_b32 s19, s3
	s_mov_b32 s13, 0
	s_mov_b64 s[2:3], s[18:19]
	s_waitcnt lgkmcnt(0)
	s_and_b32 s12, s9, 0xffff
.LBB54_14:
	s_mul_i32 s7, s7, s6
	v_add_u32_e32 v0, s7, v8
	v_mov_b32_e32 v1, 0
	v_cmp_gt_i64_e32 vcc, s[30:31], v[0:1]
	s_and_saveexec_b64 s[6:7], vcc
	s_cbranch_execz .LBB54_26
; %bb.15:
	v_mov_b32_e32 v3, v1
	v_cmp_gt_i64_e32 vcc, s[28:29], v[2:3]
	s_and_b64 exec, exec, vcc
	s_cbranch_execz .LBB54_26
; %bb.16:
	s_mul_i32 s6, s8, s27
	s_mul_hi_u32 s7, s8, s26
	s_add_i32 s7, s7, s6
	s_mul_i32 s6, s8, s26
	s_lshl_b64 s[6:7], s[6:7], 2
	s_add_u32 s8, s20, s6
	s_addc_u32 s9, s21, s7
	s_lshl_b64 s[6:7], s[22:23], 2
	s_add_u32 s8, s8, s6
	s_addc_u32 s9, s9, s7
	v_mad_u64_u32 v[4:5], s[6:7], v2, s24, 0
	v_mov_b32_e32 v6, v5
	s_waitcnt vmcnt(0)
	v_mad_u64_u32 v[6:7], s[6:7], v2, s25, v[6:7]
	v_mov_b32_e32 v5, v6
	v_lshlrev_b64 v[4:5], 2, v[4:5]
	v_mov_b32_e32 v6, s9
	v_add_co_u32_e32 v4, vcc, s8, v4
	v_addc_co_u32_e32 v5, vcc, v6, v5, vcc
	v_lshlrev_b64 v[0:1], 2, v[0:1]
	v_add_co_u32_e32 v0, vcc, v4, v0
	v_addc_co_u32_e32 v1, vcc, v5, v1, vcc
	global_load_dword v4, v[0:1], off
	s_load_dword s8, s[4:5], 0x18
	v_cmp_lt_u64_e64 s[6:7], s[28:29], 2
	s_add_u32 s4, s28, -1
	s_addc_u32 s5, s29, -1
	s_and_b64 vcc, exec, s[6:7]
	s_waitcnt vmcnt(0) lgkmcnt(0)
	v_mul_f32_e32 v9, s8, v4
	s_cbranch_vccnz .LBB54_23
; %bb.17:
	s_add_u32 s6, s12, s10
	v_mad_u64_u32 v[4:5], s[6:7], s6, v2, 0
	s_addc_u32 s8, s13, s11
	v_mov_b32_e32 v6, v5
	v_mad_u64_u32 v[6:7], s[6:7], s8, v2, v[6:7]
	v_mov_b32_e32 v5, v6
	v_mad_u64_u32 v[6:7], s[6:7], s10, v2, 0
	v_mov_b32_e32 v10, v7
	v_lshlrev_b64 v[4:5], 2, v[4:5]
	v_mad_u64_u32 v[10:11], s[6:7], s11, v2, v[10:11]
	v_mov_b32_e32 v12, s3
	v_add_co_u32_e32 v4, vcc, s2, v4
	v_mov_b32_e32 v7, v10
	v_addc_co_u32_e32 v5, vcc, v12, v5, vcc
	v_lshlrev_b64 v[6:7], 2, v[6:7]
	s_mov_b32 s8, 0
	v_add_co_u32_e32 v6, vcc, s2, v6
	v_lshl_add_u32 v8, v8, 2, 0
	v_addc_co_u32_e32 v7, vcc, v12, v7, vcc
	s_lshl_b32 s14, s12, 2
	s_mov_b64 s[6:7], 0
	v_mov_b32_e32 v10, s8
	s_branch .LBB54_19
.LBB54_18:                              ;   in Loop: Header=BB54_19 Depth=1
	s_or_b64 exec, exec, s[8:9]
	s_add_u32 s6, s6, 1
	s_addc_u32 s7, s7, 0
	v_add_co_u32_e32 v6, vcc, s14, v6
	s_cmp_eq_u64 s[4:5], s[6:7]
	v_addc_co_u32_e32 v7, vcc, v7, v10, vcc
	s_cbranch_scc1 .LBB54_23
.LBB54_19:                              ; =>This Inner Loop Header: Depth=1
	v_cmp_eq_u64_e32 vcc, s[6:7], v[2:3]
	s_barrier
	s_and_saveexec_b64 s[8:9], vcc
	s_cbranch_execz .LBB54_21
; %bb.20:                               ;   in Loop: Header=BB54_19 Depth=1
	flat_load_dword v11, v[4:5]
	s_waitcnt vmcnt(0) lgkmcnt(0)
	v_div_scale_f32 v12, s[16:17], v11, v11, 1.0
	v_rcp_f32_e32 v13, v12
	v_div_scale_f32 v14, vcc, 1.0, v11, 1.0
	v_fma_f32 v15, -v12, v13, 1.0
	v_fmac_f32_e32 v13, v15, v13
	v_mul_f32_e32 v15, v14, v13
	v_fma_f32 v16, -v12, v15, v14
	v_fmac_f32_e32 v15, v16, v13
	v_fma_f32 v12, -v12, v15, v14
	v_div_fmas_f32 v12, v12, v13, v15
	v_div_fixup_f32 v12, v12, v11, 1.0
	v_cndmask_b32_e64 v11, v12, v11, s[0:1]
	v_mul_f32_e32 v9, v9, v11
	ds_write_b32 v8, v9
.LBB54_21:                              ;   in Loop: Header=BB54_19 Depth=1
	s_or_b64 exec, exec, s[8:9]
	v_cmp_lt_u64_e32 vcc, s[6:7], v[2:3]
	s_waitcnt lgkmcnt(0)
	s_barrier
	s_and_saveexec_b64 s[8:9], vcc
	s_cbranch_execz .LBB54_18
; %bb.22:                               ;   in Loop: Header=BB54_19 Depth=1
	flat_load_dword v11, v[6:7]
	ds_read_b32 v12, v8
	s_waitcnt vmcnt(0) lgkmcnt(0)
	v_fma_f32 v9, -v11, v12, v9
	s_branch .LBB54_18
.LBB54_23:
	v_cmp_eq_u64_e32 vcc, s[4:5], v[2:3]
	s_and_saveexec_b64 s[4:5], vcc
	s_cbranch_execz .LBB54_25
; %bb.24:
	s_add_u32 s6, s12, s10
	v_mad_u64_u32 v[4:5], s[6:7], s6, v2, 0
	s_addc_u32 s8, s13, s11
	v_mov_b32_e32 v6, v5
	v_mad_u64_u32 v[2:3], s[6:7], s8, v2, v[6:7]
	v_mov_b32_e32 v5, v2
	v_lshlrev_b64 v[2:3], 2, v[4:5]
	v_mov_b32_e32 v4, s3
	v_add_co_u32_e32 v2, vcc, s2, v2
	v_addc_co_u32_e32 v3, vcc, v4, v3, vcc
	flat_load_dword v2, v[2:3]
	s_waitcnt vmcnt(0) lgkmcnt(0)
	v_div_scale_f32 v3, s[2:3], v2, v2, 1.0
	v_rcp_f32_e32 v4, v3
	v_div_scale_f32 v5, vcc, 1.0, v2, 1.0
	v_fma_f32 v6, -v3, v4, 1.0
	v_fmac_f32_e32 v4, v6, v4
	v_mul_f32_e32 v6, v5, v4
	v_fma_f32 v7, -v3, v6, v5
	v_fmac_f32_e32 v6, v7, v4
	v_fma_f32 v3, -v3, v6, v5
	v_div_fmas_f32 v3, v3, v4, v6
	v_div_fixup_f32 v3, v3, v2, 1.0
	v_cndmask_b32_e64 v2, v3, v2, s[0:1]
	v_mul_f32_e32 v9, v9, v2
.LBB54_25:
	s_or_b64 exec, exec, s[4:5]
	global_store_dword v[0:1], v9, off
.LBB54_26:
	s_endpgm
	.section	.rodata,"a",@progbits
	.p2align	6, 0x0
	.amdhsa_kernel _ZL39rocblas_trsm_block_forward_substitutionIffPKfPfLb1ELb1ELb0EEv18rocblas_operation_llT0_T1_lllT2_lllib
		.amdhsa_group_segment_fixed_size 0
		.amdhsa_private_segment_fixed_size 0
		.amdhsa_kernarg_size 360
		.amdhsa_user_sgpr_count 6
		.amdhsa_user_sgpr_private_segment_buffer 1
		.amdhsa_user_sgpr_dispatch_ptr 0
		.amdhsa_user_sgpr_queue_ptr 0
		.amdhsa_user_sgpr_kernarg_segment_ptr 1
		.amdhsa_user_sgpr_dispatch_id 0
		.amdhsa_user_sgpr_flat_scratch_init 0
		.amdhsa_user_sgpr_kernarg_preload_length 0
		.amdhsa_user_sgpr_kernarg_preload_offset 0
		.amdhsa_user_sgpr_private_segment_size 0
		.amdhsa_uses_dynamic_stack 0
		.amdhsa_system_sgpr_private_segment_wavefront_offset 0
		.amdhsa_system_sgpr_workgroup_id_x 1
		.amdhsa_system_sgpr_workgroup_id_y 1
		.amdhsa_system_sgpr_workgroup_id_z 1
		.amdhsa_system_sgpr_workgroup_info 0
		.amdhsa_system_vgpr_workitem_id 1
		.amdhsa_next_free_vgpr 17
		.amdhsa_next_free_sgpr 42
		.amdhsa_accum_offset 20
		.amdhsa_reserve_vcc 1
		.amdhsa_reserve_flat_scratch 0
		.amdhsa_float_round_mode_32 0
		.amdhsa_float_round_mode_16_64 0
		.amdhsa_float_denorm_mode_32 3
		.amdhsa_float_denorm_mode_16_64 3
		.amdhsa_dx10_clamp 1
		.amdhsa_ieee_mode 1
		.amdhsa_fp16_overflow 0
		.amdhsa_tg_split 0
		.amdhsa_exception_fp_ieee_invalid_op 0
		.amdhsa_exception_fp_denorm_src 0
		.amdhsa_exception_fp_ieee_div_zero 0
		.amdhsa_exception_fp_ieee_overflow 0
		.amdhsa_exception_fp_ieee_underflow 0
		.amdhsa_exception_fp_ieee_inexact 0
		.amdhsa_exception_int_div_zero 0
	.end_amdhsa_kernel
	.section	.text._ZL39rocblas_trsm_block_forward_substitutionIffPKfPfLb1ELb1ELb0EEv18rocblas_operation_llT0_T1_lllT2_lllib,"axG",@progbits,_ZL39rocblas_trsm_block_forward_substitutionIffPKfPfLb1ELb1ELb0EEv18rocblas_operation_llT0_T1_lllT2_lllib,comdat
.Lfunc_end54:
	.size	_ZL39rocblas_trsm_block_forward_substitutionIffPKfPfLb1ELb1ELb0EEv18rocblas_operation_llT0_T1_lllT2_lllib, .Lfunc_end54-_ZL39rocblas_trsm_block_forward_substitutionIffPKfPfLb1ELb1ELb0EEv18rocblas_operation_llT0_T1_lllT2_lllib
                                        ; -- End function
	.section	.AMDGPU.csdata,"",@progbits
; Kernel info:
; codeLenInByte = 1328
; NumSgprs: 46
; NumVgprs: 17
; NumAgprs: 0
; TotalNumVgprs: 17
; ScratchSize: 0
; MemoryBound: 0
; FloatMode: 240
; IeeeMode: 1
; LDSByteSize: 0 bytes/workgroup (compile time only)
; SGPRBlocks: 5
; VGPRBlocks: 2
; NumSGPRsForWavesPerEU: 46
; NumVGPRsForWavesPerEU: 17
; AccumOffset: 20
; Occupancy: 8
; WaveLimiterHint : 1
; COMPUTE_PGM_RSRC2:SCRATCH_EN: 0
; COMPUTE_PGM_RSRC2:USER_SGPR: 6
; COMPUTE_PGM_RSRC2:TRAP_HANDLER: 0
; COMPUTE_PGM_RSRC2:TGID_X_EN: 1
; COMPUTE_PGM_RSRC2:TGID_Y_EN: 1
; COMPUTE_PGM_RSRC2:TGID_Z_EN: 1
; COMPUTE_PGM_RSRC2:TIDIG_COMP_CNT: 1
; COMPUTE_PGM_RSRC3_GFX90A:ACCUM_OFFSET: 4
; COMPUTE_PGM_RSRC3_GFX90A:TG_SPLIT: 0
	.section	.text._ZL40rocblas_trsm_block_backward_substitutionIffPKfPfLb1ELb1ELb0EEv18rocblas_operation_llT0_T1_lllT2_lllib,"axG",@progbits,_ZL40rocblas_trsm_block_backward_substitutionIffPKfPfLb1ELb1ELb0EEv18rocblas_operation_llT0_T1_lllT2_lllib,comdat
	.globl	_ZL40rocblas_trsm_block_backward_substitutionIffPKfPfLb1ELb1ELb0EEv18rocblas_operation_llT0_T1_lllT2_lllib ; -- Begin function _ZL40rocblas_trsm_block_backward_substitutionIffPKfPfLb1ELb1ELb0EEv18rocblas_operation_llT0_T1_lllT2_lllib
	.p2align	8
	.type	_ZL40rocblas_trsm_block_backward_substitutionIffPKfPfLb1ELb1ELb0EEv18rocblas_operation_llT0_T1_lllT2_lllib,@function
_ZL40rocblas_trsm_block_backward_substitutionIffPKfPfLb1ELb1ELb0EEv18rocblas_operation_llT0_T1_lllT2_lllib: ; @_ZL40rocblas_trsm_block_backward_substitutionIffPKfPfLb1ELb1ELb0EEv18rocblas_operation_llT0_T1_lllT2_lllib
; %bb.0:
	s_load_dword s9, s[4:5], 0x64
	s_load_dwordx16 s[12:27], s[4:5], 0x20
	s_load_dwordx4 s[28:31], s[4:5], 0x8
	s_load_dword s6, s[4:5], 0x74
	v_and_b32_e32 v2, 0x3ff, v0
	s_waitcnt lgkmcnt(0)
	s_bitcmp1_b32 s9, 0
	s_mul_i32 s2, s8, s19
	s_mul_hi_u32 s3, s8, s18
	s_cselect_b64 s[0:1], -1, 0
	s_add_i32 s3, s3, s2
	s_mul_i32 s2, s8, s18
	s_lshl_b64 s[2:3], s[2:3], 2
	s_add_u32 s10, s12, s2
	s_addc_u32 s11, s13, s3
	s_lshl_b64 s[2:3], s[14:15], 2
	s_add_u32 s10, s10, s2
	s_addc_u32 s11, s11, s3
	s_add_u32 s12, s4, 0x68
	s_addc_u32 s13, s5, 0
	s_lshr_b32 s6, s6, 16
	s_bitcmp0_b32 s9, 0
	v_bfe_u32 v8, v0, 10, 10
	s_cbranch_scc1 .LBB55_15
; %bb.1:
	s_lshl_b32 s2, s6, 2
	s_add_i32 s14, s2, 0
	v_cmp_lt_i64_e64 s[2:3], s[28:29], 1
	s_and_b64 vcc, exec, s[2:3]
	s_cbranch_vccnz .LBB55_14
; %bb.2:
	v_lshlrev_b32_e32 v0, 2, v2
	v_mov_b32_e32 v3, 0
	v_cmp_le_u64_e64 s[18:19], s[28:29], v[2:3]
	v_cmp_gt_u64_e64 s[2:3], s[28:29], v[2:3]
	v_mov_b32_e32 v1, s11
	v_add_co_u32_e32 v3, vcc, s10, v0
	v_add_u32_e32 v9, s14, v0
	v_addc_co_u32_e32 v10, vcc, 0, v1, vcc
	v_mad_u64_u32 v[0:1], s[10:11], v2, s16, 0
	v_mov_b32_e32 v4, v1
	v_mad_u64_u32 v[4:5], s[10:11], v2, s17, v[4:5]
	v_mov_b32_e32 v1, v4
	v_lshlrev_b64 v[0:1], 2, v[0:1]
	v_add_co_u32_e32 v0, vcc, v3, v0
	v_addc_co_u32_e32 v1, vcc, v10, v1, vcc
	s_xor_b64 s[34:35], s[18:19], -1
	v_pk_mov_b32 v[4:5], s[28:29], s[28:29] op_sel:[0,1]
	s_mov_b32 s36, s6
	v_mov_b32_e32 v6, v8
	s_branch .LBB55_4
.LBB55_3:                               ;   in Loop: Header=BB55_4 Depth=1
	s_or_b64 exec, exec, s[38:39]
	s_ashr_i32 s37, s36, 31
	v_cmp_ge_i64_e32 vcc, s[36:37], v[4:5]
	v_add_u32_e32 v6, s6, v6
	s_add_i32 s36, s36, s6
	s_cbranch_vccnz .LBB55_14
.LBB55_4:                               ; =>This Inner Loop Header: Depth=1
	s_mov_b64 s[10:11], 0
	s_mov_b64 s[40:41], s[18:19]
                                        ; implicit-def: $vgpr11
                                        ; implicit-def: $vgpr7
	s_and_saveexec_b64 s[38:39], s[2:3]
	s_cbranch_execnz .LBB55_7
; %bb.5:                                ;   in Loop: Header=BB55_4 Depth=1
	s_or_b64 exec, exec, s[38:39]
	s_and_saveexec_b64 s[38:39], s[40:41]
	s_cbranch_execnz .LBB55_10
.LBB55_6:                               ;   in Loop: Header=BB55_4 Depth=1
	s_or_b64 exec, exec, s[38:39]
	s_and_saveexec_b64 s[38:39], s[10:11]
	s_cbranch_execz .LBB55_3
	s_branch .LBB55_13
.LBB55_7:                               ;   in Loop: Header=BB55_4 Depth=1
	v_ashrrev_i32_e32 v7, 31, v6
	v_cmp_gt_i64_e32 vcc, s[28:29], v[6:7]
	v_cmp_lt_i32_e64 s[10:11], v2, v6
	s_and_b64 s[44:45], s[10:11], vcc
	s_mov_b64 s[42:43], -1
	s_mov_b64 s[10:11], 0
                                        ; implicit-def: $vgpr11
	s_and_saveexec_b64 s[40:41], s[44:45]
	s_cbranch_execz .LBB55_9
; %bb.8:                                ;   in Loop: Header=BB55_4 Depth=1
	v_mul_lo_u32 v7, v7, s16
	s_waitcnt vmcnt(0)
	v_mul_lo_u32 v11, v6, s17
	v_mad_u64_u32 v[12:13], s[42:43], v6, s16, 0
	v_add3_u32 v13, v13, v11, v7
	v_lshlrev_b64 v[12:13], 2, v[12:13]
	v_add_co_u32_e32 v12, vcc, v3, v12
	v_addc_co_u32_e32 v13, vcc, v10, v13, vcc
	global_load_dword v11, v[12:13], off
	s_mov_b64 s[10:11], exec
	s_xor_b64 s[42:43], exec, -1
.LBB55_9:                               ;   in Loop: Header=BB55_4 Depth=1
	s_or_b64 exec, exec, s[40:41]
	s_andn2_b64 s[40:41], s[18:19], exec
	s_and_b64 s[42:43], s[42:43], exec
	s_and_b64 s[10:11], s[10:11], exec
	s_or_b64 s[40:41], s[40:41], s[42:43]
	v_mov_b32_e32 v7, v6
	s_or_b64 exec, exec, s[38:39]
	s_and_saveexec_b64 s[38:39], s[40:41]
	s_cbranch_execz .LBB55_6
.LBB55_10:                              ;   in Loop: Header=BB55_4 Depth=1
	v_cmp_eq_u32_e32 vcc, v2, v6
	s_and_b64 s[44:45], s[34:35], vcc
	s_mov_b64 s[42:43], s[10:11]
                                        ; implicit-def: $vgpr11
	s_and_saveexec_b64 s[40:41], s[44:45]
	s_cbranch_execz .LBB55_12
; %bb.11:                               ;   in Loop: Header=BB55_4 Depth=1
	global_load_dword v7, v[0:1], off
	s_waitcnt vmcnt(0)
	v_div_scale_f32 v11, s[42:43], v7, v7, 1.0
	v_rcp_f32_e32 v12, v11
	v_div_scale_f32 v13, vcc, 1.0, v7, 1.0
	s_or_b64 s[42:43], s[10:11], exec
	v_fma_f32 v14, -v11, v12, 1.0
	v_fmac_f32_e32 v12, v14, v12
	v_mul_f32_e32 v14, v13, v12
	v_fma_f32 v15, -v11, v14, v13
	v_fmac_f32_e32 v14, v15, v12
	v_fma_f32 v11, -v11, v14, v13
	v_div_fmas_f32 v11, v11, v12, v14
	v_div_fixup_f32 v11, v11, v7, 1.0
.LBB55_12:                              ;   in Loop: Header=BB55_4 Depth=1
	s_or_b64 exec, exec, s[40:41]
	s_andn2_b64 s[10:11], s[10:11], exec
	s_and_b64 s[40:41], s[42:43], exec
	s_or_b64 s[10:11], s[10:11], s[40:41]
	v_mov_b32_e32 v7, v2
	s_or_b64 exec, exec, s[38:39]
	s_and_saveexec_b64 s[38:39], s[10:11]
	s_cbranch_execz .LBB55_3
.LBB55_13:                              ;   in Loop: Header=BB55_4 Depth=1
	s_load_dword s9, s[12:13], 0xc
	s_waitcnt lgkmcnt(0)
	s_and_b32 s9, s9, 0xffff
	v_mul_lo_u32 v7, v7, s9
	v_lshl_add_u32 v7, v7, 2, v9
	s_waitcnt vmcnt(0)
	ds_write_b32 v7, v11
	s_branch .LBB55_3
.LBB55_14:
	s_load_dword s9, s[12:13], 0xc
	s_mov_b64 s[2:3], src_shared_base
	s_mov_b32 s15, s3
	s_mov_b32 s17, 0
	s_mov_b64 s[10:11], s[14:15]
	s_waitcnt lgkmcnt(0)
	s_and_b32 s16, s9, 0xffff
.LBB55_15:
	s_mul_i32 s7, s7, s6
	v_add_u32_e32 v0, s7, v8
	v_mov_b32_e32 v1, 0
	v_cmp_gt_i64_e32 vcc, s[30:31], v[0:1]
	s_and_saveexec_b64 s[2:3], vcc
	s_cbranch_execz .LBB55_28
; %bb.16:
	v_mov_b32_e32 v3, v1
	v_cmp_gt_i64_e32 vcc, s[28:29], v[2:3]
	s_and_b64 exec, exec, vcc
	s_cbranch_execz .LBB55_28
; %bb.17:
	s_mul_i32 s2, s8, s27
	s_mul_hi_u32 s3, s8, s26
	s_add_i32 s3, s3, s2
	s_mul_i32 s2, s8, s26
	s_lshl_b64 s[2:3], s[2:3], 2
	s_add_u32 s6, s20, s2
	s_addc_u32 s7, s21, s3
	s_lshl_b64 s[2:3], s[22:23], 2
	s_add_u32 s6, s6, s2
	s_addc_u32 s7, s7, s3
	v_mad_u64_u32 v[4:5], s[2:3], v0, s24, 0
	v_mov_b32_e32 v6, v5
	v_mad_u64_u32 v[0:1], s[2:3], v0, s25, v[6:7]
	v_mov_b32_e32 v5, v0
	v_lshlrev_b64 v[0:1], 2, v[4:5]
	v_mov_b32_e32 v4, s7
	v_add_co_u32_e32 v0, vcc, s6, v0
	v_addc_co_u32_e32 v1, vcc, v4, v1, vcc
	v_lshlrev_b32_e32 v6, 2, v2
	v_add_co_u32_e32 v0, vcc, v0, v6
	v_addc_co_u32_e32 v1, vcc, 0, v1, vcc
	global_load_dword v4, v[0:1], off
	s_load_dword s4, s[4:5], 0x18
	v_cmp_lt_u64_e64 s[2:3], s[28:29], 2
	s_and_b64 vcc, exec, s[2:3]
	s_waitcnt vmcnt(0) lgkmcnt(0)
	v_mul_f32_e32 v9, s4, v4
	s_cbranch_vccnz .LBB55_25
; %bb.18:
	v_mad_u64_u32 v[4:5], s[2:3], v2, s16, v[2:3]
	v_mov_b32_e32 v10, v5
	v_mad_u64_u32 v[10:11], s[2:3], v2, s17, v[10:11]
	s_add_u32 s2, s28, -1
	s_addc_u32 s3, s29, -1
	s_mul_i32 s4, s16, s3
	s_mul_hi_u32 s5, s16, s2
	s_add_i32 s4, s5, s4
	s_mul_i32 s5, s17, s2
	v_mov_b32_e32 v5, v10
	s_add_i32 s5, s4, s5
	s_mul_i32 s4, s16, s2
	v_lshlrev_b64 v[4:5], 2, v[4:5]
	s_lshl_b64 s[4:5], s[4:5], 2
	v_mov_b32_e32 v7, s11
	v_add_co_u32_e32 v4, vcc, s10, v4
	s_add_u32 s4, s10, s4
	v_addc_co_u32_e32 v5, vcc, v7, v5, vcc
	s_addc_u32 s5, s11, s5
	v_mov_b32_e32 v7, s5
	v_add_co_u32_e32 v6, vcc, s4, v6
	s_lshl_b64 s[4:5], s[16:17], 2
	s_sub_u32 s6, 0, s4
	s_subb_u32 s4, 0, s5
	v_lshl_add_u32 v8, v8, 2, 0
	v_addc_co_u32_e32 v7, vcc, 0, v7, vcc
	v_mov_b32_e32 v10, s4
.LBB55_19:                              ; =>This Inner Loop Header: Depth=1
	v_cmp_eq_u64_e32 vcc, s[2:3], v[2:3]
	s_barrier
	s_and_saveexec_b64 s[4:5], vcc
	s_cbranch_execz .LBB55_21
; %bb.20:                               ;   in Loop: Header=BB55_19 Depth=1
	flat_load_dword v11, v[4:5]
	s_waitcnt vmcnt(0) lgkmcnt(0)
	v_div_scale_f32 v12, s[8:9], v11, v11, 1.0
	v_rcp_f32_e32 v13, v12
	v_div_scale_f32 v14, vcc, 1.0, v11, 1.0
	v_fma_f32 v15, -v12, v13, 1.0
	v_fmac_f32_e32 v13, v15, v13
	v_mul_f32_e32 v15, v14, v13
	v_fma_f32 v16, -v12, v15, v14
	v_fmac_f32_e32 v15, v16, v13
	v_fma_f32 v12, -v12, v15, v14
	v_div_fmas_f32 v12, v12, v13, v15
	v_div_fixup_f32 v12, v12, v11, 1.0
	v_cndmask_b32_e64 v11, v12, v11, s[0:1]
	v_mul_f32_e32 v9, v9, v11
	ds_write_b32 v8, v9
.LBB55_21:                              ;   in Loop: Header=BB55_19 Depth=1
	s_or_b64 exec, exec, s[4:5]
	v_cmp_gt_i64_e32 vcc, s[2:3], v[2:3]
	s_waitcnt lgkmcnt(0)
	s_barrier
	s_and_saveexec_b64 s[4:5], vcc
	s_cbranch_execz .LBB55_23
; %bb.22:                               ;   in Loop: Header=BB55_19 Depth=1
	flat_load_dword v11, v[6:7]
	ds_read_b32 v12, v8
	s_waitcnt vmcnt(0) lgkmcnt(0)
	v_fma_f32 v9, -v11, v12, v9
.LBB55_23:                              ;   in Loop: Header=BB55_19 Depth=1
	s_or_b64 exec, exec, s[4:5]
	s_add_u32 s4, s2, -1
	s_addc_u32 s5, s3, -1
	s_add_u32 s2, s2, 1
	s_addc_u32 s3, s3, 0
	v_add_co_u32_e32 v6, vcc, s6, v6
	v_addc_co_u32_e32 v7, vcc, v7, v10, vcc
	v_cmp_lt_u64_e64 s[2:3], s[2:3], 3
	s_and_b64 vcc, exec, s[2:3]
	s_cbranch_vccnz .LBB55_25
; %bb.24:                               ;   in Loop: Header=BB55_19 Depth=1
	s_mov_b64 s[2:3], s[4:5]
	s_branch .LBB55_19
.LBB55_25:
	v_cmp_eq_u32_e32 vcc, 0, v2
	s_and_saveexec_b64 s[2:3], vcc
	s_cbranch_execz .LBB55_27
; %bb.26:
	v_mad_u64_u32 v[4:5], s[4:5], v2, s16, v[2:3]
	v_mov_b32_e32 v6, v5
	v_mad_u64_u32 v[2:3], s[4:5], v2, s17, v[6:7]
	v_mov_b32_e32 v5, v2
	v_lshlrev_b64 v[2:3], 2, v[4:5]
	v_mov_b32_e32 v4, s11
	v_add_co_u32_e32 v2, vcc, s10, v2
	v_addc_co_u32_e32 v3, vcc, v4, v3, vcc
	flat_load_dword v2, v[2:3]
	s_waitcnt vmcnt(0) lgkmcnt(0)
	v_div_scale_f32 v3, s[4:5], v2, v2, 1.0
	v_rcp_f32_e32 v4, v3
	v_div_scale_f32 v5, vcc, 1.0, v2, 1.0
	v_fma_f32 v6, -v3, v4, 1.0
	v_fmac_f32_e32 v4, v6, v4
	v_mul_f32_e32 v6, v5, v4
	v_fma_f32 v7, -v3, v6, v5
	v_fmac_f32_e32 v6, v7, v4
	v_fma_f32 v3, -v3, v6, v5
	v_div_fmas_f32 v3, v3, v4, v6
	v_div_fixup_f32 v3, v3, v2, 1.0
	v_cndmask_b32_e64 v2, v3, v2, s[0:1]
	v_mul_f32_e32 v9, v9, v2
.LBB55_27:
	s_or_b64 exec, exec, s[2:3]
	global_store_dword v[0:1], v9, off
.LBB55_28:
	s_endpgm
	.section	.rodata,"a",@progbits
	.p2align	6, 0x0
	.amdhsa_kernel _ZL40rocblas_trsm_block_backward_substitutionIffPKfPfLb1ELb1ELb0EEv18rocblas_operation_llT0_T1_lllT2_lllib
		.amdhsa_group_segment_fixed_size 0
		.amdhsa_private_segment_fixed_size 0
		.amdhsa_kernarg_size 360
		.amdhsa_user_sgpr_count 6
		.amdhsa_user_sgpr_private_segment_buffer 1
		.amdhsa_user_sgpr_dispatch_ptr 0
		.amdhsa_user_sgpr_queue_ptr 0
		.amdhsa_user_sgpr_kernarg_segment_ptr 1
		.amdhsa_user_sgpr_dispatch_id 0
		.amdhsa_user_sgpr_flat_scratch_init 0
		.amdhsa_user_sgpr_kernarg_preload_length 0
		.amdhsa_user_sgpr_kernarg_preload_offset 0
		.amdhsa_user_sgpr_private_segment_size 0
		.amdhsa_uses_dynamic_stack 0
		.amdhsa_system_sgpr_private_segment_wavefront_offset 0
		.amdhsa_system_sgpr_workgroup_id_x 1
		.amdhsa_system_sgpr_workgroup_id_y 1
		.amdhsa_system_sgpr_workgroup_id_z 1
		.amdhsa_system_sgpr_workgroup_info 0
		.amdhsa_system_vgpr_workitem_id 1
		.amdhsa_next_free_vgpr 17
		.amdhsa_next_free_sgpr 46
		.amdhsa_accum_offset 20
		.amdhsa_reserve_vcc 1
		.amdhsa_reserve_flat_scratch 0
		.amdhsa_float_round_mode_32 0
		.amdhsa_float_round_mode_16_64 0
		.amdhsa_float_denorm_mode_32 3
		.amdhsa_float_denorm_mode_16_64 3
		.amdhsa_dx10_clamp 1
		.amdhsa_ieee_mode 1
		.amdhsa_fp16_overflow 0
		.amdhsa_tg_split 0
		.amdhsa_exception_fp_ieee_invalid_op 0
		.amdhsa_exception_fp_denorm_src 0
		.amdhsa_exception_fp_ieee_div_zero 0
		.amdhsa_exception_fp_ieee_overflow 0
		.amdhsa_exception_fp_ieee_underflow 0
		.amdhsa_exception_fp_ieee_inexact 0
		.amdhsa_exception_int_div_zero 0
	.end_amdhsa_kernel
	.section	.text._ZL40rocblas_trsm_block_backward_substitutionIffPKfPfLb1ELb1ELb0EEv18rocblas_operation_llT0_T1_lllT2_lllib,"axG",@progbits,_ZL40rocblas_trsm_block_backward_substitutionIffPKfPfLb1ELb1ELb0EEv18rocblas_operation_llT0_T1_lllT2_lllib,comdat
.Lfunc_end55:
	.size	_ZL40rocblas_trsm_block_backward_substitutionIffPKfPfLb1ELb1ELb0EEv18rocblas_operation_llT0_T1_lllT2_lllib, .Lfunc_end55-_ZL40rocblas_trsm_block_backward_substitutionIffPKfPfLb1ELb1ELb0EEv18rocblas_operation_llT0_T1_lllT2_lllib
                                        ; -- End function
	.section	.AMDGPU.csdata,"",@progbits
; Kernel info:
; codeLenInByte = 1380
; NumSgprs: 50
; NumVgprs: 17
; NumAgprs: 0
; TotalNumVgprs: 17
; ScratchSize: 0
; MemoryBound: 0
; FloatMode: 240
; IeeeMode: 1
; LDSByteSize: 0 bytes/workgroup (compile time only)
; SGPRBlocks: 6
; VGPRBlocks: 2
; NumSGPRsForWavesPerEU: 50
; NumVGPRsForWavesPerEU: 17
; AccumOffset: 20
; Occupancy: 8
; WaveLimiterHint : 1
; COMPUTE_PGM_RSRC2:SCRATCH_EN: 0
; COMPUTE_PGM_RSRC2:USER_SGPR: 6
; COMPUTE_PGM_RSRC2:TRAP_HANDLER: 0
; COMPUTE_PGM_RSRC2:TGID_X_EN: 1
; COMPUTE_PGM_RSRC2:TGID_Y_EN: 1
; COMPUTE_PGM_RSRC2:TGID_Z_EN: 1
; COMPUTE_PGM_RSRC2:TIDIG_COMP_CNT: 1
; COMPUTE_PGM_RSRC3_GFX90A:ACCUM_OFFSET: 4
; COMPUTE_PGM_RSRC3_GFX90A:TG_SPLIT: 0
	.section	.text._ZL39rocblas_trsm_block_forward_substitutionIffPKfPfLb1ELb1ELb1EEv18rocblas_operation_llT0_T1_lllT2_lllib,"axG",@progbits,_ZL39rocblas_trsm_block_forward_substitutionIffPKfPfLb1ELb1ELb1EEv18rocblas_operation_llT0_T1_lllT2_lllib,comdat
	.globl	_ZL39rocblas_trsm_block_forward_substitutionIffPKfPfLb1ELb1ELb1EEv18rocblas_operation_llT0_T1_lllT2_lllib ; -- Begin function _ZL39rocblas_trsm_block_forward_substitutionIffPKfPfLb1ELb1ELb1EEv18rocblas_operation_llT0_T1_lllT2_lllib
	.p2align	8
	.type	_ZL39rocblas_trsm_block_forward_substitutionIffPKfPfLb1ELb1ELb1EEv18rocblas_operation_llT0_T1_lllT2_lllib,@function
_ZL39rocblas_trsm_block_forward_substitutionIffPKfPfLb1ELb1ELb1EEv18rocblas_operation_llT0_T1_lllT2_lllib: ; @_ZL39rocblas_trsm_block_forward_substitutionIffPKfPfLb1ELb1ELb1EEv18rocblas_operation_llT0_T1_lllT2_lllib
; %bb.0:
	s_load_dwordx16 s[12:27], s[4:5], 0x20
	s_load_dwordx4 s[28:31], s[4:5], 0x8
	v_and_b32_e32 v2, 0x3ff, v0
	v_bfe_u32 v6, v0, 10, 10
	s_waitcnt lgkmcnt(0)
	s_mul_i32 s0, s8, s19
	s_mul_hi_u32 s1, s8, s18
	s_add_i32 s1, s1, s0
	s_mul_i32 s0, s8, s18
	s_lshl_b64 s[0:1], s[0:1], 2
	s_add_u32 s6, s12, s0
	s_addc_u32 s9, s13, s1
	s_lshl_b64 s[0:1], s[14:15], 2
	s_add_u32 s10, s6, s0
	s_addc_u32 s11, s9, s1
	s_load_dword s0, s[4:5], 0x64
	s_load_dword s1, s[4:5], 0x74
	s_add_u32 s12, s4, 0x68
	s_addc_u32 s13, s5, 0
	s_waitcnt lgkmcnt(0)
	s_lshr_b32 s6, s1, 16
	s_bitcmp0_b32 s0, 0
	s_mov_b64 s[0:1], 1
	s_cbranch_scc1 .LBB56_6
; %bb.1:
	s_lshl_b32 s0, s6, 2
	s_add_i32 s14, s0, 0
	v_cmp_lt_i64_e64 s[0:1], s[28:29], 1
	s_mov_b64 s[2:3], 1
	s_and_b64 vcc, exec, s[0:1]
	s_cbranch_vccnz .LBB56_7
; %bb.2:
	v_mad_u64_u32 v[0:1], s[18:19], v2, s16, 0
	v_mov_b32_e32 v4, v1
	v_mad_u64_u32 v[4:5], s[16:17], v2, s17, v[4:5]
	v_mov_b32_e32 v1, v4
	v_mov_b32_e32 v3, 0
	v_lshlrev_b64 v[0:1], 2, v[0:1]
	v_cmp_gt_u64_e64 s[0:1], s[28:29], v[2:3]
	v_mov_b32_e32 v4, s11
	v_add_co_u32_e32 v3, vcc, s10, v0
	v_lshl_add_u32 v7, v2, 2, s14
	v_addc_co_u32_e32 v8, vcc, v4, v1, vcc
	s_mov_b32 s10, 0
	v_pk_mov_b32 v[0:1], s[28:29], s[28:29] op_sel:[0,1]
	s_branch .LBB56_4
.LBB56_3:                               ;   in Loop: Header=BB56_4 Depth=1
	s_or_b64 exec, exec, s[16:17]
	s_add_i32 s10, s10, s6
	s_ashr_i32 s11, s10, 31
	v_cmp_ge_i64_e32 vcc, s[10:11], v[0:1]
	s_cbranch_vccnz .LBB56_7
.LBB56_4:                               ; =>This Inner Loop Header: Depth=1
	v_add_u32_e32 v4, s10, v6
	v_cmp_gt_i32_e32 vcc, v2, v4
	s_and_b64 s[18:19], s[0:1], vcc
	s_and_saveexec_b64 s[16:17], s[18:19]
	s_cbranch_execz .LBB56_3
; %bb.5:                                ;   in Loop: Header=BB56_4 Depth=1
	v_ashrrev_i32_e32 v5, 31, v4
	v_lshlrev_b64 v[10:11], 2, v[4:5]
	v_add_co_u32_e32 v10, vcc, v3, v10
	v_addc_co_u32_e32 v11, vcc, v8, v11, vcc
	global_load_dword v5, v[10:11], off
	s_load_dword s9, s[12:13], 0xc
	s_waitcnt lgkmcnt(0)
	s_and_b32 s9, s9, 0xffff
	v_mul_lo_u32 v4, v4, s9
	v_lshl_add_u32 v4, v4, 2, v7
	s_waitcnt vmcnt(0)
	ds_write_b32 v4, v5
	s_branch .LBB56_3
.LBB56_6:
	s_mov_b32 s2, s16
	s_mov_b32 s3, s17
	s_branch .LBB56_8
.LBB56_7:
	s_load_dword s9, s[12:13], 0xc
	s_mov_b64 s[0:1], src_shared_base
	s_mov_b32 s15, s1
	s_mov_b64 s[10:11], s[14:15]
	s_waitcnt lgkmcnt(0)
	s_and_b32 s0, s9, 0xffff
.LBB56_8:
	s_mul_i32 s7, s7, s6
	v_add_u32_e32 v0, s7, v6
	v_mov_b32_e32 v1, 0
	v_cmp_gt_i64_e32 vcc, s[30:31], v[0:1]
	s_and_saveexec_b64 s[6:7], vcc
	s_cbranch_execz .LBB56_18
; %bb.9:
	v_mov_b32_e32 v3, v1
	v_cmp_gt_i64_e32 vcc, s[28:29], v[2:3]
	s_and_b64 exec, exec, vcc
	s_cbranch_execz .LBB56_18
; %bb.10:
	s_mul_i32 s1, s8, s27
	s_mul_hi_u32 s6, s8, s26
	s_add_i32 s7, s6, s1
	s_mul_i32 s6, s8, s26
	s_lshl_b64 s[6:7], s[6:7], 2
	s_add_u32 s1, s20, s6
	s_addc_u32 s8, s21, s7
	s_lshl_b64 s[6:7], s[22:23], 2
	s_add_u32 s1, s1, s6
	s_addc_u32 s8, s8, s7
	v_mad_u64_u32 v[4:5], s[6:7], v2, s24, 0
	v_mov_b32_e32 v8, v5
	v_mad_u64_u32 v[8:9], s[6:7], v2, s25, v[8:9]
	v_mov_b32_e32 v5, v8
	v_lshlrev_b64 v[4:5], 2, v[4:5]
	v_mov_b32_e32 v7, s8
	v_add_co_u32_e32 v4, vcc, s1, v4
	v_addc_co_u32_e32 v5, vcc, v7, v5, vcc
	v_lshlrev_b64 v[0:1], 2, v[0:1]
	v_add_co_u32_e32 v0, vcc, v4, v0
	v_addc_co_u32_e32 v1, vcc, v5, v1, vcc
	global_load_dword v4, v[0:1], off
	s_load_dword s1, s[4:5], 0x18
	v_cmp_lt_u64_e64 s[4:5], s[28:29], 2
	s_and_b64 vcc, exec, s[4:5]
	s_waitcnt vmcnt(0) lgkmcnt(0)
	v_mul_f32_e32 v7, s1, v4
	s_cbranch_vccnz .LBB56_17
; %bb.11:
	v_mad_u64_u32 v[4:5], s[6:7], s2, v2, 0
	v_mov_b32_e32 v8, v5
	v_mad_u64_u32 v[8:9], s[2:3], s3, v2, v[8:9]
	v_mov_b32_e32 v5, v8
	v_lshlrev_b64 v[4:5], 2, v[4:5]
	s_mov_b32 s8, 0
	s_add_u32 s4, s28, -1
	v_mov_b32_e32 v8, s11
	v_add_co_u32_e32 v4, vcc, s10, v4
	v_lshl_add_u32 v6, v6, 2, 0
	s_addc_u32 s5, s29, -1
	v_addc_co_u32_e32 v5, vcc, v8, v5, vcc
	s_lshl_b32 s6, s0, 2
	s_mov_b64 s[0:1], 0
	v_mov_b32_e32 v8, s8
	s_branch .LBB56_13
.LBB56_12:                              ;   in Loop: Header=BB56_13 Depth=1
	s_or_b64 exec, exec, s[2:3]
	s_add_u32 s0, s0, 1
	s_addc_u32 s1, s1, 0
	v_add_co_u32_e32 v4, vcc, s6, v4
	s_cmp_eq_u64 s[4:5], s[0:1]
	v_addc_co_u32_e32 v5, vcc, v5, v8, vcc
	s_cbranch_scc1 .LBB56_17
.LBB56_13:                              ; =>This Inner Loop Header: Depth=1
	v_cmp_eq_u64_e32 vcc, s[0:1], v[2:3]
	s_barrier
	s_and_saveexec_b64 s[2:3], vcc
	s_cbranch_execz .LBB56_15
; %bb.14:                               ;   in Loop: Header=BB56_13 Depth=1
	ds_write_b32 v6, v7
.LBB56_15:                              ;   in Loop: Header=BB56_13 Depth=1
	s_or_b64 exec, exec, s[2:3]
	v_cmp_lt_u64_e32 vcc, s[0:1], v[2:3]
	s_waitcnt lgkmcnt(0)
	s_barrier
	s_and_saveexec_b64 s[2:3], vcc
	s_cbranch_execz .LBB56_12
; %bb.16:                               ;   in Loop: Header=BB56_13 Depth=1
	flat_load_dword v9, v[4:5]
	ds_read_b32 v10, v6
	s_waitcnt vmcnt(0) lgkmcnt(0)
	v_fma_f32 v7, -v9, v10, v7
	s_branch .LBB56_12
.LBB56_17:
	global_store_dword v[0:1], v7, off
.LBB56_18:
	s_endpgm
	.section	.rodata,"a",@progbits
	.p2align	6, 0x0
	.amdhsa_kernel _ZL39rocblas_trsm_block_forward_substitutionIffPKfPfLb1ELb1ELb1EEv18rocblas_operation_llT0_T1_lllT2_lllib
		.amdhsa_group_segment_fixed_size 0
		.amdhsa_private_segment_fixed_size 0
		.amdhsa_kernarg_size 360
		.amdhsa_user_sgpr_count 6
		.amdhsa_user_sgpr_private_segment_buffer 1
		.amdhsa_user_sgpr_dispatch_ptr 0
		.amdhsa_user_sgpr_queue_ptr 0
		.amdhsa_user_sgpr_kernarg_segment_ptr 1
		.amdhsa_user_sgpr_dispatch_id 0
		.amdhsa_user_sgpr_flat_scratch_init 0
		.amdhsa_user_sgpr_kernarg_preload_length 0
		.amdhsa_user_sgpr_kernarg_preload_offset 0
		.amdhsa_user_sgpr_private_segment_size 0
		.amdhsa_uses_dynamic_stack 0
		.amdhsa_system_sgpr_private_segment_wavefront_offset 0
		.amdhsa_system_sgpr_workgroup_id_x 1
		.amdhsa_system_sgpr_workgroup_id_y 1
		.amdhsa_system_sgpr_workgroup_id_z 1
		.amdhsa_system_sgpr_workgroup_info 0
		.amdhsa_system_vgpr_workitem_id 1
		.amdhsa_next_free_vgpr 12
		.amdhsa_next_free_sgpr 32
		.amdhsa_accum_offset 12
		.amdhsa_reserve_vcc 1
		.amdhsa_reserve_flat_scratch 0
		.amdhsa_float_round_mode_32 0
		.amdhsa_float_round_mode_16_64 0
		.amdhsa_float_denorm_mode_32 3
		.amdhsa_float_denorm_mode_16_64 3
		.amdhsa_dx10_clamp 1
		.amdhsa_ieee_mode 1
		.amdhsa_fp16_overflow 0
		.amdhsa_tg_split 0
		.amdhsa_exception_fp_ieee_invalid_op 0
		.amdhsa_exception_fp_denorm_src 0
		.amdhsa_exception_fp_ieee_div_zero 0
		.amdhsa_exception_fp_ieee_overflow 0
		.amdhsa_exception_fp_ieee_underflow 0
		.amdhsa_exception_fp_ieee_inexact 0
		.amdhsa_exception_int_div_zero 0
	.end_amdhsa_kernel
	.section	.text._ZL39rocblas_trsm_block_forward_substitutionIffPKfPfLb1ELb1ELb1EEv18rocblas_operation_llT0_T1_lllT2_lllib,"axG",@progbits,_ZL39rocblas_trsm_block_forward_substitutionIffPKfPfLb1ELb1ELb1EEv18rocblas_operation_llT0_T1_lllT2_lllib,comdat
.Lfunc_end56:
	.size	_ZL39rocblas_trsm_block_forward_substitutionIffPKfPfLb1ELb1ELb1EEv18rocblas_operation_llT0_T1_lllT2_lllib, .Lfunc_end56-_ZL39rocblas_trsm_block_forward_substitutionIffPKfPfLb1ELb1ELb1EEv18rocblas_operation_llT0_T1_lllT2_lllib
                                        ; -- End function
	.section	.AMDGPU.csdata,"",@progbits
; Kernel info:
; codeLenInByte = 776
; NumSgprs: 36
; NumVgprs: 12
; NumAgprs: 0
; TotalNumVgprs: 12
; ScratchSize: 0
; MemoryBound: 0
; FloatMode: 240
; IeeeMode: 1
; LDSByteSize: 0 bytes/workgroup (compile time only)
; SGPRBlocks: 4
; VGPRBlocks: 1
; NumSGPRsForWavesPerEU: 36
; NumVGPRsForWavesPerEU: 12
; AccumOffset: 12
; Occupancy: 8
; WaveLimiterHint : 1
; COMPUTE_PGM_RSRC2:SCRATCH_EN: 0
; COMPUTE_PGM_RSRC2:USER_SGPR: 6
; COMPUTE_PGM_RSRC2:TRAP_HANDLER: 0
; COMPUTE_PGM_RSRC2:TGID_X_EN: 1
; COMPUTE_PGM_RSRC2:TGID_Y_EN: 1
; COMPUTE_PGM_RSRC2:TGID_Z_EN: 1
; COMPUTE_PGM_RSRC2:TIDIG_COMP_CNT: 1
; COMPUTE_PGM_RSRC3_GFX90A:ACCUM_OFFSET: 2
; COMPUTE_PGM_RSRC3_GFX90A:TG_SPLIT: 0
	.section	.text._ZL40rocblas_trsm_block_backward_substitutionIffPKfPfLb1ELb1ELb1EEv18rocblas_operation_llT0_T1_lllT2_lllib,"axG",@progbits,_ZL40rocblas_trsm_block_backward_substitutionIffPKfPfLb1ELb1ELb1EEv18rocblas_operation_llT0_T1_lllT2_lllib,comdat
	.globl	_ZL40rocblas_trsm_block_backward_substitutionIffPKfPfLb1ELb1ELb1EEv18rocblas_operation_llT0_T1_lllT2_lllib ; -- Begin function _ZL40rocblas_trsm_block_backward_substitutionIffPKfPfLb1ELb1ELb1EEv18rocblas_operation_llT0_T1_lllT2_lllib
	.p2align	8
	.type	_ZL40rocblas_trsm_block_backward_substitutionIffPKfPfLb1ELb1ELb1EEv18rocblas_operation_llT0_T1_lllT2_lllib,@function
_ZL40rocblas_trsm_block_backward_substitutionIffPKfPfLb1ELb1ELb1EEv18rocblas_operation_llT0_T1_lllT2_lllib: ; @_ZL40rocblas_trsm_block_backward_substitutionIffPKfPfLb1ELb1ELb1EEv18rocblas_operation_llT0_T1_lllT2_lllib
; %bb.0:
	s_load_dwordx16 s[12:27], s[4:5], 0x20
	s_load_dwordx4 s[28:31], s[4:5], 0x8
	v_and_b32_e32 v2, 0x3ff, v0
	v_bfe_u32 v6, v0, 10, 10
	s_waitcnt lgkmcnt(0)
	s_mul_i32 s0, s8, s19
	s_mul_hi_u32 s1, s8, s18
	s_add_i32 s1, s1, s0
	s_mul_i32 s0, s8, s18
	s_lshl_b64 s[0:1], s[0:1], 2
	s_add_u32 s2, s12, s0
	s_addc_u32 s3, s13, s1
	s_lshl_b64 s[0:1], s[14:15], 2
	s_add_u32 s2, s2, s0
	s_load_dword s0, s[4:5], 0x64
	s_load_dword s6, s[4:5], 0x74
	s_addc_u32 s3, s3, s1
	s_add_u32 s10, s4, 0x68
	s_addc_u32 s11, s5, 0
	s_waitcnt lgkmcnt(0)
	s_lshr_b32 s6, s6, 16
	s_bitcmp0_b32 s0, 0
	s_cbranch_scc1 .LBB57_7
; %bb.1:
	s_lshl_b32 s0, s6, 2
	s_add_i32 s12, s0, 0
	v_cmp_lt_i64_e64 s[0:1], s[28:29], 1
	s_and_b64 vcc, exec, s[0:1]
	s_cbranch_vccnz .LBB57_6
; %bb.2:
	v_lshlrev_b32_e32 v0, 2, v2
	v_mov_b32_e32 v3, 0
	v_cmp_gt_u64_e64 s[0:1], s[28:29], v[2:3]
	v_mov_b32_e32 v1, s3
	v_add_co_u32_e32 v3, vcc, s2, v0
	v_add_u32_e32 v7, s12, v0
	s_mov_b32 s14, 0
	v_addc_co_u32_e32 v8, vcc, 0, v1, vcc
	v_pk_mov_b32 v[0:1], s[28:29], s[28:29] op_sel:[0,1]
	s_branch .LBB57_4
.LBB57_3:                               ;   in Loop: Header=BB57_4 Depth=1
	s_or_b64 exec, exec, s[2:3]
	s_add_i32 s14, s14, s6
	s_ashr_i32 s15, s14, 31
	v_cmp_ge_i64_e32 vcc, s[14:15], v[0:1]
	s_cbranch_vccnz .LBB57_6
.LBB57_4:                               ; =>This Inner Loop Header: Depth=1
	v_add_u32_e32 v4, s14, v6
	v_ashrrev_i32_e32 v5, 31, v4
	v_cmp_gt_i64_e32 vcc, s[28:29], v[4:5]
	v_cmp_lt_i32_e64 s[2:3], v2, v4
	s_and_b64 s[2:3], s[2:3], vcc
	s_and_b64 s[18:19], s[0:1], s[2:3]
	s_and_saveexec_b64 s[2:3], s[18:19]
	s_cbranch_execz .LBB57_3
; %bb.5:                                ;   in Loop: Header=BB57_4 Depth=1
	v_mul_lo_u32 v5, v5, s16
	v_mul_lo_u32 v9, v4, s17
	v_mad_u64_u32 v[10:11], s[18:19], v4, s16, 0
	v_add3_u32 v11, v11, v9, v5
	v_lshlrev_b64 v[10:11], 2, v[10:11]
	v_add_co_u32_e32 v10, vcc, v3, v10
	v_addc_co_u32_e32 v11, vcc, v8, v11, vcc
	global_load_dword v5, v[10:11], off
	s_load_dword s9, s[10:11], 0xc
	s_waitcnt lgkmcnt(0)
	s_and_b32 s9, s9, 0xffff
	v_mul_lo_u32 v4, v4, s9
	v_lshl_add_u32 v4, v4, 2, v7
	s_waitcnt vmcnt(0)
	ds_write_b32 v4, v5
	s_branch .LBB57_3
.LBB57_6:
	s_load_dword s2, s[10:11], 0xc
	s_mov_b64 s[0:1], src_shared_base
	s_mov_b32 s13, s1
	s_mov_b32 s17, 0
	s_waitcnt lgkmcnt(0)
	s_and_b32 s16, s2, 0xffff
	s_mov_b64 s[2:3], s[12:13]
.LBB57_7:
	s_mul_i32 s7, s7, s6
	v_add_u32_e32 v0, s7, v6
	v_mov_b32_e32 v1, 0
	v_cmp_gt_i64_e32 vcc, s[30:31], v[0:1]
	s_and_saveexec_b64 s[0:1], vcc
	s_cbranch_execz .LBB57_18
; %bb.8:
	v_mov_b32_e32 v3, v1
	v_cmp_gt_i64_e32 vcc, s[28:29], v[2:3]
	s_and_b64 exec, exec, vcc
	s_cbranch_execz .LBB57_18
; %bb.9:
	s_mul_i32 s0, s8, s27
	s_mul_hi_u32 s1, s8, s26
	s_add_i32 s1, s1, s0
	s_mul_i32 s0, s8, s26
	s_lshl_b64 s[0:1], s[0:1], 2
	s_add_u32 s6, s20, s0
	s_addc_u32 s7, s21, s1
	s_lshl_b64 s[0:1], s[22:23], 2
	s_add_u32 s6, s6, s0
	s_addc_u32 s7, s7, s1
	v_mad_u64_u32 v[4:5], s[0:1], v0, s24, 0
	v_mov_b32_e32 v8, v5
	v_mad_u64_u32 v[0:1], s[0:1], v0, s25, v[8:9]
	v_mov_b32_e32 v5, v0
	v_lshlrev_b64 v[0:1], 2, v[4:5]
	v_mov_b32_e32 v4, s7
	v_add_co_u32_e32 v0, vcc, s6, v0
	v_addc_co_u32_e32 v1, vcc, v4, v1, vcc
	v_lshlrev_b32_e32 v4, 2, v2
	v_add_co_u32_e32 v0, vcc, v0, v4
	v_addc_co_u32_e32 v1, vcc, 0, v1, vcc
	global_load_dword v5, v[0:1], off
	s_load_dword s4, s[4:5], 0x18
	v_cmp_lt_u64_e64 s[0:1], s[28:29], 2
	s_and_b64 vcc, exec, s[0:1]
	s_waitcnt vmcnt(0) lgkmcnt(0)
	v_mul_f32_e32 v7, s4, v5
	s_cbranch_vccnz .LBB57_17
; %bb.10:
	s_add_u32 s0, s28, -1
	s_addc_u32 s1, s29, -1
	s_mul_i32 s4, s16, s1
	s_mul_hi_u32 s5, s16, s0
	s_add_i32 s4, s5, s4
	s_mul_i32 s5, s17, s0
	s_add_i32 s5, s4, s5
	s_mul_i32 s4, s16, s0
	s_lshl_b64 s[4:5], s[4:5], 2
	s_add_u32 s2, s2, s4
	s_addc_u32 s3, s3, s5
	v_mov_b32_e32 v5, s3
	v_add_co_u32_e32 v4, vcc, s2, v4
	s_lshl_b64 s[2:3], s[16:17], 2
	s_sub_u32 s4, 0, s2
	s_subb_u32 s2, 0, s3
	v_lshl_add_u32 v6, v6, 2, 0
	v_addc_co_u32_e32 v5, vcc, 0, v5, vcc
	v_mov_b32_e32 v8, s2
.LBB57_11:                              ; =>This Inner Loop Header: Depth=1
	v_cmp_eq_u64_e32 vcc, s[0:1], v[2:3]
	s_barrier
	s_and_saveexec_b64 s[2:3], vcc
	s_cbranch_execz .LBB57_13
; %bb.12:                               ;   in Loop: Header=BB57_11 Depth=1
	ds_write_b32 v6, v7
.LBB57_13:                              ;   in Loop: Header=BB57_11 Depth=1
	s_or_b64 exec, exec, s[2:3]
	v_cmp_gt_i64_e32 vcc, s[0:1], v[2:3]
	s_waitcnt lgkmcnt(0)
	s_barrier
	s_and_saveexec_b64 s[2:3], vcc
	s_cbranch_execz .LBB57_15
; %bb.14:                               ;   in Loop: Header=BB57_11 Depth=1
	flat_load_dword v9, v[4:5]
	ds_read_b32 v10, v6
	s_waitcnt vmcnt(0) lgkmcnt(0)
	v_fma_f32 v7, -v9, v10, v7
.LBB57_15:                              ;   in Loop: Header=BB57_11 Depth=1
	s_or_b64 exec, exec, s[2:3]
	s_add_u32 s2, s0, -1
	s_addc_u32 s3, s1, -1
	s_add_u32 s0, s0, 1
	s_addc_u32 s1, s1, 0
	v_add_co_u32_e32 v4, vcc, s4, v4
	v_addc_co_u32_e32 v5, vcc, v5, v8, vcc
	v_cmp_lt_u64_e64 s[0:1], s[0:1], 3
	s_and_b64 vcc, exec, s[0:1]
	s_cbranch_vccnz .LBB57_17
; %bb.16:                               ;   in Loop: Header=BB57_11 Depth=1
	s_mov_b64 s[0:1], s[2:3]
	s_branch .LBB57_11
.LBB57_17:
	global_store_dword v[0:1], v7, off
.LBB57_18:
	s_endpgm
	.section	.rodata,"a",@progbits
	.p2align	6, 0x0
	.amdhsa_kernel _ZL40rocblas_trsm_block_backward_substitutionIffPKfPfLb1ELb1ELb1EEv18rocblas_operation_llT0_T1_lllT2_lllib
		.amdhsa_group_segment_fixed_size 0
		.amdhsa_private_segment_fixed_size 0
		.amdhsa_kernarg_size 360
		.amdhsa_user_sgpr_count 6
		.amdhsa_user_sgpr_private_segment_buffer 1
		.amdhsa_user_sgpr_dispatch_ptr 0
		.amdhsa_user_sgpr_queue_ptr 0
		.amdhsa_user_sgpr_kernarg_segment_ptr 1
		.amdhsa_user_sgpr_dispatch_id 0
		.amdhsa_user_sgpr_flat_scratch_init 0
		.amdhsa_user_sgpr_kernarg_preload_length 0
		.amdhsa_user_sgpr_kernarg_preload_offset 0
		.amdhsa_user_sgpr_private_segment_size 0
		.amdhsa_uses_dynamic_stack 0
		.amdhsa_system_sgpr_private_segment_wavefront_offset 0
		.amdhsa_system_sgpr_workgroup_id_x 1
		.amdhsa_system_sgpr_workgroup_id_y 1
		.amdhsa_system_sgpr_workgroup_id_z 1
		.amdhsa_system_sgpr_workgroup_info 0
		.amdhsa_system_vgpr_workitem_id 1
		.amdhsa_next_free_vgpr 12
		.amdhsa_next_free_sgpr 32
		.amdhsa_accum_offset 12
		.amdhsa_reserve_vcc 1
		.amdhsa_reserve_flat_scratch 0
		.amdhsa_float_round_mode_32 0
		.amdhsa_float_round_mode_16_64 0
		.amdhsa_float_denorm_mode_32 3
		.amdhsa_float_denorm_mode_16_64 3
		.amdhsa_dx10_clamp 1
		.amdhsa_ieee_mode 1
		.amdhsa_fp16_overflow 0
		.amdhsa_tg_split 0
		.amdhsa_exception_fp_ieee_invalid_op 0
		.amdhsa_exception_fp_denorm_src 0
		.amdhsa_exception_fp_ieee_div_zero 0
		.amdhsa_exception_fp_ieee_overflow 0
		.amdhsa_exception_fp_ieee_underflow 0
		.amdhsa_exception_fp_ieee_inexact 0
		.amdhsa_exception_int_div_zero 0
	.end_amdhsa_kernel
	.section	.text._ZL40rocblas_trsm_block_backward_substitutionIffPKfPfLb1ELb1ELb1EEv18rocblas_operation_llT0_T1_lllT2_lllib,"axG",@progbits,_ZL40rocblas_trsm_block_backward_substitutionIffPKfPfLb1ELb1ELb1EEv18rocblas_operation_llT0_T1_lllT2_lllib,comdat
.Lfunc_end57:
	.size	_ZL40rocblas_trsm_block_backward_substitutionIffPKfPfLb1ELb1ELb1EEv18rocblas_operation_llT0_T1_lllT2_lllib, .Lfunc_end57-_ZL40rocblas_trsm_block_backward_substitutionIffPKfPfLb1ELb1ELb1EEv18rocblas_operation_llT0_T1_lllT2_lllib
                                        ; -- End function
	.section	.AMDGPU.csdata,"",@progbits
; Kernel info:
; codeLenInByte = 788
; NumSgprs: 36
; NumVgprs: 12
; NumAgprs: 0
; TotalNumVgprs: 12
; ScratchSize: 0
; MemoryBound: 0
; FloatMode: 240
; IeeeMode: 1
; LDSByteSize: 0 bytes/workgroup (compile time only)
; SGPRBlocks: 4
; VGPRBlocks: 1
; NumSGPRsForWavesPerEU: 36
; NumVGPRsForWavesPerEU: 12
; AccumOffset: 12
; Occupancy: 8
; WaveLimiterHint : 1
; COMPUTE_PGM_RSRC2:SCRATCH_EN: 0
; COMPUTE_PGM_RSRC2:USER_SGPR: 6
; COMPUTE_PGM_RSRC2:TRAP_HANDLER: 0
; COMPUTE_PGM_RSRC2:TGID_X_EN: 1
; COMPUTE_PGM_RSRC2:TGID_Y_EN: 1
; COMPUTE_PGM_RSRC2:TGID_Z_EN: 1
; COMPUTE_PGM_RSRC2:TIDIG_COMP_CNT: 1
; COMPUTE_PGM_RSRC3_GFX90A:ACCUM_OFFSET: 2
; COMPUTE_PGM_RSRC3_GFX90A:TG_SPLIT: 0
	.section	.text._ZL39rocblas_trsm_block_forward_substitutionIffPKfPfLb1ELb0ELb0EEv18rocblas_operation_llT0_T1_lllT2_lllib,"axG",@progbits,_ZL39rocblas_trsm_block_forward_substitutionIffPKfPfLb1ELb0ELb0EEv18rocblas_operation_llT0_T1_lllT2_lllib,comdat
	.globl	_ZL39rocblas_trsm_block_forward_substitutionIffPKfPfLb1ELb0ELb0EEv18rocblas_operation_llT0_T1_lllT2_lllib ; -- Begin function _ZL39rocblas_trsm_block_forward_substitutionIffPKfPfLb1ELb0ELb0EEv18rocblas_operation_llT0_T1_lllT2_lllib
	.p2align	8
	.type	_ZL39rocblas_trsm_block_forward_substitutionIffPKfPfLb1ELb0ELb0EEv18rocblas_operation_llT0_T1_lllT2_lllib,@function
_ZL39rocblas_trsm_block_forward_substitutionIffPKfPfLb1ELb0ELb0EEv18rocblas_operation_llT0_T1_lllT2_lllib: ; @_ZL39rocblas_trsm_block_forward_substitutionIffPKfPfLb1ELb0ELb0EEv18rocblas_operation_llT0_T1_lllT2_lllib
; %bb.0:
	s_load_dwordx16 s[12:27], s[4:5], 0x20
	s_load_dword s9, s[4:5], 0x64
	s_load_dwordx4 s[28:31], s[4:5], 0x8
	s_load_dword s6, s[4:5], 0x74
	v_and_b32_e32 v2, 0x3ff, v0
	s_waitcnt lgkmcnt(0)
	s_mul_i32 s2, s8, s19
	s_bitcmp1_b32 s9, 0
	s_mul_hi_u32 s3, s8, s18
	s_cselect_b64 s[0:1], -1, 0
	s_add_i32 s3, s3, s2
	s_mul_i32 s2, s8, s18
	s_lshl_b64 s[2:3], s[2:3], 2
	s_add_u32 s12, s12, s2
	s_addc_u32 s13, s13, s3
	s_lshl_b64 s[2:3], s[14:15], 2
	s_add_u32 s2, s12, s2
	s_addc_u32 s3, s13, s3
	s_add_u32 s14, s4, 0x68
	s_addc_u32 s15, s5, 0
	s_lshr_b32 s6, s6, 16
	v_bfe_u32 v8, v0, 10, 10
	s_bitcmp0_b32 s9, 0
	s_mov_b64 s[12:13], 1
	s_cbranch_scc1 .LBB58_12
; %bb.1:
	s_lshl_b32 s9, s6, 2
	v_cmp_lt_i64_e64 s[12:13], s[28:29], 1
	s_add_i32 s18, s9, 0
	s_mov_b64 s[10:11], 1
	s_and_b64 vcc, exec, s[12:13]
	s_cbranch_vccnz .LBB58_13
; %bb.2:
	v_mad_u64_u32 v[0:1], s[12:13], v2, s16, 0
	v_mov_b32_e32 v4, v1
	v_mad_u64_u32 v[4:5], s[12:13], v2, s17, v[4:5]
	v_mov_b32_e32 v1, v4
	v_mov_b32_e32 v3, 0
	v_lshlrev_b64 v[0:1], 2, v[0:1]
	v_cmp_le_u64_e32 vcc, s[28:29], v[2:3]
	v_mov_b32_e32 v4, s3
	v_add_co_u32_e64 v3, s[2:3], s2, v0
	v_lshlrev_b32_e32 v6, 2, v2
	v_addc_co_u32_e64 v10, s[2:3], v4, v1, s[2:3]
	v_add_co_u32_e64 v0, s[2:3], v3, v6
	v_addc_co_u32_e64 v1, s[2:3], 0, v10, s[2:3]
	v_add_u32_e32 v9, s18, v6
	s_xor_b64 s[2:3], vcc, -1
	v_pk_mov_b32 v[4:5], s[28:29], s[28:29] op_sel:[0,1]
	s_mov_b32 s12, s6
	v_mov_b32_e32 v6, v8
	s_branch .LBB58_4
.LBB58_3:                               ;   in Loop: Header=BB58_4 Depth=1
	s_or_b64 exec, exec, s[34:35]
	s_ashr_i32 s13, s12, 31
	v_cmp_ge_i64_e32 vcc, s[12:13], v[4:5]
	v_add_u32_e32 v6, s6, v6
	s_add_i32 s12, s12, s6
	s_cbranch_vccnz .LBB58_13
.LBB58_4:                               ; =>This Inner Loop Header: Depth=1
	v_cmp_gt_i32_e32 vcc, v2, v6
	s_and_b64 s[34:35], s[2:3], vcc
	s_mov_b64 s[16:17], 0
                                        ; implicit-def: $vgpr7
	s_and_saveexec_b64 s[36:37], s[34:35]
	s_xor_b64 s[34:35], exec, s[36:37]
	s_cbranch_execnz .LBB58_7
; %bb.5:                                ;   in Loop: Header=BB58_4 Depth=1
	s_or_saveexec_b64 s[34:35], s[34:35]
	v_mov_b32_e32 v11, v6
	s_xor_b64 exec, exec, s[34:35]
	s_cbranch_execnz .LBB58_8
.LBB58_6:                               ;   in Loop: Header=BB58_4 Depth=1
	s_or_b64 exec, exec, s[34:35]
	s_and_saveexec_b64 s[34:35], s[16:17]
	s_cbranch_execz .LBB58_3
	s_branch .LBB58_11
.LBB58_7:                               ;   in Loop: Header=BB58_4 Depth=1
	s_waitcnt vmcnt(0)
	v_ashrrev_i32_e32 v7, 31, v6
	v_lshlrev_b64 v[12:13], 2, v[6:7]
	v_add_co_u32_e32 v12, vcc, v3, v12
	v_addc_co_u32_e32 v13, vcc, v10, v13, vcc
	global_load_dword v7, v[12:13], off
	s_mov_b64 s[16:17], exec
	s_or_saveexec_b64 s[34:35], s[34:35]
	v_mov_b32_e32 v11, v6
	s_xor_b64 exec, exec, s[34:35]
	s_cbranch_execz .LBB58_6
.LBB58_8:                               ;   in Loop: Header=BB58_4 Depth=1
	v_cmp_eq_u32_e32 vcc, v2, v6
	s_and_b64 s[40:41], s[2:3], vcc
	s_mov_b64 s[38:39], s[16:17]
                                        ; implicit-def: $vgpr7
	s_and_saveexec_b64 s[36:37], s[40:41]
	s_cbranch_execz .LBB58_10
; %bb.9:                                ;   in Loop: Header=BB58_4 Depth=1
	global_load_dword v7, v[0:1], off
	s_waitcnt vmcnt(0)
	v_div_scale_f32 v11, s[38:39], v7, v7, 1.0
	v_rcp_f32_e32 v12, v11
	v_div_scale_f32 v13, vcc, 1.0, v7, 1.0
	s_or_b64 s[38:39], s[16:17], exec
	v_fma_f32 v14, -v11, v12, 1.0
	v_fmac_f32_e32 v12, v14, v12
	v_mul_f32_e32 v14, v13, v12
	v_fma_f32 v15, -v11, v14, v13
	v_fmac_f32_e32 v14, v15, v12
	v_fma_f32 v11, -v11, v14, v13
	v_div_fmas_f32 v11, v11, v12, v14
	v_div_fixup_f32 v7, v11, v7, 1.0
.LBB58_10:                              ;   in Loop: Header=BB58_4 Depth=1
	s_or_b64 exec, exec, s[36:37]
	s_andn2_b64 s[16:17], s[16:17], exec
	s_and_b64 s[36:37], s[38:39], exec
	s_or_b64 s[16:17], s[16:17], s[36:37]
	v_mov_b32_e32 v11, v2
	s_or_b64 exec, exec, s[34:35]
	s_and_saveexec_b64 s[34:35], s[16:17]
	s_cbranch_execz .LBB58_3
.LBB58_11:                              ;   in Loop: Header=BB58_4 Depth=1
	s_load_dword s9, s[14:15], 0xc
	s_waitcnt lgkmcnt(0)
	s_and_b32 s9, s9, 0xffff
	v_mul_lo_u32 v11, v11, s9
	v_lshl_add_u32 v11, v11, 2, v9
	s_waitcnt vmcnt(0)
	ds_write_b32 v11, v7
	s_branch .LBB58_3
.LBB58_12:
	s_mov_b32 s10, s16
	s_mov_b32 s11, s17
	s_branch .LBB58_14
.LBB58_13:
	s_load_dword s9, s[14:15], 0xc
	s_mov_b64 s[2:3], src_shared_base
	s_mov_b32 s19, s3
	s_mov_b32 s13, 0
	s_mov_b64 s[2:3], s[18:19]
	s_waitcnt lgkmcnt(0)
	s_and_b32 s12, s9, 0xffff
.LBB58_14:
	s_mul_i32 s7, s7, s6
	v_add_u32_e32 v0, s7, v8
	v_mov_b32_e32 v1, 0
	v_cmp_gt_i64_e32 vcc, s[30:31], v[0:1]
	s_and_saveexec_b64 s[6:7], vcc
	s_cbranch_execz .LBB58_26
; %bb.15:
	v_mov_b32_e32 v3, v1
	v_cmp_gt_i64_e32 vcc, s[28:29], v[2:3]
	s_and_b64 exec, exec, vcc
	s_cbranch_execz .LBB58_26
; %bb.16:
	s_mul_i32 s6, s8, s27
	s_mul_hi_u32 s7, s8, s26
	s_add_i32 s7, s7, s6
	s_mul_i32 s6, s8, s26
	s_lshl_b64 s[6:7], s[6:7], 2
	s_add_u32 s8, s20, s6
	s_addc_u32 s9, s21, s7
	s_lshl_b64 s[6:7], s[22:23], 2
	s_add_u32 s8, s8, s6
	s_addc_u32 s9, s9, s7
	v_mad_u64_u32 v[4:5], s[6:7], v0, s24, 0
	v_mov_b32_e32 v6, v5
	s_waitcnt vmcnt(0)
	v_mad_u64_u32 v[0:1], s[6:7], v0, s25, v[6:7]
	v_mov_b32_e32 v5, v0
	v_lshlrev_b64 v[0:1], 2, v[4:5]
	v_mov_b32_e32 v4, s9
	v_add_co_u32_e32 v0, vcc, s8, v0
	v_addc_co_u32_e32 v1, vcc, v4, v1, vcc
	v_lshlrev_b32_e32 v4, 2, v2
	v_add_co_u32_e32 v0, vcc, v0, v4
	v_addc_co_u32_e32 v1, vcc, 0, v1, vcc
	global_load_dword v4, v[0:1], off
	s_load_dword s8, s[4:5], 0x18
	v_cmp_lt_u64_e64 s[6:7], s[28:29], 2
	s_add_u32 s4, s28, -1
	s_addc_u32 s5, s29, -1
	s_and_b64 vcc, exec, s[6:7]
	s_waitcnt vmcnt(0) lgkmcnt(0)
	v_mul_f32_e32 v9, s8, v4
	s_cbranch_vccnz .LBB58_23
; %bb.17:
	s_add_u32 s6, s12, s10
	v_mad_u64_u32 v[4:5], s[6:7], s6, v2, 0
	s_addc_u32 s8, s13, s11
	v_mov_b32_e32 v6, v5
	v_mad_u64_u32 v[6:7], s[6:7], s8, v2, v[6:7]
	v_mov_b32_e32 v5, v6
	v_mad_u64_u32 v[6:7], s[6:7], s10, v2, 0
	v_mov_b32_e32 v10, v7
	v_lshlrev_b64 v[4:5], 2, v[4:5]
	v_mad_u64_u32 v[10:11], s[6:7], s11, v2, v[10:11]
	v_mov_b32_e32 v12, s3
	v_add_co_u32_e32 v4, vcc, s2, v4
	v_mov_b32_e32 v7, v10
	v_addc_co_u32_e32 v5, vcc, v12, v5, vcc
	v_lshlrev_b64 v[6:7], 2, v[6:7]
	s_mov_b32 s8, 0
	v_add_co_u32_e32 v6, vcc, s2, v6
	v_lshl_add_u32 v8, v8, 2, 0
	v_addc_co_u32_e32 v7, vcc, v12, v7, vcc
	s_lshl_b32 s14, s12, 2
	s_mov_b64 s[6:7], 0
	v_mov_b32_e32 v10, s8
	s_branch .LBB58_19
.LBB58_18:                              ;   in Loop: Header=BB58_19 Depth=1
	s_or_b64 exec, exec, s[8:9]
	s_add_u32 s6, s6, 1
	s_addc_u32 s7, s7, 0
	v_add_co_u32_e32 v6, vcc, s14, v6
	s_cmp_eq_u64 s[4:5], s[6:7]
	v_addc_co_u32_e32 v7, vcc, v7, v10, vcc
	s_cbranch_scc1 .LBB58_23
.LBB58_19:                              ; =>This Inner Loop Header: Depth=1
	v_cmp_eq_u64_e32 vcc, s[6:7], v[2:3]
	s_barrier
	s_and_saveexec_b64 s[8:9], vcc
	s_cbranch_execz .LBB58_21
; %bb.20:                               ;   in Loop: Header=BB58_19 Depth=1
	flat_load_dword v11, v[4:5]
	s_waitcnt vmcnt(0) lgkmcnt(0)
	v_div_scale_f32 v12, s[16:17], v11, v11, 1.0
	v_rcp_f32_e32 v13, v12
	v_div_scale_f32 v14, vcc, 1.0, v11, 1.0
	v_fma_f32 v15, -v12, v13, 1.0
	v_fmac_f32_e32 v13, v15, v13
	v_mul_f32_e32 v15, v14, v13
	v_fma_f32 v16, -v12, v15, v14
	v_fmac_f32_e32 v15, v16, v13
	v_fma_f32 v12, -v12, v15, v14
	v_div_fmas_f32 v12, v12, v13, v15
	v_div_fixup_f32 v12, v12, v11, 1.0
	v_cndmask_b32_e64 v11, v12, v11, s[0:1]
	v_mul_f32_e32 v9, v9, v11
	ds_write_b32 v8, v9
.LBB58_21:                              ;   in Loop: Header=BB58_19 Depth=1
	s_or_b64 exec, exec, s[8:9]
	v_cmp_lt_u64_e32 vcc, s[6:7], v[2:3]
	s_waitcnt lgkmcnt(0)
	s_barrier
	s_and_saveexec_b64 s[8:9], vcc
	s_cbranch_execz .LBB58_18
; %bb.22:                               ;   in Loop: Header=BB58_19 Depth=1
	flat_load_dword v11, v[6:7]
	ds_read_b32 v12, v8
	s_waitcnt vmcnt(0) lgkmcnt(0)
	v_fma_f32 v9, -v11, v12, v9
	s_branch .LBB58_18
.LBB58_23:
	v_cmp_eq_u64_e32 vcc, s[4:5], v[2:3]
	s_and_saveexec_b64 s[4:5], vcc
	s_cbranch_execz .LBB58_25
; %bb.24:
	s_add_u32 s6, s12, s10
	v_mad_u64_u32 v[4:5], s[6:7], s6, v2, 0
	s_addc_u32 s8, s13, s11
	v_mov_b32_e32 v6, v5
	v_mad_u64_u32 v[2:3], s[6:7], s8, v2, v[6:7]
	v_mov_b32_e32 v5, v2
	v_lshlrev_b64 v[2:3], 2, v[4:5]
	v_mov_b32_e32 v4, s3
	v_add_co_u32_e32 v2, vcc, s2, v2
	v_addc_co_u32_e32 v3, vcc, v4, v3, vcc
	flat_load_dword v2, v[2:3]
	s_waitcnt vmcnt(0) lgkmcnt(0)
	v_div_scale_f32 v3, s[2:3], v2, v2, 1.0
	v_rcp_f32_e32 v4, v3
	v_div_scale_f32 v5, vcc, 1.0, v2, 1.0
	v_fma_f32 v6, -v3, v4, 1.0
	v_fmac_f32_e32 v4, v6, v4
	v_mul_f32_e32 v6, v5, v4
	v_fma_f32 v7, -v3, v6, v5
	v_fmac_f32_e32 v6, v7, v4
	v_fma_f32 v3, -v3, v6, v5
	v_div_fmas_f32 v3, v3, v4, v6
	v_div_fixup_f32 v3, v3, v2, 1.0
	v_cndmask_b32_e64 v2, v3, v2, s[0:1]
	v_mul_f32_e32 v9, v9, v2
.LBB58_25:
	s_or_b64 exec, exec, s[4:5]
	global_store_dword v[0:1], v9, off
.LBB58_26:
	s_endpgm
	.section	.rodata,"a",@progbits
	.p2align	6, 0x0
	.amdhsa_kernel _ZL39rocblas_trsm_block_forward_substitutionIffPKfPfLb1ELb0ELb0EEv18rocblas_operation_llT0_T1_lllT2_lllib
		.amdhsa_group_segment_fixed_size 0
		.amdhsa_private_segment_fixed_size 0
		.amdhsa_kernarg_size 360
		.amdhsa_user_sgpr_count 6
		.amdhsa_user_sgpr_private_segment_buffer 1
		.amdhsa_user_sgpr_dispatch_ptr 0
		.amdhsa_user_sgpr_queue_ptr 0
		.amdhsa_user_sgpr_kernarg_segment_ptr 1
		.amdhsa_user_sgpr_dispatch_id 0
		.amdhsa_user_sgpr_flat_scratch_init 0
		.amdhsa_user_sgpr_kernarg_preload_length 0
		.amdhsa_user_sgpr_kernarg_preload_offset 0
		.amdhsa_user_sgpr_private_segment_size 0
		.amdhsa_uses_dynamic_stack 0
		.amdhsa_system_sgpr_private_segment_wavefront_offset 0
		.amdhsa_system_sgpr_workgroup_id_x 1
		.amdhsa_system_sgpr_workgroup_id_y 1
		.amdhsa_system_sgpr_workgroup_id_z 1
		.amdhsa_system_sgpr_workgroup_info 0
		.amdhsa_system_vgpr_workitem_id 1
		.amdhsa_next_free_vgpr 17
		.amdhsa_next_free_sgpr 42
		.amdhsa_accum_offset 20
		.amdhsa_reserve_vcc 1
		.amdhsa_reserve_flat_scratch 0
		.amdhsa_float_round_mode_32 0
		.amdhsa_float_round_mode_16_64 0
		.amdhsa_float_denorm_mode_32 3
		.amdhsa_float_denorm_mode_16_64 3
		.amdhsa_dx10_clamp 1
		.amdhsa_ieee_mode 1
		.amdhsa_fp16_overflow 0
		.amdhsa_tg_split 0
		.amdhsa_exception_fp_ieee_invalid_op 0
		.amdhsa_exception_fp_denorm_src 0
		.amdhsa_exception_fp_ieee_div_zero 0
		.amdhsa_exception_fp_ieee_overflow 0
		.amdhsa_exception_fp_ieee_underflow 0
		.amdhsa_exception_fp_ieee_inexact 0
		.amdhsa_exception_int_div_zero 0
	.end_amdhsa_kernel
	.section	.text._ZL39rocblas_trsm_block_forward_substitutionIffPKfPfLb1ELb0ELb0EEv18rocblas_operation_llT0_T1_lllT2_lllib,"axG",@progbits,_ZL39rocblas_trsm_block_forward_substitutionIffPKfPfLb1ELb0ELb0EEv18rocblas_operation_llT0_T1_lllT2_lllib,comdat
.Lfunc_end58:
	.size	_ZL39rocblas_trsm_block_forward_substitutionIffPKfPfLb1ELb0ELb0EEv18rocblas_operation_llT0_T1_lllT2_lllib, .Lfunc_end58-_ZL39rocblas_trsm_block_forward_substitutionIffPKfPfLb1ELb0ELb0EEv18rocblas_operation_llT0_T1_lllT2_lllib
                                        ; -- End function
	.section	.AMDGPU.csdata,"",@progbits
; Kernel info:
; codeLenInByte = 1324
; NumSgprs: 46
; NumVgprs: 17
; NumAgprs: 0
; TotalNumVgprs: 17
; ScratchSize: 0
; MemoryBound: 0
; FloatMode: 240
; IeeeMode: 1
; LDSByteSize: 0 bytes/workgroup (compile time only)
; SGPRBlocks: 5
; VGPRBlocks: 2
; NumSGPRsForWavesPerEU: 46
; NumVGPRsForWavesPerEU: 17
; AccumOffset: 20
; Occupancy: 8
; WaveLimiterHint : 1
; COMPUTE_PGM_RSRC2:SCRATCH_EN: 0
; COMPUTE_PGM_RSRC2:USER_SGPR: 6
; COMPUTE_PGM_RSRC2:TRAP_HANDLER: 0
; COMPUTE_PGM_RSRC2:TGID_X_EN: 1
; COMPUTE_PGM_RSRC2:TGID_Y_EN: 1
; COMPUTE_PGM_RSRC2:TGID_Z_EN: 1
; COMPUTE_PGM_RSRC2:TIDIG_COMP_CNT: 1
; COMPUTE_PGM_RSRC3_GFX90A:ACCUM_OFFSET: 4
; COMPUTE_PGM_RSRC3_GFX90A:TG_SPLIT: 0
	.section	.text._ZL40rocblas_trsm_block_backward_substitutionIffPKfPfLb1ELb0ELb0EEv18rocblas_operation_llT0_T1_lllT2_lllib,"axG",@progbits,_ZL40rocblas_trsm_block_backward_substitutionIffPKfPfLb1ELb0ELb0EEv18rocblas_operation_llT0_T1_lllT2_lllib,comdat
	.globl	_ZL40rocblas_trsm_block_backward_substitutionIffPKfPfLb1ELb0ELb0EEv18rocblas_operation_llT0_T1_lllT2_lllib ; -- Begin function _ZL40rocblas_trsm_block_backward_substitutionIffPKfPfLb1ELb0ELb0EEv18rocblas_operation_llT0_T1_lllT2_lllib
	.p2align	8
	.type	_ZL40rocblas_trsm_block_backward_substitutionIffPKfPfLb1ELb0ELb0EEv18rocblas_operation_llT0_T1_lllT2_lllib,@function
_ZL40rocblas_trsm_block_backward_substitutionIffPKfPfLb1ELb0ELb0EEv18rocblas_operation_llT0_T1_lllT2_lllib: ; @_ZL40rocblas_trsm_block_backward_substitutionIffPKfPfLb1ELb0ELb0EEv18rocblas_operation_llT0_T1_lllT2_lllib
; %bb.0:
	s_load_dword s9, s[4:5], 0x64
	s_load_dwordx16 s[12:27], s[4:5], 0x20
	s_load_dwordx4 s[28:31], s[4:5], 0x8
	s_load_dword s6, s[4:5], 0x74
	v_and_b32_e32 v2, 0x3ff, v0
	s_waitcnt lgkmcnt(0)
	s_bitcmp1_b32 s9, 0
	s_mul_i32 s2, s8, s19
	s_mul_hi_u32 s3, s8, s18
	s_cselect_b64 s[0:1], -1, 0
	s_add_i32 s3, s3, s2
	s_mul_i32 s2, s8, s18
	s_lshl_b64 s[2:3], s[2:3], 2
	s_add_u32 s10, s12, s2
	s_addc_u32 s11, s13, s3
	s_lshl_b64 s[2:3], s[14:15], 2
	s_add_u32 s10, s10, s2
	s_addc_u32 s11, s11, s3
	s_add_u32 s12, s4, 0x68
	s_addc_u32 s13, s5, 0
	s_lshr_b32 s6, s6, 16
	s_bitcmp0_b32 s9, 0
	v_bfe_u32 v8, v0, 10, 10
	s_cbranch_scc1 .LBB59_15
; %bb.1:
	s_lshl_b32 s2, s6, 2
	s_add_i32 s14, s2, 0
	v_cmp_lt_i64_e64 s[2:3], s[28:29], 1
	s_and_b64 vcc, exec, s[2:3]
	s_cbranch_vccnz .LBB59_14
; %bb.2:
	v_lshlrev_b32_e32 v0, 2, v2
	v_mov_b32_e32 v3, 0
	v_cmp_le_u64_e64 s[18:19], s[28:29], v[2:3]
	v_cmp_gt_u64_e64 s[2:3], s[28:29], v[2:3]
	v_mov_b32_e32 v1, s11
	v_add_co_u32_e32 v3, vcc, s10, v0
	v_add_u32_e32 v9, s14, v0
	v_addc_co_u32_e32 v10, vcc, 0, v1, vcc
	v_mad_u64_u32 v[0:1], s[10:11], v2, s16, 0
	v_mov_b32_e32 v4, v1
	v_mad_u64_u32 v[4:5], s[10:11], v2, s17, v[4:5]
	v_mov_b32_e32 v1, v4
	v_lshlrev_b64 v[0:1], 2, v[0:1]
	v_add_co_u32_e32 v0, vcc, v3, v0
	v_addc_co_u32_e32 v1, vcc, v10, v1, vcc
	s_xor_b64 s[34:35], s[18:19], -1
	v_pk_mov_b32 v[4:5], s[28:29], s[28:29] op_sel:[0,1]
	s_mov_b32 s36, s6
	v_mov_b32_e32 v6, v8
	s_branch .LBB59_4
.LBB59_3:                               ;   in Loop: Header=BB59_4 Depth=1
	s_or_b64 exec, exec, s[38:39]
	s_ashr_i32 s37, s36, 31
	v_cmp_ge_i64_e32 vcc, s[36:37], v[4:5]
	v_add_u32_e32 v6, s6, v6
	s_add_i32 s36, s36, s6
	s_cbranch_vccnz .LBB59_14
.LBB59_4:                               ; =>This Inner Loop Header: Depth=1
	s_mov_b64 s[10:11], 0
	s_mov_b64 s[40:41], s[18:19]
                                        ; implicit-def: $vgpr11
                                        ; implicit-def: $vgpr7
	s_and_saveexec_b64 s[38:39], s[2:3]
	s_cbranch_execnz .LBB59_7
; %bb.5:                                ;   in Loop: Header=BB59_4 Depth=1
	s_or_b64 exec, exec, s[38:39]
	s_and_saveexec_b64 s[38:39], s[40:41]
	s_cbranch_execnz .LBB59_10
.LBB59_6:                               ;   in Loop: Header=BB59_4 Depth=1
	s_or_b64 exec, exec, s[38:39]
	s_and_saveexec_b64 s[38:39], s[10:11]
	s_cbranch_execz .LBB59_3
	s_branch .LBB59_13
.LBB59_7:                               ;   in Loop: Header=BB59_4 Depth=1
	v_ashrrev_i32_e32 v7, 31, v6
	v_cmp_gt_i64_e32 vcc, s[28:29], v[6:7]
	v_cmp_lt_i32_e64 s[10:11], v2, v6
	s_and_b64 s[44:45], s[10:11], vcc
	s_mov_b64 s[42:43], -1
	s_mov_b64 s[10:11], 0
                                        ; implicit-def: $vgpr11
	s_and_saveexec_b64 s[40:41], s[44:45]
	s_cbranch_execz .LBB59_9
; %bb.8:                                ;   in Loop: Header=BB59_4 Depth=1
	v_mul_lo_u32 v7, v7, s16
	s_waitcnt vmcnt(0)
	v_mul_lo_u32 v11, v6, s17
	v_mad_u64_u32 v[12:13], s[42:43], v6, s16, 0
	v_add3_u32 v13, v13, v11, v7
	v_lshlrev_b64 v[12:13], 2, v[12:13]
	v_add_co_u32_e32 v12, vcc, v3, v12
	v_addc_co_u32_e32 v13, vcc, v10, v13, vcc
	global_load_dword v11, v[12:13], off
	s_mov_b64 s[10:11], exec
	s_xor_b64 s[42:43], exec, -1
.LBB59_9:                               ;   in Loop: Header=BB59_4 Depth=1
	s_or_b64 exec, exec, s[40:41]
	s_andn2_b64 s[40:41], s[18:19], exec
	s_and_b64 s[42:43], s[42:43], exec
	s_and_b64 s[10:11], s[10:11], exec
	s_or_b64 s[40:41], s[40:41], s[42:43]
	v_mov_b32_e32 v7, v6
	s_or_b64 exec, exec, s[38:39]
	s_and_saveexec_b64 s[38:39], s[40:41]
	s_cbranch_execz .LBB59_6
.LBB59_10:                              ;   in Loop: Header=BB59_4 Depth=1
	v_cmp_eq_u32_e32 vcc, v2, v6
	s_and_b64 s[44:45], s[34:35], vcc
	s_mov_b64 s[42:43], s[10:11]
                                        ; implicit-def: $vgpr11
	s_and_saveexec_b64 s[40:41], s[44:45]
	s_cbranch_execz .LBB59_12
; %bb.11:                               ;   in Loop: Header=BB59_4 Depth=1
	global_load_dword v7, v[0:1], off
	s_waitcnt vmcnt(0)
	v_div_scale_f32 v11, s[42:43], v7, v7, 1.0
	v_rcp_f32_e32 v12, v11
	v_div_scale_f32 v13, vcc, 1.0, v7, 1.0
	s_or_b64 s[42:43], s[10:11], exec
	v_fma_f32 v14, -v11, v12, 1.0
	v_fmac_f32_e32 v12, v14, v12
	v_mul_f32_e32 v14, v13, v12
	v_fma_f32 v15, -v11, v14, v13
	v_fmac_f32_e32 v14, v15, v12
	v_fma_f32 v11, -v11, v14, v13
	v_div_fmas_f32 v11, v11, v12, v14
	v_div_fixup_f32 v11, v11, v7, 1.0
.LBB59_12:                              ;   in Loop: Header=BB59_4 Depth=1
	s_or_b64 exec, exec, s[40:41]
	s_andn2_b64 s[10:11], s[10:11], exec
	s_and_b64 s[40:41], s[42:43], exec
	s_or_b64 s[10:11], s[10:11], s[40:41]
	v_mov_b32_e32 v7, v2
	s_or_b64 exec, exec, s[38:39]
	s_and_saveexec_b64 s[38:39], s[10:11]
	s_cbranch_execz .LBB59_3
.LBB59_13:                              ;   in Loop: Header=BB59_4 Depth=1
	s_load_dword s9, s[12:13], 0xc
	s_waitcnt lgkmcnt(0)
	s_and_b32 s9, s9, 0xffff
	v_mul_lo_u32 v7, v7, s9
	v_lshl_add_u32 v7, v7, 2, v9
	s_waitcnt vmcnt(0)
	ds_write_b32 v7, v11
	s_branch .LBB59_3
.LBB59_14:
	s_load_dword s9, s[12:13], 0xc
	s_mov_b64 s[2:3], src_shared_base
	s_mov_b32 s15, s3
	s_mov_b32 s17, 0
	s_mov_b64 s[10:11], s[14:15]
	s_waitcnt lgkmcnt(0)
	s_and_b32 s16, s9, 0xffff
.LBB59_15:
	s_mul_i32 s7, s7, s6
	v_add_u32_e32 v0, s7, v8
	v_mov_b32_e32 v1, 0
	v_cmp_gt_i64_e32 vcc, s[30:31], v[0:1]
	s_and_saveexec_b64 s[2:3], vcc
	s_cbranch_execz .LBB59_28
; %bb.16:
	v_mov_b32_e32 v3, v1
	v_cmp_gt_i64_e32 vcc, s[28:29], v[2:3]
	s_and_b64 exec, exec, vcc
	s_cbranch_execz .LBB59_28
; %bb.17:
	s_mul_i32 s2, s8, s27
	s_mul_hi_u32 s3, s8, s26
	s_add_i32 s3, s3, s2
	s_mul_i32 s2, s8, s26
	s_lshl_b64 s[2:3], s[2:3], 2
	s_add_u32 s6, s20, s2
	s_addc_u32 s7, s21, s3
	s_lshl_b64 s[2:3], s[22:23], 2
	s_add_u32 s6, s6, s2
	s_addc_u32 s7, s7, s3
	v_mad_u64_u32 v[4:5], s[2:3], v2, s24, 0
	v_mov_b32_e32 v6, v5
	v_mad_u64_u32 v[6:7], s[2:3], v2, s25, v[6:7]
	v_mov_b32_e32 v5, v6
	v_lshlrev_b64 v[4:5], 2, v[4:5]
	v_mov_b32_e32 v6, s7
	v_add_co_u32_e32 v4, vcc, s6, v4
	v_addc_co_u32_e32 v5, vcc, v6, v5, vcc
	v_lshlrev_b64 v[0:1], 2, v[0:1]
	v_add_co_u32_e32 v0, vcc, v4, v0
	v_addc_co_u32_e32 v1, vcc, v5, v1, vcc
	global_load_dword v4, v[0:1], off
	s_load_dword s4, s[4:5], 0x18
	v_cmp_lt_u64_e64 s[2:3], s[28:29], 2
	s_and_b64 vcc, exec, s[2:3]
	s_waitcnt vmcnt(0) lgkmcnt(0)
	v_mul_f32_e32 v9, s4, v4
	s_cbranch_vccnz .LBB59_25
; %bb.18:
	v_mad_u64_u32 v[4:5], s[2:3], v2, s16, v[2:3]
	v_mov_b32_e32 v6, v5
	v_mad_u64_u32 v[6:7], s[2:3], v2, s17, v[6:7]
	s_add_u32 s2, s28, -1
	s_addc_u32 s3, s29, -1
	s_mul_i32 s4, s16, s3
	s_mul_hi_u32 s5, s16, s2
	s_add_i32 s4, s5, s4
	s_mul_i32 s5, s17, s2
	v_mov_b32_e32 v5, v6
	s_add_i32 s5, s4, s5
	s_mul_i32 s4, s16, s2
	v_lshlrev_b64 v[4:5], 2, v[4:5]
	s_lshl_b64 s[4:5], s[4:5], 2
	v_mov_b32_e32 v6, s11
	v_add_co_u32_e32 v4, vcc, s10, v4
	s_add_u32 s4, s10, s4
	v_addc_co_u32_e32 v5, vcc, v6, v5, vcc
	v_lshlrev_b32_e32 v6, 2, v2
	s_addc_u32 s5, s11, s5
	v_mov_b32_e32 v7, s5
	v_add_co_u32_e32 v6, vcc, s4, v6
	s_lshl_b64 s[4:5], s[16:17], 2
	s_sub_u32 s6, 0, s4
	s_subb_u32 s4, 0, s5
	v_lshl_add_u32 v8, v8, 2, 0
	v_addc_co_u32_e32 v7, vcc, 0, v7, vcc
	v_mov_b32_e32 v10, s4
.LBB59_19:                              ; =>This Inner Loop Header: Depth=1
	v_cmp_eq_u64_e32 vcc, s[2:3], v[2:3]
	s_barrier
	s_and_saveexec_b64 s[4:5], vcc
	s_cbranch_execz .LBB59_21
; %bb.20:                               ;   in Loop: Header=BB59_19 Depth=1
	flat_load_dword v11, v[4:5]
	s_waitcnt vmcnt(0) lgkmcnt(0)
	v_div_scale_f32 v12, s[8:9], v11, v11, 1.0
	v_rcp_f32_e32 v13, v12
	v_div_scale_f32 v14, vcc, 1.0, v11, 1.0
	v_fma_f32 v15, -v12, v13, 1.0
	v_fmac_f32_e32 v13, v15, v13
	v_mul_f32_e32 v15, v14, v13
	v_fma_f32 v16, -v12, v15, v14
	v_fmac_f32_e32 v15, v16, v13
	v_fma_f32 v12, -v12, v15, v14
	v_div_fmas_f32 v12, v12, v13, v15
	v_div_fixup_f32 v12, v12, v11, 1.0
	v_cndmask_b32_e64 v11, v12, v11, s[0:1]
	v_mul_f32_e32 v9, v9, v11
	ds_write_b32 v8, v9
.LBB59_21:                              ;   in Loop: Header=BB59_19 Depth=1
	s_or_b64 exec, exec, s[4:5]
	v_cmp_gt_i64_e32 vcc, s[2:3], v[2:3]
	s_waitcnt lgkmcnt(0)
	s_barrier
	s_and_saveexec_b64 s[4:5], vcc
	s_cbranch_execz .LBB59_23
; %bb.22:                               ;   in Loop: Header=BB59_19 Depth=1
	flat_load_dword v11, v[6:7]
	ds_read_b32 v12, v8
	s_waitcnt vmcnt(0) lgkmcnt(0)
	v_fma_f32 v9, -v11, v12, v9
.LBB59_23:                              ;   in Loop: Header=BB59_19 Depth=1
	s_or_b64 exec, exec, s[4:5]
	s_add_u32 s4, s2, -1
	s_addc_u32 s5, s3, -1
	s_add_u32 s2, s2, 1
	s_addc_u32 s3, s3, 0
	v_add_co_u32_e32 v6, vcc, s6, v6
	v_addc_co_u32_e32 v7, vcc, v7, v10, vcc
	v_cmp_lt_u64_e64 s[2:3], s[2:3], 3
	s_and_b64 vcc, exec, s[2:3]
	s_cbranch_vccnz .LBB59_25
; %bb.24:                               ;   in Loop: Header=BB59_19 Depth=1
	s_mov_b64 s[2:3], s[4:5]
	s_branch .LBB59_19
.LBB59_25:
	v_cmp_eq_u32_e32 vcc, 0, v2
	s_and_saveexec_b64 s[2:3], vcc
	s_cbranch_execz .LBB59_27
; %bb.26:
	v_mad_u64_u32 v[4:5], s[4:5], v2, s16, v[2:3]
	v_mov_b32_e32 v6, v5
	v_mad_u64_u32 v[2:3], s[4:5], v2, s17, v[6:7]
	v_mov_b32_e32 v5, v2
	v_lshlrev_b64 v[2:3], 2, v[4:5]
	v_mov_b32_e32 v4, s11
	v_add_co_u32_e32 v2, vcc, s10, v2
	v_addc_co_u32_e32 v3, vcc, v4, v3, vcc
	flat_load_dword v2, v[2:3]
	s_waitcnt vmcnt(0) lgkmcnt(0)
	v_div_scale_f32 v3, s[4:5], v2, v2, 1.0
	v_rcp_f32_e32 v4, v3
	v_div_scale_f32 v5, vcc, 1.0, v2, 1.0
	v_fma_f32 v6, -v3, v4, 1.0
	v_fmac_f32_e32 v4, v6, v4
	v_mul_f32_e32 v6, v5, v4
	v_fma_f32 v7, -v3, v6, v5
	v_fmac_f32_e32 v6, v7, v4
	v_fma_f32 v3, -v3, v6, v5
	v_div_fmas_f32 v3, v3, v4, v6
	v_div_fixup_f32 v3, v3, v2, 1.0
	v_cndmask_b32_e64 v2, v3, v2, s[0:1]
	v_mul_f32_e32 v9, v9, v2
.LBB59_27:
	s_or_b64 exec, exec, s[2:3]
	global_store_dword v[0:1], v9, off
.LBB59_28:
	s_endpgm
	.section	.rodata,"a",@progbits
	.p2align	6, 0x0
	.amdhsa_kernel _ZL40rocblas_trsm_block_backward_substitutionIffPKfPfLb1ELb0ELb0EEv18rocblas_operation_llT0_T1_lllT2_lllib
		.amdhsa_group_segment_fixed_size 0
		.amdhsa_private_segment_fixed_size 0
		.amdhsa_kernarg_size 360
		.amdhsa_user_sgpr_count 6
		.amdhsa_user_sgpr_private_segment_buffer 1
		.amdhsa_user_sgpr_dispatch_ptr 0
		.amdhsa_user_sgpr_queue_ptr 0
		.amdhsa_user_sgpr_kernarg_segment_ptr 1
		.amdhsa_user_sgpr_dispatch_id 0
		.amdhsa_user_sgpr_flat_scratch_init 0
		.amdhsa_user_sgpr_kernarg_preload_length 0
		.amdhsa_user_sgpr_kernarg_preload_offset 0
		.amdhsa_user_sgpr_private_segment_size 0
		.amdhsa_uses_dynamic_stack 0
		.amdhsa_system_sgpr_private_segment_wavefront_offset 0
		.amdhsa_system_sgpr_workgroup_id_x 1
		.amdhsa_system_sgpr_workgroup_id_y 1
		.amdhsa_system_sgpr_workgroup_id_z 1
		.amdhsa_system_sgpr_workgroup_info 0
		.amdhsa_system_vgpr_workitem_id 1
		.amdhsa_next_free_vgpr 17
		.amdhsa_next_free_sgpr 46
		.amdhsa_accum_offset 20
		.amdhsa_reserve_vcc 1
		.amdhsa_reserve_flat_scratch 0
		.amdhsa_float_round_mode_32 0
		.amdhsa_float_round_mode_16_64 0
		.amdhsa_float_denorm_mode_32 3
		.amdhsa_float_denorm_mode_16_64 3
		.amdhsa_dx10_clamp 1
		.amdhsa_ieee_mode 1
		.amdhsa_fp16_overflow 0
		.amdhsa_tg_split 0
		.amdhsa_exception_fp_ieee_invalid_op 0
		.amdhsa_exception_fp_denorm_src 0
		.amdhsa_exception_fp_ieee_div_zero 0
		.amdhsa_exception_fp_ieee_overflow 0
		.amdhsa_exception_fp_ieee_underflow 0
		.amdhsa_exception_fp_ieee_inexact 0
		.amdhsa_exception_int_div_zero 0
	.end_amdhsa_kernel
	.section	.text._ZL40rocblas_trsm_block_backward_substitutionIffPKfPfLb1ELb0ELb0EEv18rocblas_operation_llT0_T1_lllT2_lllib,"axG",@progbits,_ZL40rocblas_trsm_block_backward_substitutionIffPKfPfLb1ELb0ELb0EEv18rocblas_operation_llT0_T1_lllT2_lllib,comdat
.Lfunc_end59:
	.size	_ZL40rocblas_trsm_block_backward_substitutionIffPKfPfLb1ELb0ELb0EEv18rocblas_operation_llT0_T1_lllT2_lllib, .Lfunc_end59-_ZL40rocblas_trsm_block_backward_substitutionIffPKfPfLb1ELb0ELb0EEv18rocblas_operation_llT0_T1_lllT2_lllib
                                        ; -- End function
	.section	.AMDGPU.csdata,"",@progbits
; Kernel info:
; codeLenInByte = 1388
; NumSgprs: 50
; NumVgprs: 17
; NumAgprs: 0
; TotalNumVgprs: 17
; ScratchSize: 0
; MemoryBound: 0
; FloatMode: 240
; IeeeMode: 1
; LDSByteSize: 0 bytes/workgroup (compile time only)
; SGPRBlocks: 6
; VGPRBlocks: 2
; NumSGPRsForWavesPerEU: 50
; NumVGPRsForWavesPerEU: 17
; AccumOffset: 20
; Occupancy: 8
; WaveLimiterHint : 1
; COMPUTE_PGM_RSRC2:SCRATCH_EN: 0
; COMPUTE_PGM_RSRC2:USER_SGPR: 6
; COMPUTE_PGM_RSRC2:TRAP_HANDLER: 0
; COMPUTE_PGM_RSRC2:TGID_X_EN: 1
; COMPUTE_PGM_RSRC2:TGID_Y_EN: 1
; COMPUTE_PGM_RSRC2:TGID_Z_EN: 1
; COMPUTE_PGM_RSRC2:TIDIG_COMP_CNT: 1
; COMPUTE_PGM_RSRC3_GFX90A:ACCUM_OFFSET: 4
; COMPUTE_PGM_RSRC3_GFX90A:TG_SPLIT: 0
	.section	.text._ZL39rocblas_trsm_block_forward_substitutionIffPKfPfLb1ELb0ELb1EEv18rocblas_operation_llT0_T1_lllT2_lllib,"axG",@progbits,_ZL39rocblas_trsm_block_forward_substitutionIffPKfPfLb1ELb0ELb1EEv18rocblas_operation_llT0_T1_lllT2_lllib,comdat
	.globl	_ZL39rocblas_trsm_block_forward_substitutionIffPKfPfLb1ELb0ELb1EEv18rocblas_operation_llT0_T1_lllT2_lllib ; -- Begin function _ZL39rocblas_trsm_block_forward_substitutionIffPKfPfLb1ELb0ELb1EEv18rocblas_operation_llT0_T1_lllT2_lllib
	.p2align	8
	.type	_ZL39rocblas_trsm_block_forward_substitutionIffPKfPfLb1ELb0ELb1EEv18rocblas_operation_llT0_T1_lllT2_lllib,@function
_ZL39rocblas_trsm_block_forward_substitutionIffPKfPfLb1ELb0ELb1EEv18rocblas_operation_llT0_T1_lllT2_lllib: ; @_ZL39rocblas_trsm_block_forward_substitutionIffPKfPfLb1ELb0ELb1EEv18rocblas_operation_llT0_T1_lllT2_lllib
; %bb.0:
	s_load_dwordx16 s[12:27], s[4:5], 0x20
	s_load_dwordx4 s[28:31], s[4:5], 0x8
	v_and_b32_e32 v2, 0x3ff, v0
	v_bfe_u32 v6, v0, 10, 10
	s_waitcnt lgkmcnt(0)
	s_mul_i32 s0, s8, s19
	s_mul_hi_u32 s1, s8, s18
	s_add_i32 s1, s1, s0
	s_mul_i32 s0, s8, s18
	s_lshl_b64 s[0:1], s[0:1], 2
	s_add_u32 s6, s12, s0
	s_addc_u32 s9, s13, s1
	s_lshl_b64 s[0:1], s[14:15], 2
	s_add_u32 s10, s6, s0
	s_addc_u32 s11, s9, s1
	s_load_dword s0, s[4:5], 0x64
	s_load_dword s1, s[4:5], 0x74
	s_add_u32 s12, s4, 0x68
	s_addc_u32 s13, s5, 0
	s_waitcnt lgkmcnt(0)
	s_lshr_b32 s6, s1, 16
	s_bitcmp0_b32 s0, 0
	s_mov_b64 s[0:1], 1
	s_cbranch_scc1 .LBB60_6
; %bb.1:
	s_lshl_b32 s0, s6, 2
	s_add_i32 s14, s0, 0
	v_cmp_lt_i64_e64 s[0:1], s[28:29], 1
	s_mov_b64 s[2:3], 1
	s_and_b64 vcc, exec, s[0:1]
	s_cbranch_vccnz .LBB60_7
; %bb.2:
	v_mad_u64_u32 v[0:1], s[18:19], v2, s16, 0
	v_mov_b32_e32 v4, v1
	v_mad_u64_u32 v[4:5], s[16:17], v2, s17, v[4:5]
	v_mov_b32_e32 v1, v4
	v_mov_b32_e32 v3, 0
	v_lshlrev_b64 v[0:1], 2, v[0:1]
	v_cmp_gt_u64_e64 s[0:1], s[28:29], v[2:3]
	v_mov_b32_e32 v4, s11
	v_add_co_u32_e32 v3, vcc, s10, v0
	v_lshl_add_u32 v7, v2, 2, s14
	v_addc_co_u32_e32 v8, vcc, v4, v1, vcc
	s_mov_b32 s10, 0
	v_pk_mov_b32 v[0:1], s[28:29], s[28:29] op_sel:[0,1]
	s_branch .LBB60_4
.LBB60_3:                               ;   in Loop: Header=BB60_4 Depth=1
	s_or_b64 exec, exec, s[16:17]
	s_add_i32 s10, s10, s6
	s_ashr_i32 s11, s10, 31
	v_cmp_ge_i64_e32 vcc, s[10:11], v[0:1]
	s_cbranch_vccnz .LBB60_7
.LBB60_4:                               ; =>This Inner Loop Header: Depth=1
	v_add_u32_e32 v4, s10, v6
	v_cmp_gt_i32_e32 vcc, v2, v4
	s_and_b64 s[18:19], s[0:1], vcc
	s_and_saveexec_b64 s[16:17], s[18:19]
	s_cbranch_execz .LBB60_3
; %bb.5:                                ;   in Loop: Header=BB60_4 Depth=1
	v_ashrrev_i32_e32 v5, 31, v4
	v_lshlrev_b64 v[10:11], 2, v[4:5]
	v_add_co_u32_e32 v10, vcc, v3, v10
	v_addc_co_u32_e32 v11, vcc, v8, v11, vcc
	global_load_dword v5, v[10:11], off
	s_load_dword s9, s[12:13], 0xc
	s_waitcnt lgkmcnt(0)
	s_and_b32 s9, s9, 0xffff
	v_mul_lo_u32 v4, v4, s9
	v_lshl_add_u32 v4, v4, 2, v7
	s_waitcnt vmcnt(0)
	ds_write_b32 v4, v5
	s_branch .LBB60_3
.LBB60_6:
	s_mov_b32 s2, s16
	s_mov_b32 s3, s17
	s_branch .LBB60_8
.LBB60_7:
	s_load_dword s9, s[12:13], 0xc
	s_mov_b64 s[0:1], src_shared_base
	s_mov_b32 s15, s1
	s_mov_b64 s[10:11], s[14:15]
	s_waitcnt lgkmcnt(0)
	s_and_b32 s0, s9, 0xffff
.LBB60_8:
	s_mul_i32 s7, s7, s6
	v_add_u32_e32 v0, s7, v6
	v_mov_b32_e32 v1, 0
	v_cmp_gt_i64_e32 vcc, s[30:31], v[0:1]
	s_and_saveexec_b64 s[6:7], vcc
	s_cbranch_execz .LBB60_18
; %bb.9:
	v_mov_b32_e32 v3, v1
	v_cmp_gt_i64_e32 vcc, s[28:29], v[2:3]
	s_and_b64 exec, exec, vcc
	s_cbranch_execz .LBB60_18
; %bb.10:
	s_mul_i32 s1, s8, s27
	s_mul_hi_u32 s6, s8, s26
	s_add_i32 s7, s6, s1
	s_mul_i32 s6, s8, s26
	s_lshl_b64 s[6:7], s[6:7], 2
	s_add_u32 s1, s20, s6
	s_addc_u32 s8, s21, s7
	s_lshl_b64 s[6:7], s[22:23], 2
	s_add_u32 s1, s1, s6
	s_addc_u32 s8, s8, s7
	v_mad_u64_u32 v[4:5], s[6:7], v0, s24, 0
	v_mov_b32_e32 v8, v5
	v_mad_u64_u32 v[0:1], s[6:7], v0, s25, v[8:9]
	v_mov_b32_e32 v5, v0
	v_lshlrev_b64 v[0:1], 2, v[4:5]
	v_mov_b32_e32 v4, s8
	v_add_co_u32_e32 v0, vcc, s1, v0
	v_addc_co_u32_e32 v1, vcc, v4, v1, vcc
	v_lshlrev_b32_e32 v4, 2, v2
	v_add_co_u32_e32 v0, vcc, v0, v4
	v_addc_co_u32_e32 v1, vcc, 0, v1, vcc
	global_load_dword v4, v[0:1], off
	s_load_dword s1, s[4:5], 0x18
	v_cmp_lt_u64_e64 s[4:5], s[28:29], 2
	s_and_b64 vcc, exec, s[4:5]
	s_waitcnt vmcnt(0) lgkmcnt(0)
	v_mul_f32_e32 v7, s1, v4
	s_cbranch_vccnz .LBB60_17
; %bb.11:
	v_mad_u64_u32 v[4:5], s[6:7], s2, v2, 0
	v_mov_b32_e32 v8, v5
	v_mad_u64_u32 v[8:9], s[2:3], s3, v2, v[8:9]
	v_mov_b32_e32 v5, v8
	v_lshlrev_b64 v[4:5], 2, v[4:5]
	s_mov_b32 s8, 0
	s_add_u32 s4, s28, -1
	v_mov_b32_e32 v8, s11
	v_add_co_u32_e32 v4, vcc, s10, v4
	v_lshl_add_u32 v6, v6, 2, 0
	s_addc_u32 s5, s29, -1
	v_addc_co_u32_e32 v5, vcc, v8, v5, vcc
	s_lshl_b32 s6, s0, 2
	s_mov_b64 s[0:1], 0
	v_mov_b32_e32 v8, s8
	s_branch .LBB60_13
.LBB60_12:                              ;   in Loop: Header=BB60_13 Depth=1
	s_or_b64 exec, exec, s[2:3]
	s_add_u32 s0, s0, 1
	s_addc_u32 s1, s1, 0
	v_add_co_u32_e32 v4, vcc, s6, v4
	s_cmp_eq_u64 s[4:5], s[0:1]
	v_addc_co_u32_e32 v5, vcc, v5, v8, vcc
	s_cbranch_scc1 .LBB60_17
.LBB60_13:                              ; =>This Inner Loop Header: Depth=1
	v_cmp_eq_u64_e32 vcc, s[0:1], v[2:3]
	s_barrier
	s_and_saveexec_b64 s[2:3], vcc
	s_cbranch_execz .LBB60_15
; %bb.14:                               ;   in Loop: Header=BB60_13 Depth=1
	ds_write_b32 v6, v7
.LBB60_15:                              ;   in Loop: Header=BB60_13 Depth=1
	s_or_b64 exec, exec, s[2:3]
	v_cmp_lt_u64_e32 vcc, s[0:1], v[2:3]
	s_waitcnt lgkmcnt(0)
	s_barrier
	s_and_saveexec_b64 s[2:3], vcc
	s_cbranch_execz .LBB60_12
; %bb.16:                               ;   in Loop: Header=BB60_13 Depth=1
	flat_load_dword v9, v[4:5]
	ds_read_b32 v10, v6
	s_waitcnt vmcnt(0) lgkmcnt(0)
	v_fma_f32 v7, -v9, v10, v7
	s_branch .LBB60_12
.LBB60_17:
	global_store_dword v[0:1], v7, off
.LBB60_18:
	s_endpgm
	.section	.rodata,"a",@progbits
	.p2align	6, 0x0
	.amdhsa_kernel _ZL39rocblas_trsm_block_forward_substitutionIffPKfPfLb1ELb0ELb1EEv18rocblas_operation_llT0_T1_lllT2_lllib
		.amdhsa_group_segment_fixed_size 0
		.amdhsa_private_segment_fixed_size 0
		.amdhsa_kernarg_size 360
		.amdhsa_user_sgpr_count 6
		.amdhsa_user_sgpr_private_segment_buffer 1
		.amdhsa_user_sgpr_dispatch_ptr 0
		.amdhsa_user_sgpr_queue_ptr 0
		.amdhsa_user_sgpr_kernarg_segment_ptr 1
		.amdhsa_user_sgpr_dispatch_id 0
		.amdhsa_user_sgpr_flat_scratch_init 0
		.amdhsa_user_sgpr_kernarg_preload_length 0
		.amdhsa_user_sgpr_kernarg_preload_offset 0
		.amdhsa_user_sgpr_private_segment_size 0
		.amdhsa_uses_dynamic_stack 0
		.amdhsa_system_sgpr_private_segment_wavefront_offset 0
		.amdhsa_system_sgpr_workgroup_id_x 1
		.amdhsa_system_sgpr_workgroup_id_y 1
		.amdhsa_system_sgpr_workgroup_id_z 1
		.amdhsa_system_sgpr_workgroup_info 0
		.amdhsa_system_vgpr_workitem_id 1
		.amdhsa_next_free_vgpr 12
		.amdhsa_next_free_sgpr 32
		.amdhsa_accum_offset 12
		.amdhsa_reserve_vcc 1
		.amdhsa_reserve_flat_scratch 0
		.amdhsa_float_round_mode_32 0
		.amdhsa_float_round_mode_16_64 0
		.amdhsa_float_denorm_mode_32 3
		.amdhsa_float_denorm_mode_16_64 3
		.amdhsa_dx10_clamp 1
		.amdhsa_ieee_mode 1
		.amdhsa_fp16_overflow 0
		.amdhsa_tg_split 0
		.amdhsa_exception_fp_ieee_invalid_op 0
		.amdhsa_exception_fp_denorm_src 0
		.amdhsa_exception_fp_ieee_div_zero 0
		.amdhsa_exception_fp_ieee_overflow 0
		.amdhsa_exception_fp_ieee_underflow 0
		.amdhsa_exception_fp_ieee_inexact 0
		.amdhsa_exception_int_div_zero 0
	.end_amdhsa_kernel
	.section	.text._ZL39rocblas_trsm_block_forward_substitutionIffPKfPfLb1ELb0ELb1EEv18rocblas_operation_llT0_T1_lllT2_lllib,"axG",@progbits,_ZL39rocblas_trsm_block_forward_substitutionIffPKfPfLb1ELb0ELb1EEv18rocblas_operation_llT0_T1_lllT2_lllib,comdat
.Lfunc_end60:
	.size	_ZL39rocblas_trsm_block_forward_substitutionIffPKfPfLb1ELb0ELb1EEv18rocblas_operation_llT0_T1_lllT2_lllib, .Lfunc_end60-_ZL39rocblas_trsm_block_forward_substitutionIffPKfPfLb1ELb0ELb1EEv18rocblas_operation_llT0_T1_lllT2_lllib
                                        ; -- End function
	.section	.AMDGPU.csdata,"",@progbits
; Kernel info:
; codeLenInByte = 772
; NumSgprs: 36
; NumVgprs: 12
; NumAgprs: 0
; TotalNumVgprs: 12
; ScratchSize: 0
; MemoryBound: 0
; FloatMode: 240
; IeeeMode: 1
; LDSByteSize: 0 bytes/workgroup (compile time only)
; SGPRBlocks: 4
; VGPRBlocks: 1
; NumSGPRsForWavesPerEU: 36
; NumVGPRsForWavesPerEU: 12
; AccumOffset: 12
; Occupancy: 8
; WaveLimiterHint : 1
; COMPUTE_PGM_RSRC2:SCRATCH_EN: 0
; COMPUTE_PGM_RSRC2:USER_SGPR: 6
; COMPUTE_PGM_RSRC2:TRAP_HANDLER: 0
; COMPUTE_PGM_RSRC2:TGID_X_EN: 1
; COMPUTE_PGM_RSRC2:TGID_Y_EN: 1
; COMPUTE_PGM_RSRC2:TGID_Z_EN: 1
; COMPUTE_PGM_RSRC2:TIDIG_COMP_CNT: 1
; COMPUTE_PGM_RSRC3_GFX90A:ACCUM_OFFSET: 2
; COMPUTE_PGM_RSRC3_GFX90A:TG_SPLIT: 0
	.section	.text._ZL40rocblas_trsm_block_backward_substitutionIffPKfPfLb1ELb0ELb1EEv18rocblas_operation_llT0_T1_lllT2_lllib,"axG",@progbits,_ZL40rocblas_trsm_block_backward_substitutionIffPKfPfLb1ELb0ELb1EEv18rocblas_operation_llT0_T1_lllT2_lllib,comdat
	.globl	_ZL40rocblas_trsm_block_backward_substitutionIffPKfPfLb1ELb0ELb1EEv18rocblas_operation_llT0_T1_lllT2_lllib ; -- Begin function _ZL40rocblas_trsm_block_backward_substitutionIffPKfPfLb1ELb0ELb1EEv18rocblas_operation_llT0_T1_lllT2_lllib
	.p2align	8
	.type	_ZL40rocblas_trsm_block_backward_substitutionIffPKfPfLb1ELb0ELb1EEv18rocblas_operation_llT0_T1_lllT2_lllib,@function
_ZL40rocblas_trsm_block_backward_substitutionIffPKfPfLb1ELb0ELb1EEv18rocblas_operation_llT0_T1_lllT2_lllib: ; @_ZL40rocblas_trsm_block_backward_substitutionIffPKfPfLb1ELb0ELb1EEv18rocblas_operation_llT0_T1_lllT2_lllib
; %bb.0:
	s_load_dwordx16 s[12:27], s[4:5], 0x20
	s_load_dwordx4 s[28:31], s[4:5], 0x8
	v_and_b32_e32 v2, 0x3ff, v0
	v_bfe_u32 v6, v0, 10, 10
	s_waitcnt lgkmcnt(0)
	s_mul_i32 s0, s8, s19
	s_mul_hi_u32 s1, s8, s18
	s_add_i32 s1, s1, s0
	s_mul_i32 s0, s8, s18
	s_lshl_b64 s[0:1], s[0:1], 2
	s_add_u32 s2, s12, s0
	s_addc_u32 s3, s13, s1
	s_lshl_b64 s[0:1], s[14:15], 2
	s_add_u32 s2, s2, s0
	s_load_dword s0, s[4:5], 0x64
	s_load_dword s6, s[4:5], 0x74
	s_addc_u32 s3, s3, s1
	s_add_u32 s10, s4, 0x68
	s_addc_u32 s11, s5, 0
	s_waitcnt lgkmcnt(0)
	s_lshr_b32 s6, s6, 16
	s_bitcmp0_b32 s0, 0
	s_cbranch_scc1 .LBB61_7
; %bb.1:
	s_lshl_b32 s0, s6, 2
	s_add_i32 s12, s0, 0
	v_cmp_lt_i64_e64 s[0:1], s[28:29], 1
	s_and_b64 vcc, exec, s[0:1]
	s_cbranch_vccnz .LBB61_6
; %bb.2:
	v_lshlrev_b32_e32 v0, 2, v2
	v_mov_b32_e32 v3, 0
	v_cmp_gt_u64_e64 s[0:1], s[28:29], v[2:3]
	v_mov_b32_e32 v1, s3
	v_add_co_u32_e32 v3, vcc, s2, v0
	v_add_u32_e32 v7, s12, v0
	s_mov_b32 s14, 0
	v_addc_co_u32_e32 v8, vcc, 0, v1, vcc
	v_pk_mov_b32 v[0:1], s[28:29], s[28:29] op_sel:[0,1]
	s_branch .LBB61_4
.LBB61_3:                               ;   in Loop: Header=BB61_4 Depth=1
	s_or_b64 exec, exec, s[2:3]
	s_add_i32 s14, s14, s6
	s_ashr_i32 s15, s14, 31
	v_cmp_ge_i64_e32 vcc, s[14:15], v[0:1]
	s_cbranch_vccnz .LBB61_6
.LBB61_4:                               ; =>This Inner Loop Header: Depth=1
	v_add_u32_e32 v4, s14, v6
	v_ashrrev_i32_e32 v5, 31, v4
	v_cmp_gt_i64_e32 vcc, s[28:29], v[4:5]
	v_cmp_lt_i32_e64 s[2:3], v2, v4
	s_and_b64 s[2:3], s[2:3], vcc
	s_and_b64 s[18:19], s[0:1], s[2:3]
	s_and_saveexec_b64 s[2:3], s[18:19]
	s_cbranch_execz .LBB61_3
; %bb.5:                                ;   in Loop: Header=BB61_4 Depth=1
	v_mul_lo_u32 v5, v5, s16
	v_mul_lo_u32 v9, v4, s17
	v_mad_u64_u32 v[10:11], s[18:19], v4, s16, 0
	v_add3_u32 v11, v11, v9, v5
	v_lshlrev_b64 v[10:11], 2, v[10:11]
	v_add_co_u32_e32 v10, vcc, v3, v10
	v_addc_co_u32_e32 v11, vcc, v8, v11, vcc
	global_load_dword v5, v[10:11], off
	s_load_dword s9, s[10:11], 0xc
	s_waitcnt lgkmcnt(0)
	s_and_b32 s9, s9, 0xffff
	v_mul_lo_u32 v4, v4, s9
	v_lshl_add_u32 v4, v4, 2, v7
	s_waitcnt vmcnt(0)
	ds_write_b32 v4, v5
	s_branch .LBB61_3
.LBB61_6:
	s_load_dword s2, s[10:11], 0xc
	s_mov_b64 s[0:1], src_shared_base
	s_mov_b32 s13, s1
	s_mov_b32 s17, 0
	s_waitcnt lgkmcnt(0)
	s_and_b32 s16, s2, 0xffff
	s_mov_b64 s[2:3], s[12:13]
.LBB61_7:
	s_mul_i32 s7, s7, s6
	v_add_u32_e32 v0, s7, v6
	v_mov_b32_e32 v1, 0
	v_cmp_gt_i64_e32 vcc, s[30:31], v[0:1]
	s_and_saveexec_b64 s[0:1], vcc
	s_cbranch_execz .LBB61_18
; %bb.8:
	v_mov_b32_e32 v3, v1
	v_cmp_gt_i64_e32 vcc, s[28:29], v[2:3]
	s_and_b64 exec, exec, vcc
	s_cbranch_execz .LBB61_18
; %bb.9:
	s_mul_i32 s0, s8, s27
	s_mul_hi_u32 s1, s8, s26
	s_add_i32 s1, s1, s0
	s_mul_i32 s0, s8, s26
	s_lshl_b64 s[0:1], s[0:1], 2
	s_add_u32 s6, s20, s0
	s_addc_u32 s7, s21, s1
	s_lshl_b64 s[0:1], s[22:23], 2
	s_add_u32 s6, s6, s0
	s_addc_u32 s7, s7, s1
	v_mad_u64_u32 v[4:5], s[0:1], v2, s24, 0
	v_mov_b32_e32 v8, v5
	v_mad_u64_u32 v[8:9], s[0:1], v2, s25, v[8:9]
	v_mov_b32_e32 v5, v8
	v_lshlrev_b64 v[4:5], 2, v[4:5]
	v_mov_b32_e32 v7, s7
	v_add_co_u32_e32 v4, vcc, s6, v4
	v_addc_co_u32_e32 v5, vcc, v7, v5, vcc
	v_lshlrev_b64 v[0:1], 2, v[0:1]
	v_add_co_u32_e32 v0, vcc, v4, v0
	v_addc_co_u32_e32 v1, vcc, v5, v1, vcc
	global_load_dword v4, v[0:1], off
	s_load_dword s4, s[4:5], 0x18
	v_cmp_lt_u64_e64 s[0:1], s[28:29], 2
	s_and_b64 vcc, exec, s[0:1]
	s_waitcnt vmcnt(0) lgkmcnt(0)
	v_mul_f32_e32 v7, s4, v4
	s_cbranch_vccnz .LBB61_17
; %bb.10:
	s_add_u32 s0, s28, -1
	s_addc_u32 s1, s29, -1
	s_mul_i32 s4, s16, s1
	s_mul_hi_u32 s5, s16, s0
	s_add_i32 s4, s5, s4
	s_mul_i32 s5, s17, s0
	s_add_i32 s5, s4, s5
	s_mul_i32 s4, s16, s0
	s_lshl_b64 s[4:5], s[4:5], 2
	s_add_u32 s2, s2, s4
	v_lshlrev_b32_e32 v4, 2, v2
	s_addc_u32 s3, s3, s5
	v_mov_b32_e32 v5, s3
	v_add_co_u32_e32 v4, vcc, s2, v4
	s_lshl_b64 s[2:3], s[16:17], 2
	s_sub_u32 s4, 0, s2
	s_subb_u32 s2, 0, s3
	v_lshl_add_u32 v6, v6, 2, 0
	v_addc_co_u32_e32 v5, vcc, 0, v5, vcc
	v_mov_b32_e32 v8, s2
.LBB61_11:                              ; =>This Inner Loop Header: Depth=1
	v_cmp_eq_u64_e32 vcc, s[0:1], v[2:3]
	s_barrier
	s_and_saveexec_b64 s[2:3], vcc
	s_cbranch_execz .LBB61_13
; %bb.12:                               ;   in Loop: Header=BB61_11 Depth=1
	ds_write_b32 v6, v7
.LBB61_13:                              ;   in Loop: Header=BB61_11 Depth=1
	s_or_b64 exec, exec, s[2:3]
	v_cmp_gt_i64_e32 vcc, s[0:1], v[2:3]
	s_waitcnt lgkmcnt(0)
	s_barrier
	s_and_saveexec_b64 s[2:3], vcc
	s_cbranch_execz .LBB61_15
; %bb.14:                               ;   in Loop: Header=BB61_11 Depth=1
	flat_load_dword v9, v[4:5]
	ds_read_b32 v10, v6
	s_waitcnt vmcnt(0) lgkmcnt(0)
	v_fma_f32 v7, -v9, v10, v7
.LBB61_15:                              ;   in Loop: Header=BB61_11 Depth=1
	s_or_b64 exec, exec, s[2:3]
	s_add_u32 s2, s0, -1
	s_addc_u32 s3, s1, -1
	s_add_u32 s0, s0, 1
	s_addc_u32 s1, s1, 0
	v_add_co_u32_e32 v4, vcc, s4, v4
	v_addc_co_u32_e32 v5, vcc, v5, v8, vcc
	v_cmp_lt_u64_e64 s[0:1], s[0:1], 3
	s_and_b64 vcc, exec, s[0:1]
	s_cbranch_vccnz .LBB61_17
; %bb.16:                               ;   in Loop: Header=BB61_11 Depth=1
	s_mov_b64 s[0:1], s[2:3]
	s_branch .LBB61_11
.LBB61_17:
	global_store_dword v[0:1], v7, off
.LBB61_18:
	s_endpgm
	.section	.rodata,"a",@progbits
	.p2align	6, 0x0
	.amdhsa_kernel _ZL40rocblas_trsm_block_backward_substitutionIffPKfPfLb1ELb0ELb1EEv18rocblas_operation_llT0_T1_lllT2_lllib
		.amdhsa_group_segment_fixed_size 0
		.amdhsa_private_segment_fixed_size 0
		.amdhsa_kernarg_size 360
		.amdhsa_user_sgpr_count 6
		.amdhsa_user_sgpr_private_segment_buffer 1
		.amdhsa_user_sgpr_dispatch_ptr 0
		.amdhsa_user_sgpr_queue_ptr 0
		.amdhsa_user_sgpr_kernarg_segment_ptr 1
		.amdhsa_user_sgpr_dispatch_id 0
		.amdhsa_user_sgpr_flat_scratch_init 0
		.amdhsa_user_sgpr_kernarg_preload_length 0
		.amdhsa_user_sgpr_kernarg_preload_offset 0
		.amdhsa_user_sgpr_private_segment_size 0
		.amdhsa_uses_dynamic_stack 0
		.amdhsa_system_sgpr_private_segment_wavefront_offset 0
		.amdhsa_system_sgpr_workgroup_id_x 1
		.amdhsa_system_sgpr_workgroup_id_y 1
		.amdhsa_system_sgpr_workgroup_id_z 1
		.amdhsa_system_sgpr_workgroup_info 0
		.amdhsa_system_vgpr_workitem_id 1
		.amdhsa_next_free_vgpr 12
		.amdhsa_next_free_sgpr 32
		.amdhsa_accum_offset 12
		.amdhsa_reserve_vcc 1
		.amdhsa_reserve_flat_scratch 0
		.amdhsa_float_round_mode_32 0
		.amdhsa_float_round_mode_16_64 0
		.amdhsa_float_denorm_mode_32 3
		.amdhsa_float_denorm_mode_16_64 3
		.amdhsa_dx10_clamp 1
		.amdhsa_ieee_mode 1
		.amdhsa_fp16_overflow 0
		.amdhsa_tg_split 0
		.amdhsa_exception_fp_ieee_invalid_op 0
		.amdhsa_exception_fp_denorm_src 0
		.amdhsa_exception_fp_ieee_div_zero 0
		.amdhsa_exception_fp_ieee_overflow 0
		.amdhsa_exception_fp_ieee_underflow 0
		.amdhsa_exception_fp_ieee_inexact 0
		.amdhsa_exception_int_div_zero 0
	.end_amdhsa_kernel
	.section	.text._ZL40rocblas_trsm_block_backward_substitutionIffPKfPfLb1ELb0ELb1EEv18rocblas_operation_llT0_T1_lllT2_lllib,"axG",@progbits,_ZL40rocblas_trsm_block_backward_substitutionIffPKfPfLb1ELb0ELb1EEv18rocblas_operation_llT0_T1_lllT2_lllib,comdat
.Lfunc_end61:
	.size	_ZL40rocblas_trsm_block_backward_substitutionIffPKfPfLb1ELb0ELb1EEv18rocblas_operation_llT0_T1_lllT2_lllib, .Lfunc_end61-_ZL40rocblas_trsm_block_backward_substitutionIffPKfPfLb1ELb0ELb1EEv18rocblas_operation_llT0_T1_lllT2_lllib
                                        ; -- End function
	.section	.AMDGPU.csdata,"",@progbits
; Kernel info:
; codeLenInByte = 796
; NumSgprs: 36
; NumVgprs: 12
; NumAgprs: 0
; TotalNumVgprs: 12
; ScratchSize: 0
; MemoryBound: 0
; FloatMode: 240
; IeeeMode: 1
; LDSByteSize: 0 bytes/workgroup (compile time only)
; SGPRBlocks: 4
; VGPRBlocks: 1
; NumSGPRsForWavesPerEU: 36
; NumVGPRsForWavesPerEU: 12
; AccumOffset: 12
; Occupancy: 8
; WaveLimiterHint : 1
; COMPUTE_PGM_RSRC2:SCRATCH_EN: 0
; COMPUTE_PGM_RSRC2:USER_SGPR: 6
; COMPUTE_PGM_RSRC2:TRAP_HANDLER: 0
; COMPUTE_PGM_RSRC2:TGID_X_EN: 1
; COMPUTE_PGM_RSRC2:TGID_Y_EN: 1
; COMPUTE_PGM_RSRC2:TGID_Z_EN: 1
; COMPUTE_PGM_RSRC2:TIDIG_COMP_CNT: 1
; COMPUTE_PGM_RSRC3_GFX90A:ACCUM_OFFSET: 2
; COMPUTE_PGM_RSRC3_GFX90A:TG_SPLIT: 0
	.section	.text._ZL26setup_batched_array_kernelILi128EfEvPT0_lPS1_,"axG",@progbits,_ZL26setup_batched_array_kernelILi128EfEvPT0_lPS1_,comdat
	.globl	_ZL26setup_batched_array_kernelILi128EfEvPT0_lPS1_ ; -- Begin function _ZL26setup_batched_array_kernelILi128EfEvPT0_lPS1_
	.p2align	8
	.type	_ZL26setup_batched_array_kernelILi128EfEvPT0_lPS1_,@function
_ZL26setup_batched_array_kernelILi128EfEvPT0_lPS1_: ; @_ZL26setup_batched_array_kernelILi128EfEvPT0_lPS1_
; %bb.0:
	s_load_dwordx4 s[0:3], s[4:5], 0x0
	s_mov_b32 s7, 0
	s_load_dwordx2 s[4:5], s[4:5], 0x10
	v_mov_b32_e32 v2, 0
	s_waitcnt lgkmcnt(0)
	s_mul_i32 s3, s6, s3
	s_mul_hi_u32 s8, s6, s2
	s_add_i32 s3, s8, s3
	s_mul_i32 s2, s6, s2
	s_lshl_b64 s[2:3], s[2:3], 2
	s_add_u32 s0, s0, s2
	s_addc_u32 s1, s1, s3
	s_lshl_b64 s[2:3], s[6:7], 3
	s_add_u32 s2, s4, s2
	s_addc_u32 s3, s5, s3
	v_pk_mov_b32 v[0:1], s[0:1], s[0:1] op_sel:[0,1]
	global_store_dwordx2 v2, v[0:1], s[2:3]
	s_endpgm
	.section	.rodata,"a",@progbits
	.p2align	6, 0x0
	.amdhsa_kernel _ZL26setup_batched_array_kernelILi128EfEvPT0_lPS1_
		.amdhsa_group_segment_fixed_size 0
		.amdhsa_private_segment_fixed_size 0
		.amdhsa_kernarg_size 24
		.amdhsa_user_sgpr_count 6
		.amdhsa_user_sgpr_private_segment_buffer 1
		.amdhsa_user_sgpr_dispatch_ptr 0
		.amdhsa_user_sgpr_queue_ptr 0
		.amdhsa_user_sgpr_kernarg_segment_ptr 1
		.amdhsa_user_sgpr_dispatch_id 0
		.amdhsa_user_sgpr_flat_scratch_init 0
		.amdhsa_user_sgpr_kernarg_preload_length 0
		.amdhsa_user_sgpr_kernarg_preload_offset 0
		.amdhsa_user_sgpr_private_segment_size 0
		.amdhsa_uses_dynamic_stack 0
		.amdhsa_system_sgpr_private_segment_wavefront_offset 0
		.amdhsa_system_sgpr_workgroup_id_x 1
		.amdhsa_system_sgpr_workgroup_id_y 0
		.amdhsa_system_sgpr_workgroup_id_z 0
		.amdhsa_system_sgpr_workgroup_info 0
		.amdhsa_system_vgpr_workitem_id 0
		.amdhsa_next_free_vgpr 3
		.amdhsa_next_free_sgpr 9
		.amdhsa_accum_offset 4
		.amdhsa_reserve_vcc 0
		.amdhsa_reserve_flat_scratch 0
		.amdhsa_float_round_mode_32 0
		.amdhsa_float_round_mode_16_64 0
		.amdhsa_float_denorm_mode_32 3
		.amdhsa_float_denorm_mode_16_64 3
		.amdhsa_dx10_clamp 1
		.amdhsa_ieee_mode 1
		.amdhsa_fp16_overflow 0
		.amdhsa_tg_split 0
		.amdhsa_exception_fp_ieee_invalid_op 0
		.amdhsa_exception_fp_denorm_src 0
		.amdhsa_exception_fp_ieee_div_zero 0
		.amdhsa_exception_fp_ieee_overflow 0
		.amdhsa_exception_fp_ieee_underflow 0
		.amdhsa_exception_fp_ieee_inexact 0
		.amdhsa_exception_int_div_zero 0
	.end_amdhsa_kernel
	.section	.text._ZL26setup_batched_array_kernelILi128EfEvPT0_lPS1_,"axG",@progbits,_ZL26setup_batched_array_kernelILi128EfEvPT0_lPS1_,comdat
.Lfunc_end62:
	.size	_ZL26setup_batched_array_kernelILi128EfEvPT0_lPS1_, .Lfunc_end62-_ZL26setup_batched_array_kernelILi128EfEvPT0_lPS1_
                                        ; -- End function
	.section	.AMDGPU.csdata,"",@progbits
; Kernel info:
; codeLenInByte = 88
; NumSgprs: 13
; NumVgprs: 3
; NumAgprs: 0
; TotalNumVgprs: 3
; ScratchSize: 0
; MemoryBound: 0
; FloatMode: 240
; IeeeMode: 1
; LDSByteSize: 0 bytes/workgroup (compile time only)
; SGPRBlocks: 1
; VGPRBlocks: 0
; NumSGPRsForWavesPerEU: 13
; NumVGPRsForWavesPerEU: 3
; AccumOffset: 4
; Occupancy: 8
; WaveLimiterHint : 0
; COMPUTE_PGM_RSRC2:SCRATCH_EN: 0
; COMPUTE_PGM_RSRC2:USER_SGPR: 6
; COMPUTE_PGM_RSRC2:TRAP_HANDLER: 0
; COMPUTE_PGM_RSRC2:TGID_X_EN: 1
; COMPUTE_PGM_RSRC2:TGID_Y_EN: 0
; COMPUTE_PGM_RSRC2:TGID_Z_EN: 0
; COMPUTE_PGM_RSRC2:TIDIG_COMP_CNT: 0
; COMPUTE_PGM_RSRC3_GFX90A:ACCUM_OFFSET: 0
; COMPUTE_PGM_RSRC3_GFX90A:TG_SPLIT: 0
	.section	.text._ZL25rocblas_trtri_trsm_kernelILi128ELi16ELi8EfPKfPfEv13rocblas_fill_17rocblas_diagonal_T3_lilT4_lli,"axG",@progbits,_ZL25rocblas_trtri_trsm_kernelILi128ELi16ELi8EfPKfPfEv13rocblas_fill_17rocblas_diagonal_T3_lilT4_lli,comdat
	.globl	_ZL25rocblas_trtri_trsm_kernelILi128ELi16ELi8EfPKfPfEv13rocblas_fill_17rocblas_diagonal_T3_lilT4_lli ; -- Begin function _ZL25rocblas_trtri_trsm_kernelILi128ELi16ELi8EfPKfPfEv13rocblas_fill_17rocblas_diagonal_T3_lilT4_lli
	.p2align	8
	.type	_ZL25rocblas_trtri_trsm_kernelILi128ELi16ELi8EfPKfPfEv13rocblas_fill_17rocblas_diagonal_T3_lilT4_lli,@function
_ZL25rocblas_trtri_trsm_kernelILi128ELi16ELi8EfPKfPfEv13rocblas_fill_17rocblas_diagonal_T3_lilT4_lli: ; @_ZL25rocblas_trtri_trsm_kernelILi128ELi16ELi8EfPKfPfEv13rocblas_fill_17rocblas_diagonal_T3_lilT4_lli
; %bb.0:
	v_cmp_gt_u32_e64 s[0:1], 16, v0
	v_cmp_lt_u32_e64 s[8:9], 15, v0
	v_cmp_gt_u32_e64 s[2:3], 32, v0
	v_cmp_lt_u32_e32 vcc, 31, v0
	v_mov_b32_e32 v2, v0
	s_and_saveexec_b64 s[10:11], s[8:9]
	s_cbranch_execz .LBB63_6
; %bb.1:
                                        ; implicit-def: $vgpr2
	s_and_saveexec_b64 s[8:9], vcc
	s_xor_b64 s[8:9], exec, s[8:9]
; %bb.2:
	v_subrev_u32_e32 v2, 32, v0
; %bb.3:
	s_andn2_saveexec_b64 s[8:9], s[8:9]
; %bb.4:
	v_add_u32_e32 v2, -16, v0
; %bb.5:
	s_or_b64 exec, exec, s[8:9]
.LBB63_6:
	s_or_b64 exec, exec, s[10:11]
	s_load_dword s18, s[4:5], 0x18
	s_load_dwordx2 s[16:17], s[4:5], 0x0
	s_load_dwordx4 s[20:23], s[4:5], 0x8
	s_load_dwordx8 s[8:15], s[4:5], 0x20
	s_lshl_b32 s24, s6, 1
	s_waitcnt lgkmcnt(0)
	s_ashr_i32 s19, s18, 31
	s_lshl_b64 s[4:5], s[18:19], 4
	s_add_u32 s27, s4, 16
	s_addc_u32 s28, s5, 0
	s_mul_i32 s25, s28, s24
	s_mul_hi_u32 s26, s27, s24
	s_add_i32 s31, s26, s25
	s_mul_i32 s9, s7, s9
	s_mul_hi_u32 s25, s7, s8
	s_add_i32 s9, s25, s9
	s_mul_i32 s8, s7, s8
	s_lshl_b64 s[8:9], s[8:9], 2
	s_mul_i32 s30, s27, s24
	s_add_u32 s20, s20, s8
	s_addc_u32 s21, s21, s9
	s_lshl_b64 s[8:9], s[30:31], 2
	s_add_u32 s20, s20, s8
	s_addc_u32 s21, s21, s9
	s_lshl_b64 s[8:9], s[22:23], 2
	s_add_u32 s25, s20, s8
	v_mov_b32_e32 v1, 0xc00
	s_addc_u32 s26, s21, s9
	v_cndmask_b32_e64 v1, 0, v1, s[2:3]
	v_mov_b32_e32 v6, 0x800
	s_and_saveexec_b64 s[8:9], vcc
	s_xor_b64 s[8:9], exec, s[8:9]
	s_cbranch_execz .LBB63_13
; %bb.7:
	v_cmp_gt_u32_e32 vcc, 48, v0
	s_and_saveexec_b64 s[20:21], vcc
	s_cbranch_execz .LBB63_12
; %bb.8:
	v_mov_b32_e32 v3, 0
	s_cmpk_eq_i32 s16, 0x7a
	s_mov_b64 s[22:23], -1
	v_lshlrev_b64 v[4:5], 2, v[2:3]
	s_cbranch_scc1 .LBB63_10
; %bb.9:
	s_lshl_b64 s[22:23], s[18:19], 6
	s_add_u32 s22, s25, s22
	s_addc_u32 s23, s26, s23
	v_mov_b32_e32 v3, s23
	v_add_co_u32_e32 v8, vcc, s22, v4
	v_addc_co_u32_e32 v9, vcc, v3, v5, vcc
	v_mad_i64_i32 v[10:11], s[22:23], s18, 60, v[8:9]
	s_lshl_b64 s[22:23], s[18:19], 2
	global_load_dword v3, v[10:11], off
	v_mov_b32_e32 v7, s23
	v_subrev_co_u32_e32 v10, vcc, s22, v10
	v_subb_co_u32_e32 v11, vcc, v11, v7, vcc
	global_load_dword v12, v[10:11], off
	v_subrev_co_u32_e32 v10, vcc, s22, v10
	v_subb_co_u32_e32 v11, vcc, v11, v7, vcc
	global_load_dword v13, v[10:11], off
	;; [unrolled: 3-line block ×14, first 2 shown]
	global_load_dword v25, v[10:11], off
	v_lshlrev_b32_e32 v8, 2, v2
	s_mov_b64 s[22:23], 0
	s_waitcnt vmcnt(14)
	ds_write2_b32 v8, v12, v3 offset0:224 offset1:240
	s_waitcnt vmcnt(12)
	ds_write2_b32 v8, v14, v13 offset0:192 offset1:208
	s_waitcnt vmcnt(10)
	ds_write2_b32 v8, v16, v15 offset0:160 offset1:176
	s_waitcnt vmcnt(8)
	ds_write2_b32 v8, v18, v17 offset0:128 offset1:144
	s_waitcnt vmcnt(6)
	ds_write2_b32 v8, v20, v19 offset0:96 offset1:112
	s_waitcnt vmcnt(4)
	ds_write2_b32 v8, v22, v21 offset0:64 offset1:80
	s_waitcnt vmcnt(2)
	ds_write2_b32 v8, v24, v23 offset0:32 offset1:48
	s_waitcnt vmcnt(0)
	ds_write2_b32 v8, v7, v25 offset1:16
.LBB63_10:
	s_andn2_b64 vcc, exec, s[22:23]
	s_cbranch_vccnz .LBB63_12
; %bb.11:
	v_mov_b32_e32 v3, s26
	v_add_co_u32_e32 v4, vcc, s25, v4
	v_addc_co_u32_e32 v5, vcc, v3, v5, vcc
	s_lshl_b64 s[22:23], s[18:19], 2
	v_mov_b32_e32 v3, s23
	v_add_co_u32_e32 v8, vcc, s22, v4
	v_addc_co_u32_e32 v9, vcc, v5, v3, vcc
	global_load_dword v7, v[4:5], off offset:64
	global_load_dword v10, v[8:9], off offset:64
	v_add_co_u32_e32 v4, vcc, s22, v8
	v_addc_co_u32_e32 v5, vcc, v9, v3, vcc
	global_load_dword v8, v[4:5], off offset:64
	v_add_co_u32_e32 v4, vcc, s22, v4
	v_addc_co_u32_e32 v5, vcc, v5, v3, vcc
	;; [unrolled: 3-line block ×14, first 2 shown]
	global_load_dword v3, v[4:5], off offset:64
	v_lshlrev_b32_e32 v4, 2, v2
	s_waitcnt vmcnt(14)
	ds_write2_b32 v4, v7, v10 offset1:16
	s_waitcnt vmcnt(12)
	ds_write2_b32 v4, v8, v9 offset0:32 offset1:48
	s_waitcnt vmcnt(10)
	ds_write2_b32 v4, v11, v12 offset0:64 offset1:80
	;; [unrolled: 2-line block ×7, first 2 shown]
.LBB63_12:
	s_or_b64 exec, exec, s[20:21]
.LBB63_13:
	s_or_saveexec_b64 s[8:9], s[8:9]
	v_cndmask_b32_e64 v8, v1, v6, s[0:1]
	s_xor_b64 exec, exec, s[8:9]
	s_cbranch_execz .LBB63_80
; %bb.14:
	v_mov_b32_e32 v1, s28
	v_cndmask_b32_e64 v5, v1, 0, s[0:1]
	v_mov_b32_e32 v1, s27
	v_cndmask_b32_e64 v4, v1, 0, s[0:1]
	s_mov_b64 s[20:21], -1
	s_cmpk_eq_i32 s16, 0x7a
	v_lshlrev_b64 v[4:5], 2, v[4:5]
	s_cbranch_scc1 .LBB63_48
; %bb.15:
	v_mov_b32_e32 v3, 0
	v_mov_b32_e32 v1, s26
	v_add_co_u32_e32 v9, vcc, s25, v4
	v_addc_co_u32_e32 v1, vcc, v1, v5, vcc
	v_lshlrev_b64 v[6:7], 2, v[2:3]
	v_add_co_u32_e32 v6, vcc, v9, v6
	v_addc_co_u32_e32 v7, vcc, v1, v7, vcc
	v_cmp_gt_u32_e32 vcc, 16, v2
	v_mov_b32_e32 v1, 0
	s_and_saveexec_b64 s[20:21], vcc
	s_cbranch_execz .LBB63_17
; %bb.16:
	v_mad_i64_i32 v[10:11], s[22:23], s18, 60, v[6:7]
	global_load_dword v1, v[10:11], off
.LBB63_17:
	s_or_b64 exec, exec, s[20:21]
	v_sub_u32_e32 v9, 0xffffff10, v2
	v_lshl_add_u32 v9, v9, 2, v8
	v_cmp_gt_u32_e32 vcc, 15, v2
	s_waitcnt vmcnt(0)
	ds_write_b32 v9, v1 offset:1020
	s_and_saveexec_b64 s[20:21], vcc
	s_cbranch_execz .LBB63_19
; %bb.18:
	v_mad_i64_i32 v[10:11], s[22:23], s18, 56, v[6:7]
	global_load_dword v3, v[10:11], off
.LBB63_19:
	s_or_b64 exec, exec, s[20:21]
	v_sub_u32_e32 v1, 0xffffff20, v2
	v_lshl_add_u32 v1, v1, 2, v8
	s_waitcnt vmcnt(0)
	ds_write_b32 v1, v3 offset:1020
	v_cmp_gt_u32_e32 vcc, 14, v2
	v_mov_b32_e32 v1, 0
	v_mov_b32_e32 v3, 0
	s_and_saveexec_b64 s[20:21], vcc
	s_cbranch_execz .LBB63_21
; %bb.20:
	v_mad_i64_i32 v[10:11], s[22:23], s18, 52, v[6:7]
	global_load_dword v3, v[10:11], off
.LBB63_21:
	s_or_b64 exec, exec, s[20:21]
	v_sub_u32_e32 v9, 0xffffff30, v2
	v_lshl_add_u32 v9, v9, 2, v8
	v_cmp_gt_u32_e32 vcc, 13, v2
	s_waitcnt vmcnt(0)
	ds_write_b32 v9, v3 offset:1020
	s_and_saveexec_b64 s[20:21], vcc
	s_cbranch_execz .LBB63_23
; %bb.22:
	v_mad_i64_i32 v[10:11], s[22:23], s18, 48, v[6:7]
	global_load_dword v1, v[10:11], off
.LBB63_23:
	s_or_b64 exec, exec, s[20:21]
	v_sub_u32_e32 v3, 0xffffff40, v2
	v_lshl_add_u32 v3, v3, 2, v8
	s_waitcnt vmcnt(0)
	ds_write_b32 v3, v1 offset:1020
	v_cmp_gt_u32_e32 vcc, 12, v2
	v_mov_b32_e32 v1, 0
	;; [unrolled: 26-line block ×3, first 2 shown]
	v_mov_b32_e32 v3, 0
	s_and_saveexec_b64 s[20:21], vcc
	s_cbranch_execz .LBB63_29
; %bb.28:
	v_mad_i64_i32 v[10:11], s[22:23], s18, 36, v[6:7]
	global_load_dword v3, v[10:11], off
.LBB63_29:
	s_or_b64 exec, exec, s[20:21]
	v_sub_u32_e32 v9, 0xffffff70, v2
	v_lshl_add_u32 v9, v9, 2, v8
	v_cmp_gt_u32_e32 vcc, 9, v2
	s_waitcnt vmcnt(0)
	ds_write_b32 v9, v3 offset:1020
	s_and_saveexec_b64 s[20:21], vcc
	s_cbranch_execz .LBB63_31
; %bb.30:
	s_lshl_b64 s[22:23], s[18:19], 5
	v_mov_b32_e32 v1, s23
	v_add_co_u32_e32 v10, vcc, s22, v6
	v_addc_co_u32_e32 v11, vcc, v7, v1, vcc
	global_load_dword v1, v[10:11], off
.LBB63_31:
	s_or_b64 exec, exec, s[20:21]
	v_sub_u32_e32 v3, 0xffffff80, v2
	v_lshl_add_u32 v3, v3, 2, v8
	s_waitcnt vmcnt(0)
	ds_write_b32 v3, v1 offset:1020
	v_cmp_gt_u32_e32 vcc, 8, v2
	v_mov_b32_e32 v1, 0
	v_mov_b32_e32 v3, 0
	s_and_saveexec_b64 s[20:21], vcc
	s_cbranch_execz .LBB63_33
; %bb.32:
	v_mad_i64_i32 v[10:11], s[22:23], s18, 28, v[6:7]
	global_load_dword v3, v[10:11], off
.LBB63_33:
	s_or_b64 exec, exec, s[20:21]
	v_sub_u32_e32 v9, 0xffffff90, v2
	v_lshl_add_u32 v9, v9, 2, v8
	v_cmp_gt_u32_e32 vcc, 7, v2
	s_waitcnt vmcnt(0)
	ds_write_b32 v9, v3 offset:1020
	s_and_saveexec_b64 s[20:21], vcc
	s_cbranch_execz .LBB63_35
; %bb.34:
	v_mad_i64_i32 v[10:11], s[22:23], s18, 24, v[6:7]
	global_load_dword v1, v[10:11], off
.LBB63_35:
	s_or_b64 exec, exec, s[20:21]
	v_sub_u32_e32 v3, 0xffffffa0, v2
	v_lshl_add_u32 v3, v3, 2, v8
	s_waitcnt vmcnt(0)
	ds_write_b32 v3, v1 offset:1020
	v_cmp_gt_u32_e32 vcc, 6, v2
	v_mov_b32_e32 v1, 0
	v_mov_b32_e32 v3, 0
	s_and_saveexec_b64 s[20:21], vcc
	s_cbranch_execz .LBB63_37
; %bb.36:
	v_mad_i64_i32 v[10:11], s[22:23], s18, 20, v[6:7]
	global_load_dword v3, v[10:11], off
.LBB63_37:
	s_or_b64 exec, exec, s[20:21]
	v_sub_u32_e32 v9, 0xffffffb0, v2
	v_lshl_add_u32 v9, v9, 2, v8
	v_cmp_gt_u32_e32 vcc, 5, v2
	s_waitcnt vmcnt(0)
	ds_write_b32 v9, v3 offset:1020
	s_and_saveexec_b64 s[20:21], vcc
	s_cbranch_execz .LBB63_39
; %bb.38:
	v_mov_b32_e32 v1, s5
	v_add_co_u32_e32 v10, vcc, s4, v6
	v_addc_co_u32_e32 v11, vcc, v7, v1, vcc
	global_load_dword v1, v[10:11], off
.LBB63_39:
	s_or_b64 exec, exec, s[20:21]
	v_sub_u32_e32 v3, 0xffffffc0, v2
	v_lshl_add_u32 v3, v3, 2, v8
	s_waitcnt vmcnt(0)
	ds_write_b32 v3, v1 offset:1020
	v_cmp_gt_u32_e32 vcc, 4, v2
	v_mov_b32_e32 v1, 0
	v_mov_b32_e32 v3, 0
	s_and_saveexec_b64 s[20:21], vcc
	s_cbranch_execz .LBB63_41
; %bb.40:
	v_mad_i64_i32 v[10:11], s[22:23], s18, 12, v[6:7]
	global_load_dword v3, v[10:11], off
.LBB63_41:
	s_or_b64 exec, exec, s[20:21]
	v_sub_u32_e32 v9, 0xffffffd0, v2
	v_lshl_add_u32 v9, v9, 2, v8
	v_cmp_gt_u32_e32 vcc, 3, v2
	s_waitcnt vmcnt(0)
	ds_write_b32 v9, v3 offset:1020
	s_and_saveexec_b64 s[20:21], vcc
	s_cbranch_execz .LBB63_43
; %bb.42:
	s_lshl_b64 s[22:23], s[18:19], 3
	v_mov_b32_e32 v1, s23
	v_add_co_u32_e32 v10, vcc, s22, v6
	v_addc_co_u32_e32 v11, vcc, v7, v1, vcc
	global_load_dword v1, v[10:11], off
.LBB63_43:
	s_or_b64 exec, exec, s[20:21]
	v_sub_u32_e32 v3, 0xffffffe0, v2
	v_lshl_add_u32 v3, v3, 2, v8
	s_waitcnt vmcnt(0)
	ds_write_b32 v3, v1 offset:1020
	v_cmp_gt_u32_e32 vcc, 2, v2
	v_mov_b32_e32 v1, 0
	v_mov_b32_e32 v3, 0
	s_and_saveexec_b64 s[20:21], vcc
	s_cbranch_execz .LBB63_45
; %bb.44:
	s_lshl_b64 s[22:23], s[18:19], 2
	v_mov_b32_e32 v3, s23
	v_add_co_u32_e32 v10, vcc, s22, v6
	v_addc_co_u32_e32 v11, vcc, v7, v3, vcc
	global_load_dword v3, v[10:11], off
.LBB63_45:
	s_or_b64 exec, exec, s[20:21]
	v_sub_u32_e32 v9, -16, v2
	v_lshl_add_u32 v9, v9, 2, v8
	v_cmp_eq_u32_e32 vcc, 0, v2
	s_waitcnt vmcnt(0)
	ds_write_b32 v9, v3 offset:1020
	s_and_saveexec_b64 s[20:21], vcc
	s_cbranch_execz .LBB63_47
; %bb.46:
	global_load_dword v1, v[6:7], off
.LBB63_47:
	s_or_b64 exec, exec, s[20:21]
	v_lshlrev_b32_e32 v3, 2, v2
	v_sub_u32_e32 v3, v8, v3
	s_mov_b64 s[20:21], 0
	s_waitcnt vmcnt(0)
	ds_write_b32 v3, v1 offset:1020
.LBB63_48:
	s_and_b64 vcc, exec, s[20:21]
	s_cbranch_vccz .LBB63_80
; %bb.49:
	v_mov_b32_e32 v3, 0
	v_mov_b32_e32 v1, s26
	v_add_co_u32_e32 v6, vcc, s25, v4
	v_addc_co_u32_e32 v1, vcc, v1, v5, vcc
	v_lshlrev_b64 v[4:5], 2, v[2:3]
	v_add_co_u32_e32 v4, vcc, v6, v4
	v_addc_co_u32_e32 v5, vcc, v1, v5, vcc
	global_load_dword v6, v[4:5], off
	v_lshl_add_u32 v1, v2, 2, v8
	v_cmp_ne_u32_e32 vcc, 0, v2
	s_waitcnt vmcnt(0)
	ds_write_b32 v1, v6
	v_mov_b32_e32 v6, 0
	s_and_saveexec_b64 s[20:21], vcc
	s_cbranch_execz .LBB63_51
; %bb.50:
	s_lshl_b64 s[22:23], s[18:19], 2
	v_mov_b32_e32 v7, s23
	v_add_co_u32_e32 v6, vcc, s22, v4
	v_addc_co_u32_e32 v7, vcc, v5, v7, vcc
	global_load_dword v6, v[6:7], off
.LBB63_51:
	s_or_b64 exec, exec, s[20:21]
	v_cmp_lt_u32_e32 vcc, 1, v2
	s_waitcnt vmcnt(0)
	ds_write_b32 v1, v6 offset:64
	s_and_saveexec_b64 s[20:21], vcc
	s_cbranch_execz .LBB63_53
; %bb.52:
	s_lshl_b64 s[22:23], s[18:19], 3
	v_mov_b32_e32 v3, s23
	v_add_co_u32_e32 v6, vcc, s22, v4
	v_addc_co_u32_e32 v7, vcc, v5, v3, vcc
	global_load_dword v3, v[6:7], off
.LBB63_53:
	s_or_b64 exec, exec, s[20:21]
	s_waitcnt vmcnt(0)
	ds_write_b32 v1, v3 offset:128
	v_cmp_lt_u32_e32 vcc, 2, v2
	v_mov_b32_e32 v3, 0
	v_mov_b32_e32 v6, 0
	s_and_saveexec_b64 s[20:21], vcc
	s_cbranch_execz .LBB63_55
; %bb.54:
	v_mad_i64_i32 v[6:7], s[22:23], s18, 12, v[4:5]
	global_load_dword v6, v[6:7], off
.LBB63_55:
	s_or_b64 exec, exec, s[20:21]
	v_cmp_lt_u32_e32 vcc, 3, v2
	s_waitcnt vmcnt(0)
	ds_write_b32 v1, v6 offset:192
	s_and_saveexec_b64 s[20:21], vcc
	s_cbranch_execz .LBB63_57
; %bb.56:
	v_mov_b32_e32 v3, s5
	v_add_co_u32_e32 v6, vcc, s4, v4
	v_addc_co_u32_e32 v7, vcc, v5, v3, vcc
	global_load_dword v3, v[6:7], off
.LBB63_57:
	s_or_b64 exec, exec, s[20:21]
	s_waitcnt vmcnt(0)
	ds_write_b32 v1, v3 offset:256
	v_cmp_lt_u32_e32 vcc, 4, v2
	v_mov_b32_e32 v3, 0
	v_mov_b32_e32 v6, 0
	s_and_saveexec_b64 s[4:5], vcc
	s_cbranch_execz .LBB63_59
; %bb.58:
	v_mad_i64_i32 v[6:7], s[20:21], s18, 20, v[4:5]
	global_load_dword v6, v[6:7], off
.LBB63_59:
	s_or_b64 exec, exec, s[4:5]
	v_cmp_lt_u32_e32 vcc, 5, v2
	s_waitcnt vmcnt(0)
	ds_write_b32 v1, v6 offset:320
	s_and_saveexec_b64 s[4:5], vcc
	s_cbranch_execz .LBB63_61
; %bb.60:
	v_mad_i64_i32 v[6:7], s[20:21], s18, 24, v[4:5]
	global_load_dword v3, v[6:7], off
.LBB63_61:
	s_or_b64 exec, exec, s[4:5]
	s_waitcnt vmcnt(0)
	ds_write_b32 v1, v3 offset:384
	v_cmp_lt_u32_e32 vcc, 6, v2
	v_mov_b32_e32 v3, 0
	v_mov_b32_e32 v6, 0
	s_and_saveexec_b64 s[4:5], vcc
	s_cbranch_execz .LBB63_63
; %bb.62:
	v_mad_i64_i32 v[6:7], s[20:21], s18, 28, v[4:5]
	global_load_dword v6, v[6:7], off
.LBB63_63:
	s_or_b64 exec, exec, s[4:5]
	v_cmp_lt_u32_e32 vcc, 7, v2
	s_waitcnt vmcnt(0)
	ds_write_b32 v1, v6 offset:448
	s_and_saveexec_b64 s[4:5], vcc
	s_cbranch_execz .LBB63_65
; %bb.64:
	s_lshl_b64 s[20:21], s[18:19], 5
	v_mov_b32_e32 v3, s21
	v_add_co_u32_e32 v6, vcc, s20, v4
	v_addc_co_u32_e32 v7, vcc, v5, v3, vcc
	global_load_dword v3, v[6:7], off
.LBB63_65:
	s_or_b64 exec, exec, s[4:5]
	s_waitcnt vmcnt(0)
	ds_write_b32 v1, v3 offset:512
	v_cmp_lt_u32_e32 vcc, 8, v2
	v_mov_b32_e32 v3, 0
	v_mov_b32_e32 v6, 0
	s_and_saveexec_b64 s[4:5], vcc
	s_cbranch_execz .LBB63_67
; %bb.66:
	v_mad_i64_i32 v[6:7], s[20:21], s18, 36, v[4:5]
	global_load_dword v6, v[6:7], off
.LBB63_67:
	s_or_b64 exec, exec, s[4:5]
	v_cmp_lt_u32_e32 vcc, 9, v2
	s_waitcnt vmcnt(0)
	ds_write_b32 v1, v6 offset:576
	s_and_saveexec_b64 s[4:5], vcc
	s_cbranch_execz .LBB63_69
; %bb.68:
	v_mad_i64_i32 v[6:7], s[20:21], s18, 40, v[4:5]
	global_load_dword v3, v[6:7], off
.LBB63_69:
	s_or_b64 exec, exec, s[4:5]
	s_waitcnt vmcnt(0)
	ds_write_b32 v1, v3 offset:640
	v_cmp_lt_u32_e32 vcc, 10, v2
	v_mov_b32_e32 v3, 0
	v_mov_b32_e32 v6, 0
	s_and_saveexec_b64 s[4:5], vcc
	s_cbranch_execz .LBB63_71
; %bb.70:
	v_mad_i64_i32 v[6:7], s[20:21], s18, 44, v[4:5]
	global_load_dword v6, v[6:7], off
.LBB63_71:
	s_or_b64 exec, exec, s[4:5]
	v_cmp_lt_u32_e32 vcc, 11, v2
	s_waitcnt vmcnt(0)
	ds_write_b32 v1, v6 offset:704
	s_and_saveexec_b64 s[4:5], vcc
	s_cbranch_execz .LBB63_73
; %bb.72:
	v_mad_i64_i32 v[6:7], s[20:21], s18, 48, v[4:5]
	global_load_dword v3, v[6:7], off
.LBB63_73:
	;; [unrolled: 22-line block ×3, first 2 shown]
	s_or_b64 exec, exec, s[4:5]
	s_waitcnt vmcnt(0)
	ds_write_b32 v1, v3 offset:896
	v_cmp_lt_u32_e32 vcc, 14, v2
	v_mov_b32_e32 v3, 0
	s_and_saveexec_b64 s[4:5], vcc
	s_cbranch_execz .LBB63_79
; %bb.78:
	v_mad_i64_i32 v[4:5], s[18:19], s18, 60, v[4:5]
	global_load_dword v3, v[4:5], off
.LBB63_79:
	s_or_b64 exec, exec, s[4:5]
	s_waitcnt vmcnt(0)
	ds_write_b32 v1, v3 offset:960
.LBB63_80:
	s_or_b64 exec, exec, s[8:9]
	s_waitcnt lgkmcnt(0)
	s_barrier
	s_and_saveexec_b64 s[4:5], s[2:3]
	s_cbranch_execz .LBB63_86
; %bb.81:
	v_mul_i32_i24_e32 v1, 0x44, v2
	s_cmpk_eq_i32 s17, 0x84
	v_mov_b32_e32 v4, 1.0
	v_add_u32_e32 v1, v8, v1
	s_cbranch_scc1 .LBB63_85
; %bb.82:
	ds_read_b32 v3, v1
	v_mov_b32_e32 v4, 1.0
	s_waitcnt lgkmcnt(0)
	v_cmp_neq_f32_e32 vcc, 0, v3
	s_and_saveexec_b64 s[8:9], vcc
; %bb.83:
	v_div_scale_f32 v4, s[18:19], v3, v3, 1.0
	v_rcp_f32_e32 v5, v4
	v_div_scale_f32 v6, vcc, 1.0, v3, 1.0
	v_fma_f32 v7, -v4, v5, 1.0
	v_fmac_f32_e32 v5, v7, v5
	v_mul_f32_e32 v7, v6, v5
	v_fma_f32 v9, -v4, v7, v6
	v_fmac_f32_e32 v7, v9, v5
	v_fma_f32 v4, -v4, v7, v6
	v_div_fmas_f32 v4, v4, v5, v7
	v_div_fixup_f32 v4, v4, v3, 1.0
; %bb.84:
	s_or_b64 exec, exec, s[8:9]
.LBB63_85:
	ds_write_b32 v1, v4
.LBB63_86:
	s_or_b64 exec, exec, s[4:5]
	s_waitcnt lgkmcnt(0)
	s_barrier
	s_and_saveexec_b64 s[4:5], s[2:3]
	s_cbranch_execz .LBB63_108
; %bb.87:
	v_lshl_add_u32 v1, v2, 2, v8
	v_mul_i32_i24_e32 v7, 0x44, v2
	v_add_u32_e32 v3, 64, v1
	v_add_u32_e32 v4, 4, v8
	;; [unrolled: 1-line block ×4, first 2 shown]
	s_mov_b32 s17, 0
	v_add_u32_e32 v7, v8, v7
	s_branch .LBB63_89
.LBB63_88:                              ;   in Loop: Header=BB63_89 Depth=1
	v_add_u32_e32 v3, 0x80, v3
	v_add_u32_e32 v4, 8, v4
	;; [unrolled: 1-line block ×3, first 2 shown]
	s_cmp_eq_u32 s17, 16
	v_add_u32_e32 v6, 0x80, v6
	s_cbranch_scc1 .LBB63_108
.LBB63_89:                              ; =>This Loop Header: Depth=1
                                        ;     Child Loop BB63_95 Depth 2
                                        ;     Child Loop BB63_104 Depth 2
	v_cmp_ge_i32_e32 vcc, s17, v2
                                        ; implicit-def: $sgpr18
                                        ; implicit-def: $sgpr19
	s_and_saveexec_b64 s[8:9], vcc
	s_xor_b64 s[8:9], exec, s[8:9]
; %bb.90:                               ;   in Loop: Header=BB63_89 Depth=1
	s_lshl_b32 s19, s17, 6
	s_mov_b32 s18, 0
; %bb.91:                               ;   in Loop: Header=BB63_89 Depth=1
	s_or_saveexec_b64 s[8:9], s[8:9]
	v_mov_b32_e32 v11, s19
	v_mov_b32_e32 v9, s18
	s_xor_b64 exec, exec, s[8:9]
	s_cbranch_execz .LBB63_93
; %bb.92:                               ;   in Loop: Header=BB63_89 Depth=1
	s_mul_i32 s18, s17, 0x44
	v_add_u32_e32 v9, s18, v8
	s_lshl_b32 s18, s17, 6
	v_add_u32_e32 v10, s18, v1
	ds_read_b32 v10, v10
	ds_read_b32 v9, v9
	v_mov_b32_e32 v11, s18
	s_waitcnt lgkmcnt(0)
	v_fma_f32 v9, v10, v9, 0
.LBB63_93:                              ;   in Loop: Header=BB63_89 Depth=1
	s_or_b64 exec, exec, s[8:9]
	s_or_b32 s18, s17, 1
	v_add_u32_e32 v10, v4, v11
	v_add_u32_e32 v11, v1, v11
	v_mov_b32_e32 v12, v3
	s_mov_b32 s19, s18
	s_branch .LBB63_95
.LBB63_94:                              ;   in Loop: Header=BB63_95 Depth=2
	s_or_b64 exec, exec, s[8:9]
	s_add_i32 s8, s19, 1
	v_add_u32_e32 v12, 64, v12
	v_add_u32_e32 v10, 4, v10
	s_cmp_gt_u32 s19, 14
	s_mov_b32 s19, s8
	s_cbranch_scc1 .LBB63_99
.LBB63_95:                              ;   Parent Loop BB63_89 Depth=1
                                        ; =>  This Inner Loop Header: Depth=2
	v_cmp_eq_u32_e32 vcc, s19, v2
	s_and_saveexec_b64 s[8:9], vcc
	s_cbranch_execz .LBB63_97
; %bb.96:                               ;   in Loop: Header=BB63_95 Depth=2
	ds_read_b32 v13, v7
	s_waitcnt lgkmcnt(0)
	v_mul_f32_e64 v13, -v9, v13
	ds_write_b32 v11, v13
.LBB63_97:                              ;   in Loop: Header=BB63_95 Depth=2
	s_or_b64 exec, exec, s[8:9]
	v_cmp_lt_i32_e32 vcc, s19, v2
	s_and_saveexec_b64 s[8:9], vcc
	s_cbranch_execz .LBB63_94
; %bb.98:                               ;   in Loop: Header=BB63_95 Depth=2
	ds_read_b32 v13, v12
	ds_read_b32 v14, v10
	s_waitcnt lgkmcnt(0)
	v_fmac_f32_e32 v9, v13, v14
	s_branch .LBB63_94
.LBB63_99:                              ;   in Loop: Header=BB63_89 Depth=1
	v_cmp_lt_i32_e32 vcc, s18, v2
	v_mov_b32_e32 v9, 0
	s_and_saveexec_b64 s[8:9], vcc
	s_cbranch_execz .LBB63_101
; %bb.100:                              ;   in Loop: Header=BB63_89 Depth=1
	s_mul_i32 s19, s18, 0x44
	v_add_u32_e32 v9, s19, v8
	v_lshl_add_u32 v10, s18, 6, v1
	ds_read_b32 v10, v10
	ds_read_b32 v9, v9
	s_waitcnt lgkmcnt(0)
	v_fma_f32 v9, v10, v9, 0
.LBB63_101:                             ;   in Loop: Header=BB63_89 Depth=1
	s_or_b64 exec, exec, s[8:9]
	s_add_i32 s17, s17, 2
	s_cmp_gt_u32 s18, 14
	s_cbranch_scc1 .LBB63_88
; %bb.102:                              ;   in Loop: Header=BB63_89 Depth=1
	s_lshl_b32 s8, s18, 6
	v_add_u32_e32 v10, s8, v1
	v_mov_b32_e32 v11, v6
	v_mov_b32_e32 v12, v5
	s_mov_b32 s18, s17
	s_branch .LBB63_104
.LBB63_103:                             ;   in Loop: Header=BB63_104 Depth=2
	s_or_b64 exec, exec, s[8:9]
	s_add_i32 s8, s18, 1
	v_add_u32_e32 v12, 4, v12
	v_add_u32_e32 v11, 64, v11
	s_cmp_lt_u32 s18, 15
	s_mov_b32 s18, s8
	s_cbranch_scc0 .LBB63_88
.LBB63_104:                             ;   Parent Loop BB63_89 Depth=1
                                        ; =>  This Inner Loop Header: Depth=2
	v_cmp_eq_u32_e32 vcc, s18, v2
	s_and_saveexec_b64 s[8:9], vcc
	s_cbranch_execz .LBB63_106
; %bb.105:                              ;   in Loop: Header=BB63_104 Depth=2
	ds_read_b32 v13, v7
	s_waitcnt lgkmcnt(0)
	v_mul_f32_e64 v13, -v9, v13
	ds_write_b32 v10, v13
.LBB63_106:                             ;   in Loop: Header=BB63_104 Depth=2
	s_or_b64 exec, exec, s[8:9]
	v_cmp_lt_i32_e32 vcc, s18, v2
	s_and_saveexec_b64 s[8:9], vcc
	s_cbranch_execz .LBB63_103
; %bb.107:                              ;   in Loop: Header=BB63_104 Depth=2
	ds_read_b32 v13, v11
	ds_read_b32 v14, v12
	s_waitcnt lgkmcnt(0)
	v_fmac_f32_e32 v9, v13, v14
	s_branch .LBB63_103
.LBB63_108:
	s_or_b64 exec, exec, s[4:5]
	s_cmpk_lg_i32 s16, 0x7a
	s_cselect_b64 s[16:17], -1, 0
	s_movk_i32 s4, 0x100
	v_and_b32_e32 v1, 15, v0
	v_lshrrev_b32_e32 v3, 4, v0
	v_cmp_gt_u32_e64 s[4:5], s4, v0
	s_and_b64 vcc, exec, s[16:17]
	s_waitcnt lgkmcnt(0)
	s_barrier
	s_cbranch_vccz .LBB63_119
; %bb.109:
	s_mov_b64 s[8:9], 0
	s_mov_b64 s[20:21], 0
                                        ; implicit-def: $vgpr4
	s_and_saveexec_b64 s[18:19], s[4:5]
	s_cbranch_execz .LBB63_120
; %bb.110:
	v_and_b32_e32 v4, 0xf0, v0
	s_movk_i32 s20, 0x6f
	v_xor_b32_e32 v5, 0xff, v4
	v_add_u32_e32 v7, 1, v3
	v_cmp_lt_u32_e32 vcc, s20, v0
	v_mov_b32_e32 v4, 0
	v_mov_b32_e32 v6, 0
	s_and_saveexec_b64 s[20:21], vcc
	s_cbranch_execz .LBB63_114
; %bb.111:
	v_mov_b32_e32 v4, 0xbe4
	v_and_b32_e32 v6, 24, v7
	v_lshlrev_b32_e32 v9, 2, v1
	v_lshl_add_u32 v10, v5, 2, v4
	s_mov_b32 s25, 0
	s_mov_b64 s[22:23], 0
	v_mov_b32_e32 v4, 0
.LBB63_112:                             ; =>This Inner Loop Header: Depth=1
	ds_read2_b32 v[20:21], v9 offset1:16
	ds_read_b128 v[12:15], v10
	ds_read_b128 v[16:19], v10 offset:16
	ds_read2_b32 v[22:23], v9 offset0:32 offset1:48
	ds_read2_b32 v[24:25], v9 offset0:64 offset1:80
	;; [unrolled: 1-line block ×3, first 2 shown]
	s_add_i32 s25, s25, 8
	s_waitcnt lgkmcnt(3)
	v_fmac_f32_e32 v4, v20, v19
	v_fmac_f32_e32 v4, v21, v18
	s_waitcnt lgkmcnt(2)
	v_fmac_f32_e32 v4, v22, v17
	v_fmac_f32_e32 v4, v23, v16
	;; [unrolled: 3-line block ×3, first 2 shown]
	v_cmp_eq_u32_e32 vcc, s25, v6
	s_waitcnt lgkmcnt(0)
	v_fmac_f32_e32 v4, v26, v13
	v_add_u32_e32 v9, 0x200, v9
	v_subrev_u32_e32 v10, 32, v10
	s_or_b64 s[22:23], vcc, s[22:23]
	v_fmac_f32_e32 v4, v27, v12
	s_andn2_b64 exec, exec, s[22:23]
	s_cbranch_execnz .LBB63_112
; %bb.113:
	s_or_b64 exec, exec, s[22:23]
.LBB63_114:
	s_or_b64 exec, exec, s[20:21]
	v_and_b32_e32 v7, 7, v7
	v_cmp_ne_u32_e32 vcc, 0, v7
	s_and_saveexec_b64 s[20:21], vcc
	s_cbranch_execz .LBB63_118
; %bb.115:
	v_lshlrev_b32_e32 v5, 2, v5
	v_lshlrev_b32_e32 v9, 2, v6
	v_sub_u32_e32 v5, v5, v9
	v_lshlrev_b32_e32 v9, 2, v1
	v_add_u32_e32 v5, 0xc00, v5
	v_lshl_or_b32 v6, v6, 6, v9
	s_mov_b64 s[22:23], 0
.LBB63_116:                             ; =>This Inner Loop Header: Depth=1
	ds_read_b32 v9, v6
	ds_read_b32 v10, v5
	v_add_u32_e32 v7, -1, v7
	v_cmp_eq_u32_e32 vcc, 0, v7
	v_add_u32_e32 v5, -4, v5
	v_add_u32_e32 v6, 64, v6
	s_or_b64 s[22:23], vcc, s[22:23]
	s_waitcnt lgkmcnt(0)
	v_fmac_f32_e32 v4, v9, v10
	s_andn2_b64 exec, exec, s[22:23]
	s_cbranch_execnz .LBB63_116
; %bb.117:
	s_or_b64 exec, exec, s[22:23]
.LBB63_118:
	s_or_b64 exec, exec, s[20:21]
	s_mov_b64 s[20:21], exec
	s_or_b64 exec, exec, s[18:19]
	s_and_b64 vcc, exec, s[8:9]
	s_cbranch_vccnz .LBB63_121
	s_branch .LBB63_126
.LBB63_119:
	s_mov_b64 s[20:21], 0
                                        ; implicit-def: $vgpr4
	s_cbranch_execnz .LBB63_121
	s_branch .LBB63_126
.LBB63_120:
	s_or_b64 exec, exec, s[18:19]
	s_and_b64 vcc, exec, s[8:9]
	s_cbranch_vccz .LBB63_126
.LBB63_121:
                                        ; implicit-def: $vgpr4
	s_and_saveexec_b64 s[8:9], s[4:5]
	s_cbranch_execz .LBB63_125
; %bb.122:
	v_lshlrev_b32_e32 v4, 2, v0
	v_and_b32_e32 v4, 0x3c0, v4
	v_lshlrev_b32_e32 v6, 2, v3
	s_movk_i32 s18, 0x800
	v_or3_b32 v6, v4, v6, s18
	v_lshlrev_b32_e32 v4, 2, v1
	v_add_u32_e32 v5, -1, v3
	v_lshl_or_b32 v7, v3, 6, v4
	s_mov_b64 s[18:19], 0
	v_mov_b32_e32 v4, 0
.LBB63_123:                             ; =>This Inner Loop Header: Depth=1
	ds_read_b32 v9, v7
	ds_read_b32 v10, v6
	v_add_u32_e32 v5, 1, v5
	v_cmp_lt_u32_e32 vcc, 14, v5
	v_add_u32_e32 v6, 4, v6
	v_add_u32_e32 v7, 64, v7
	s_or_b64 s[18:19], vcc, s[18:19]
	s_waitcnt lgkmcnt(0)
	v_fmac_f32_e32 v4, v9, v10
	s_andn2_b64 exec, exec, s[18:19]
	s_cbranch_execnz .LBB63_123
; %bb.124:
	s_or_b64 exec, exec, s[18:19]
	s_or_b64 s[20:21], s[20:21], exec
.LBB63_125:
	s_or_b64 exec, exec, s[8:9]
.LBB63_126:
	s_and_saveexec_b64 s[8:9], s[20:21]
	s_cbranch_execz .LBB63_128
; %bb.127:
	v_lshlrev_b32_e32 v5, 2, v0
	ds_write_b32 v5, v4 offset:1024
.LBB63_128:
	s_or_b64 exec, exec, s[8:9]
	s_mul_i32 s15, s7, s15
	s_mul_hi_u32 s19, s7, s14
	s_add_i32 s15, s19, s15
	s_mul_i32 s14, s7, s14
	s_bfe_u32 s8, s6, 0x1d0002
	s_and_b32 s18, s24, 6
	s_lshl_b64 s[14:15], s[14:15], 2
	s_mov_b32 s9, 0
	s_add_u32 s7, s10, s14
	s_addc_u32 s20, s11, s15
	s_mul_i32 s21, s18, 0x2040
	s_lshl_b64 s[18:19], s[8:9], 16
	s_or_b32 s8, s18, s21
	s_add_u32 s7, s7, s8
	s_addc_u32 s20, s20, s19
	s_lshl_b64 s[8:9], s[12:13], 2
	s_add_u32 s7, s7, s8
	s_addc_u32 s24, s20, s9
	s_and_b64 vcc, exec, s[16:17]
	s_waitcnt lgkmcnt(0)
	s_barrier
	s_cbranch_vccz .LBB63_134
; %bb.129:
	s_mov_b64 s[20:21], 0
	s_mov_b64 s[12:13], 0
                                        ; implicit-def: $vgpr4
                                        ; implicit-def: $sgpr25
	s_and_saveexec_b64 s[22:23], s[4:5]
	s_cbranch_execz .LBB63_133
; %bb.130:
	v_lshlrev_b32_e32 v6, 2, v0
	v_xor_b32_e32 v4, 0xff, v1
	v_and_b32_e32 v6, 0x3c0, v6
	v_lshlrev_b32_e32 v7, 2, v1
	s_movk_i32 s12, 0x400
	v_or3_b32 v6, v6, v7, s12
	v_lshlrev_b32_e32 v4, 2, v4
	v_lshlrev_b32_e32 v7, 6, v1
	v_sub_u32_e32 v4, v4, v7
	v_add_u32_e32 v5, -1, v1
	v_or_b32_e32 v7, 0x800, v4
	s_mov_b64 s[12:13], 0
	v_mov_b32_e32 v4, 0
.LBB63_131:                             ; =>This Inner Loop Header: Depth=1
	ds_read_b32 v9, v7
	ds_read_b32 v10, v6
	v_add_u32_e32 v5, 1, v5
	v_cmp_lt_u32_e32 vcc, 14, v5
	v_add_u32_e32 v6, 4, v6
	v_subrev_u32_e32 v7, 64, v7
	s_or_b64 s[12:13], vcc, s[12:13]
	s_waitcnt lgkmcnt(0)
	v_fma_f32 v4, -v9, v10, v4
	s_andn2_b64 exec, exec, s[12:13]
	s_cbranch_execnz .LBB63_131
; %bb.132:
	s_or_b64 exec, exec, s[12:13]
	s_mov_b64 s[12:13], exec
	s_movk_i32 s25, 0x800
.LBB63_133:
	s_or_b64 exec, exec, s[22:23]
	s_and_b64 vcc, exec, s[20:21]
	s_cbranch_vccnz .LBB63_135
	s_branch .LBB63_146
.LBB63_134:
	s_mov_b64 s[12:13], 0
                                        ; implicit-def: $vgpr4
                                        ; implicit-def: $sgpr25
	s_cbranch_execz .LBB63_146
.LBB63_135:
                                        ; implicit-def: $vgpr4
                                        ; implicit-def: $sgpr25
	s_and_saveexec_b64 s[20:21], s[4:5]
	s_cbranch_execz .LBB63_145
; %bb.136:
	v_add_u32_e32 v6, 1, v1
	v_cmp_lt_u32_e32 vcc, 6, v1
	v_mov_b32_e32 v4, 0
	v_mov_b32_e32 v5, 0
	v_lshlrev_b32_e32 v0, 2, v0
	s_and_saveexec_b64 s[4:5], vcc
	s_cbranch_execz .LBB63_140
; %bb.137:
	v_mov_b32_e32 v4, 0xc00
	v_lshl_or_b32 v7, v1, 2, v4
	v_and_b32_e32 v4, 0x3c0, v0
	v_and_b32_e32 v5, 24, v6
	v_or_b32_e32 v9, 0x400, v4
	s_mov_b32 s25, 0
	s_mov_b64 s[22:23], 0
	v_mov_b32_e32 v4, 0
.LBB63_138:                             ; =>This Inner Loop Header: Depth=1
	ds_read2_b32 v[18:19], v7 offset1:16
	ds_read_b128 v[10:13], v9
	ds_read_b128 v[14:17], v9 offset:16
	ds_read2_b32 v[20:21], v7 offset0:32 offset1:48
	ds_read2_b32 v[22:23], v7 offset0:64 offset1:80
	;; [unrolled: 1-line block ×3, first 2 shown]
	s_waitcnt lgkmcnt(4)
	v_fma_f32 v4, -v18, v10, v4
	v_fma_f32 v4, -v19, v11, v4
	s_waitcnt lgkmcnt(2)
	v_fma_f32 v4, -v20, v12, v4
	v_fma_f32 v4, -v21, v13, v4
	s_waitcnt lgkmcnt(1)
	v_fma_f32 v4, -v22, v14, v4
	s_add_i32 s25, s25, 8
	v_fma_f32 v4, -v23, v15, v4
	v_cmp_eq_u32_e32 vcc, s25, v5
	s_waitcnt lgkmcnt(0)
	v_fma_f32 v4, -v24, v16, v4
	v_add_u32_e32 v7, 0x200, v7
	v_add_u32_e32 v9, 32, v9
	s_or_b64 s[22:23], vcc, s[22:23]
	v_fma_f32 v4, -v25, v17, v4
	s_andn2_b64 exec, exec, s[22:23]
	s_cbranch_execnz .LBB63_138
; %bb.139:
	s_or_b64 exec, exec, s[22:23]
.LBB63_140:
	s_or_b64 exec, exec, s[4:5]
	v_and_b32_e32 v6, 7, v6
	v_cmp_ne_u32_e32 vcc, 0, v6
	s_and_saveexec_b64 s[4:5], vcc
	s_cbranch_execz .LBB63_144
; %bb.141:
	v_and_b32_e32 v0, 0x3c0, v0
	v_lshlrev_b32_e32 v7, 2, v5
	s_movk_i32 s22, 0x400
	v_add3_u32 v0, v0, v7, s22
	v_lshlrev_b32_e32 v7, 2, v1
	v_lshl_or_b32 v5, v5, 6, v7
	v_add_u32_e32 v5, 0xc00, v5
	s_mov_b64 s[22:23], 0
.LBB63_142:                             ; =>This Inner Loop Header: Depth=1
	ds_read_b32 v7, v5
	ds_read_b32 v9, v0
	v_add_u32_e32 v6, -1, v6
	v_cmp_eq_u32_e32 vcc, 0, v6
	v_add_u32_e32 v0, 4, v0
	v_add_u32_e32 v5, 64, v5
	s_or_b64 s[22:23], vcc, s[22:23]
	s_waitcnt lgkmcnt(0)
	v_fma_f32 v4, -v7, v9, v4
	s_andn2_b64 exec, exec, s[22:23]
	s_cbranch_execnz .LBB63_142
; %bb.143:
	s_or_b64 exec, exec, s[22:23]
.LBB63_144:
	s_or_b64 exec, exec, s[4:5]
	s_mov_b32 s25, 16
	s_or_b64 s[12:13], s[12:13], exec
.LBB63_145:
	s_or_b64 exec, exec, s[20:21]
.LBB63_146:
	s_and_saveexec_b64 s[4:5], s[12:13]
	s_cbranch_execnz .LBB63_148
; %bb.147:
	s_or_b64 exec, exec, s[4:5]
	s_and_saveexec_b64 s[4:5], s[2:3]
	s_cbranch_execnz .LBB63_149
	s_branch .LBB63_168
.LBB63_148:
	v_lshlrev_b32_e32 v0, 7, v3
	v_or3_b32 v0, v0, s25, v1
	v_mov_b32_e32 v1, 0
	v_lshlrev_b64 v[0:1], 2, v[0:1]
	v_mov_b32_e32 v3, s24
	v_add_co_u32_e32 v0, vcc, s7, v0
	v_addc_co_u32_e32 v1, vcc, v3, v1, vcc
	global_store_dword v[0:1], v4, off
	s_or_b64 exec, exec, s[4:5]
	s_and_saveexec_b64 s[4:5], s[2:3]
	s_cbranch_execz .LBB63_168
.LBB63_149:
	v_mov_b32_e32 v0, 0x810
	v_cndmask_b32_e64 v4, v0, 0, s[0:1]
	s_andn2_b64 vcc, exec, s[16:17]
	s_mov_b64 s[0:1], -1
	s_cbranch_vccnz .LBB63_159
; %bb.150:
	v_cmp_gt_i32_e32 vcc, 16, v2
	s_and_saveexec_b64 s[2:3], vcc
	s_cbranch_execz .LBB63_158
; %bb.151:
	v_lshlrev_b32_e32 v0, 2, v4
	v_mov_b32_e32 v3, 0
	v_mov_b32_e32 v1, s24
	v_add_co_u32_e32 v5, vcc, s7, v0
	v_addc_co_u32_e32 v6, vcc, 0, v1, vcc
	v_lshlrev_b64 v[0:1], 2, v[2:3]
	v_add_co_u32_e32 v3, vcc, v5, v0
	v_addc_co_u32_e32 v5, vcc, v6, v1, vcc
	v_sub_u32_e32 v6, 16, v2
	v_cmp_lt_u32_e32 vcc, 15, v6
	v_cmp_gt_u32_e64 s[0:1], 16, v2
	s_mov_b32 s5, 0
	s_mov_b32 s4, 15
	s_and_b64 s[16:17], vcc, s[0:1]
	s_mov_b64 s[0:1], -1
	v_mov_b32_e32 v0, 15
	s_and_saveexec_b64 s[12:13], s[16:17]
	s_cbranch_execz .LBB63_155
; %bb.152:
	v_and_b32_e32 v7, 30, v6
	v_mov_b32_e32 v1, v2
	v_add_u32_e32 v0, 0x3fc, v8
	s_mov_b32 s20, 14
	s_mov_b64 s[16:17], 0
	v_mov_b32_e32 v9, v7
.LBB63_153:                             ; =>This Inner Loop Header: Depth=1
	s_lshl_b32 s23, s4, 4
	s_lshl_b32 s22, s20, 4
	v_add_lshl_u32 v11, s23, v2, 2
	v_add_lshl_u32 v12, s22, v1, 2
	v_sub_u32_e32 v14, v0, v11
	v_sub_u32_e32 v12, v0, v12
	ds_read_b32 v14, v14
	ds_read_b32 v15, v12
	s_mov_b32 s21, s5
	s_lshl_b64 s[0:1], s[4:5], 9
	v_add_u32_e32 v9, -2, v9
	s_add_i32 s4, s4, -2
	s_lshl_b64 s[22:23], s[20:21], 9
	v_mov_b32_e32 v13, s1
	s_add_i32 s20, s20, -2
	v_cmp_eq_u32_e32 vcc, 0, v9
	v_add_co_u32_e64 v10, s[0:1], s0, v3
	v_addc_co_u32_e64 v11, s[0:1], v5, v13, s[0:1]
	v_mov_b32_e32 v13, s23
	s_or_b64 s[16:17], vcc, s[16:17]
	v_add_co_u32_e32 v12, vcc, s22, v3
	v_addc_co_u32_e32 v13, vcc, v5, v13, vcc
	s_waitcnt lgkmcnt(1)
	global_store_dword v[10:11], v14, off
	s_waitcnt lgkmcnt(0)
	global_store_dword v[12:13], v15, off
	s_andn2_b64 exec, exec, s[16:17]
	s_cbranch_execnz .LBB63_153
; %bb.154:
	s_or_b64 exec, exec, s[16:17]
	v_cmp_ne_u32_e32 vcc, v6, v7
	v_sub_u32_e32 v0, 15, v7
	s_orn2_b64 s[0:1], vcc, exec
.LBB63_155:
	s_or_b64 exec, exec, s[12:13]
	s_and_b64 exec, exec, s[0:1]
	s_cbranch_execz .LBB63_158
; %bb.156:
	v_lshlrev_b32_e32 v1, 6, v0
	v_lshl_add_u32 v1, v2, 2, v1
	v_sub_u32_e32 v1, v8, v1
	v_add_u32_e32 v6, 0x3fc, v1
	s_mov_b64 s[4:5], 0
	v_mov_b32_e32 v1, 0
.LBB63_157:                             ; =>This Inner Loop Header: Depth=1
	ds_read_b32 v7, v6
	v_lshlrev_b64 v[10:11], 9, v[0:1]
	v_add_u32_e32 v9, -1, v0
	v_cmp_le_i32_e32 vcc, v0, v2
	v_add_co_u32_e64 v10, s[0:1], v3, v10
	v_add_u32_e32 v6, 64, v6
	v_addc_co_u32_e64 v11, s[0:1], v5, v11, s[0:1]
	s_or_b64 s[4:5], vcc, s[4:5]
	v_mov_b32_e32 v0, v9
	s_waitcnt lgkmcnt(0)
	global_store_dword v[10:11], v7, off
	s_andn2_b64 exec, exec, s[4:5]
	s_cbranch_execnz .LBB63_157
.LBB63_158:
	s_or_b64 exec, exec, s[2:3]
	s_mov_b64 s[0:1], 0
.LBB63_159:
	s_andn2_b64 vcc, exec, s[0:1]
	s_cbranch_vccnz .LBB63_168
; %bb.160:
	v_cmp_lt_i32_e32 vcc, -1, v2
	s_and_b64 exec, exec, vcc
	s_cbranch_execz .LBB63_168
; %bb.161:
	v_mov_b32_e32 v3, 0
	s_mov_b32 s2, 1
	v_add_u32_e32 v5, 1, v2
	s_mov_b32 s13, 0
	v_cmp_ne_u32_e32 vcc, 0, v2
	s_mov_b64 s[0:1], -1
	v_lshlrev_b32_e32 v4, 2, v4
	v_lshlrev_b64 v[0:1], 2, v[2:3]
	s_and_saveexec_b64 s[4:5], vcc
	s_cbranch_execz .LBB63_165
; %bb.162:
	v_mov_b32_e32 v3, s24
	v_add_co_u32_e32 v7, vcc, s7, v4
	v_addc_co_u32_e32 v3, vcc, 0, v3, vcc
	v_add_co_u32_e32 v7, vcc, v7, v0
	v_addc_co_u32_e32 v9, vcc, v3, v1, vcc
	v_and_b32_e32 v3, 0x7ffffffe, v5
	v_lshl_add_u32 v6, v2, 2, v8
	s_mov_b64 s[16:17], 0
	v_mov_b32_e32 v10, v3
	s_mov_b32 s12, s13
.LBB63_163:                             ; =>This Inner Loop Header: Depth=1
	v_lshl_add_u32 v11, s12, 6, v6
	v_lshl_add_u32 v12, s2, 6, v6
	ds_read_b32 v11, v11
	ds_read_b32 v16, v12
	s_mov_b32 s3, s13
	s_lshl_b64 s[0:1], s[12:13], 9
	v_add_u32_e32 v10, -2, v10
	s_add_i32 s12, s12, 2
	s_lshl_b64 s[20:21], s[2:3], 9
	v_mov_b32_e32 v13, s1
	s_add_i32 s2, s2, 2
	v_cmp_eq_u32_e32 vcc, 0, v10
	v_add_co_u32_e64 v12, s[0:1], s0, v7
	v_addc_co_u32_e64 v13, s[0:1], v9, v13, s[0:1]
	v_mov_b32_e32 v15, s21
	s_or_b64 s[16:17], vcc, s[16:17]
	v_add_co_u32_e32 v14, vcc, s20, v7
	v_addc_co_u32_e32 v15, vcc, v9, v15, vcc
	s_waitcnt lgkmcnt(1)
	global_store_dword v[12:13], v11, off
	s_waitcnt lgkmcnt(0)
	global_store_dword v[14:15], v16, off
	s_andn2_b64 exec, exec, s[16:17]
	s_cbranch_execnz .LBB63_163
; %bb.164:
	s_or_b64 exec, exec, s[16:17]
	v_cmp_ne_u32_e32 vcc, v5, v3
	s_orn2_b64 s[0:1], vcc, exec
.LBB63_165:
	s_or_b64 exec, exec, s[4:5]
	s_and_b64 exec, exec, s[0:1]
	s_cbranch_execz .LBB63_168
; %bb.166:
	s_add_u32 s0, s14, s18
	s_addc_u32 s1, s15, s19
	s_and_b32 s2, s6, 3
	s_mulk_i32 s2, 0x4080
	s_add_u32 s0, s0, s2
	v_mov_b32_e32 v7, 0
	v_mov_b32_e32 v6, v3
	s_addc_u32 s1, s1, 0
	v_lshlrev_b64 v[6:7], 9, v[6:7]
	v_mov_b32_e32 v9, s1
	v_add_co_u32_e32 v6, vcc, s0, v6
	v_addc_co_u32_e32 v7, vcc, v9, v7, vcc
	v_add_co_u32_e32 v4, vcc, v6, v4
	v_addc_co_u32_e32 v6, vcc, 0, v7, vcc
	v_mov_b32_e32 v7, s9
	v_add_co_u32_e32 v4, vcc, s8, v4
	v_addc_co_u32_e32 v6, vcc, v6, v7, vcc
	v_add_co_u32_e32 v0, vcc, v4, v0
	v_addc_co_u32_e32 v1, vcc, v6, v1, vcc
	v_sub_u32_e32 v5, v5, v3
	v_mov_b32_e32 v4, s11
	v_add_co_u32_e32 v0, vcc, s10, v0
	v_lshlrev_b32_e32 v3, 6, v3
	v_lshlrev_b32_e32 v2, 2, v2
	v_addc_co_u32_e32 v1, vcc, v4, v1, vcc
	v_add3_u32 v2, v3, v2, v8
	s_mov_b64 s[0:1], 0
.LBB63_167:                             ; =>This Inner Loop Header: Depth=1
	ds_read_b32 v3, v2
	v_add_u32_e32 v5, -1, v5
	v_cmp_eq_u32_e32 vcc, 0, v5
	s_or_b64 s[0:1], vcc, s[0:1]
	v_add_u32_e32 v2, 64, v2
	s_waitcnt lgkmcnt(0)
	global_store_dword v[0:1], v3, off
	v_add_co_u32_e32 v0, vcc, 0x200, v0
	v_addc_co_u32_e32 v1, vcc, 0, v1, vcc
	s_andn2_b64 exec, exec, s[0:1]
	s_cbranch_execnz .LBB63_167
.LBB63_168:
	s_endpgm
	.section	.rodata,"a",@progbits
	.p2align	6, 0x0
	.amdhsa_kernel _ZL25rocblas_trtri_trsm_kernelILi128ELi16ELi8EfPKfPfEv13rocblas_fill_17rocblas_diagonal_T3_lilT4_lli
		.amdhsa_group_segment_fixed_size 4096
		.amdhsa_private_segment_fixed_size 0
		.amdhsa_kernarg_size 68
		.amdhsa_user_sgpr_count 6
		.amdhsa_user_sgpr_private_segment_buffer 1
		.amdhsa_user_sgpr_dispatch_ptr 0
		.amdhsa_user_sgpr_queue_ptr 0
		.amdhsa_user_sgpr_kernarg_segment_ptr 1
		.amdhsa_user_sgpr_dispatch_id 0
		.amdhsa_user_sgpr_flat_scratch_init 0
		.amdhsa_user_sgpr_kernarg_preload_length 0
		.amdhsa_user_sgpr_kernarg_preload_offset 0
		.amdhsa_user_sgpr_private_segment_size 0
		.amdhsa_uses_dynamic_stack 0
		.amdhsa_system_sgpr_private_segment_wavefront_offset 0
		.amdhsa_system_sgpr_workgroup_id_x 1
		.amdhsa_system_sgpr_workgroup_id_y 0
		.amdhsa_system_sgpr_workgroup_id_z 1
		.amdhsa_system_sgpr_workgroup_info 0
		.amdhsa_system_vgpr_workitem_id 0
		.amdhsa_next_free_vgpr 28
		.amdhsa_next_free_sgpr 32
		.amdhsa_accum_offset 28
		.amdhsa_reserve_vcc 1
		.amdhsa_reserve_flat_scratch 0
		.amdhsa_float_round_mode_32 0
		.amdhsa_float_round_mode_16_64 0
		.amdhsa_float_denorm_mode_32 3
		.amdhsa_float_denorm_mode_16_64 3
		.amdhsa_dx10_clamp 1
		.amdhsa_ieee_mode 1
		.amdhsa_fp16_overflow 0
		.amdhsa_tg_split 0
		.amdhsa_exception_fp_ieee_invalid_op 0
		.amdhsa_exception_fp_denorm_src 0
		.amdhsa_exception_fp_ieee_div_zero 0
		.amdhsa_exception_fp_ieee_overflow 0
		.amdhsa_exception_fp_ieee_underflow 0
		.amdhsa_exception_fp_ieee_inexact 0
		.amdhsa_exception_int_div_zero 0
	.end_amdhsa_kernel
	.section	.text._ZL25rocblas_trtri_trsm_kernelILi128ELi16ELi8EfPKfPfEv13rocblas_fill_17rocblas_diagonal_T3_lilT4_lli,"axG",@progbits,_ZL25rocblas_trtri_trsm_kernelILi128ELi16ELi8EfPKfPfEv13rocblas_fill_17rocblas_diagonal_T3_lilT4_lli,comdat
.Lfunc_end63:
	.size	_ZL25rocblas_trtri_trsm_kernelILi128ELi16ELi8EfPKfPfEv13rocblas_fill_17rocblas_diagonal_T3_lilT4_lli, .Lfunc_end63-_ZL25rocblas_trtri_trsm_kernelILi128ELi16ELi8EfPKfPfEv13rocblas_fill_17rocblas_diagonal_T3_lilT4_lli
                                        ; -- End function
	.section	.AMDGPU.csdata,"",@progbits
; Kernel info:
; codeLenInByte = 5876
; NumSgprs: 36
; NumVgprs: 28
; NumAgprs: 0
; TotalNumVgprs: 28
; ScratchSize: 0
; MemoryBound: 0
; FloatMode: 240
; IeeeMode: 1
; LDSByteSize: 4096 bytes/workgroup (compile time only)
; SGPRBlocks: 4
; VGPRBlocks: 3
; NumSGPRsForWavesPerEU: 36
; NumVGPRsForWavesPerEU: 28
; AccumOffset: 28
; Occupancy: 8
; WaveLimiterHint : 0
; COMPUTE_PGM_RSRC2:SCRATCH_EN: 0
; COMPUTE_PGM_RSRC2:USER_SGPR: 6
; COMPUTE_PGM_RSRC2:TRAP_HANDLER: 0
; COMPUTE_PGM_RSRC2:TGID_X_EN: 1
; COMPUTE_PGM_RSRC2:TGID_Y_EN: 0
; COMPUTE_PGM_RSRC2:TGID_Z_EN: 1
; COMPUTE_PGM_RSRC2:TIDIG_COMP_CNT: 0
; COMPUTE_PGM_RSRC3_GFX90A:ACCUM_OFFSET: 6
; COMPUTE_PGM_RSRC3_GFX90A:TG_SPLIT: 0
	.section	.text._ZL18rocblas_trtri_fillILi128EfPfEvP15_rocblas_handle13rocblas_fill_ililT1_llii,"axG",@progbits,_ZL18rocblas_trtri_fillILi128EfPfEvP15_rocblas_handle13rocblas_fill_ililT1_llii,comdat
	.globl	_ZL18rocblas_trtri_fillILi128EfPfEvP15_rocblas_handle13rocblas_fill_ililT1_llii ; -- Begin function _ZL18rocblas_trtri_fillILi128EfPfEvP15_rocblas_handle13rocblas_fill_ililT1_llii
	.p2align	8
	.type	_ZL18rocblas_trtri_fillILi128EfPfEvP15_rocblas_handle13rocblas_fill_ililT1_llii,@function
_ZL18rocblas_trtri_fillILi128EfPfEvP15_rocblas_handle13rocblas_fill_ililT1_llii: ; @_ZL18rocblas_trtri_fillILi128EfPfEvP15_rocblas_handle13rocblas_fill_ililT1_llii
; %bb.0:
	s_load_dword s1, s[4:5], 0x40
	s_load_dwordx2 s[2:3], s[4:5], 0x10
	s_mov_b32 s0, s6
	s_waitcnt lgkmcnt(0)
	s_ashr_i32 s6, s1, 31
	s_mul_i32 s8, s1, s3
	s_mul_hi_u32 s9, s1, s2
	s_mul_i32 s16, s1, s2
	s_mov_b32 s1, 0
	s_add_i32 s8, s9, s8
	s_mul_i32 s6, s6, s2
	s_lshl_b64 s[0:1], s[0:1], 7
	s_add_i32 s17, s8, s6
	v_or_b32_e32 v0, s0, v0
	v_mov_b32_e32 v1, s1
	v_cmp_gt_u64_e32 vcc, s[16:17], v[0:1]
	s_and_saveexec_b64 s[0:1], vcc
	s_cbranch_execz .LBB64_16
; %bb.1:
	v_cvt_f32_u32_e32 v5, s2
	v_cvt_f32_u32_e32 v6, s3
	s_load_dword s18, s[4:5], 0x18
	s_load_dwordx8 s[8:15], s[4:5], 0x20
	s_load_dwordx2 s[20:21], s[4:5], 0x8
	v_mov_b32_e32 v4, 0
	v_mov_b32_e32 v15, 0x260
	v_mac_f32_e32 v5, 0x4f800000, v6
	s_waitcnt lgkmcnt(0)
	s_mul_i32 s0, s7, s15
	s_mul_hi_u32 s1, s7, s14
	v_rcp_f32_e32 v5, v5
	v_cvt_f32_u32_e32 v6, s2
	s_add_i32 s1, s1, s0
	s_mul_i32 s0, s7, s14
	s_ashr_i32 s19, s18, 31
	s_lshl_b64 s[0:1], s[0:1], 2
	s_add_u32 s6, s10, s0
	s_addc_u32 s7, s11, s1
	s_lshl_b64 s[0:1], s[12:13], 2
	v_mul_f32_e32 v5, 0x5f7ffffc, v5
	v_rcp_iflag_f32_e32 v6, v6
	s_add_u32 s14, s6, s0
	v_mul_f32_e32 v7, 0x2f800000, v5
	s_addc_u32 s15, s7, s1
	s_add_i32 s0, s21, -2
	s_load_dword s6, s[4:5], 0x48
	s_load_dword s7, s[4:5], 0x54
	v_trunc_f32_e32 v7, v7
	v_cvt_f64_i32_e32 v[2:3], s0
	s_add_i32 s0, s21, -1
	v_mac_f32_e32 v5, 0xcf800000, v7
	s_mul_hi_i32 s1, s0, s21
	s_mul_i32 s0, s0, s21
	v_cvt_u32_f32_e32 v12, v5
	v_mul_f32_e32 v5, 0x4f7ffffe, v6
	s_ashr_i32 s22, s21, 31
	s_lshl_b64 s[4:5], s[0:1], 2
	v_cvt_u32_f32_e32 v13, v7
	v_cvt_u32_f32_e32 v14, v5
	s_mov_b32 s23, s21
	s_add_u32 s21, s4, -7
	s_addc_u32 s24, s5, -1
	s_lshr_b64 s[4:5], s[0:1], 1
	s_waitcnt lgkmcnt(0)
	s_and_b32 s0, s7, 0xffff
	s_mov_b32 s10, 0
	s_mul_hi_u32 s25, s0, s6
	s_mul_i32 s26, s0, s6
	s_mov_b64 s[6:7], 0
	s_brev_b32 s11, 8
	s_movk_i32 s27, 0xffe0
	v_mov_b32_e32 v16, 0xffffff80
	s_branch .LBB64_3
.LBB64_2:                               ;   in Loop: Header=BB64_3 Depth=1
	v_mov_b32_e32 v5, s25
	v_add_co_u32_e32 v0, vcc, s26, v0
	v_addc_co_u32_e32 v1, vcc, v1, v5, vcc
	v_cmp_le_u64_e32 vcc, s[16:17], v[0:1]
	s_or_b64 s[6:7], vcc, s[6:7]
	s_andn2_b64 exec, exec, s[6:7]
	s_cbranch_execz .LBB64_16
.LBB64_3:                               ; =>This Inner Loop Header: Depth=1
	v_or_b32_e32 v5, s3, v1
	v_cmp_ne_u64_e32 vcc, 0, v[4:5]
                                        ; implicit-def: $vgpr6_vgpr7
	s_and_saveexec_b64 s[0:1], vcc
	s_xor_b64 s[12:13], exec, s[0:1]
	s_cbranch_execz .LBB64_5
; %bb.4:                                ;   in Loop: Header=BB64_3 Depth=1
	s_sub_u32 s0, 0, s2
	s_subb_u32 s1, 0, s3
	v_mul_hi_u32 v6, s0, v12
	v_mul_lo_u32 v7, s0, v13
	v_mul_lo_u32 v5, s1, v12
	v_add_u32_e32 v6, v6, v7
	v_add_u32_e32 v5, v6, v5
	v_mul_lo_u32 v8, s0, v12
	v_mul_lo_u32 v7, v12, v5
	v_mul_hi_u32 v9, v12, v8
	v_mul_hi_u32 v6, v12, v5
	v_add_co_u32_e32 v7, vcc, v9, v7
	v_addc_co_u32_e32 v6, vcc, 0, v6, vcc
	v_mul_hi_u32 v10, v13, v8
	v_mul_lo_u32 v8, v13, v8
	v_add_co_u32_e32 v7, vcc, v7, v8
	v_mul_hi_u32 v9, v13, v5
	v_addc_co_u32_e32 v6, vcc, v6, v10, vcc
	v_addc_co_u32_e32 v7, vcc, 0, v9, vcc
	v_mul_lo_u32 v5, v13, v5
	v_add_co_u32_e32 v5, vcc, v6, v5
	v_addc_co_u32_e32 v6, vcc, 0, v7, vcc
	v_add_co_u32_e32 v5, vcc, v12, v5
	v_addc_co_u32_e32 v6, vcc, v13, v6, vcc
	v_mul_lo_u32 v7, s0, v6
	v_mul_hi_u32 v8, s0, v5
	v_add_u32_e32 v7, v8, v7
	v_mul_lo_u32 v8, s1, v5
	v_add_u32_e32 v7, v7, v8
	v_mul_lo_u32 v9, s0, v5
	v_mul_hi_u32 v10, v6, v9
	v_mul_lo_u32 v11, v6, v9
	v_mul_lo_u32 v18, v5, v7
	v_mul_hi_u32 v9, v5, v9
	v_mul_hi_u32 v17, v5, v7
	v_add_co_u32_e32 v9, vcc, v9, v18
	v_addc_co_u32_e32 v17, vcc, 0, v17, vcc
	v_add_co_u32_e32 v9, vcc, v9, v11
	v_mul_hi_u32 v8, v6, v7
	v_addc_co_u32_e32 v9, vcc, v17, v10, vcc
	v_addc_co_u32_e32 v8, vcc, 0, v8, vcc
	v_mul_lo_u32 v7, v6, v7
	v_add_co_u32_e32 v7, vcc, v9, v7
	v_addc_co_u32_e32 v8, vcc, 0, v8, vcc
	v_add_co_u32_e32 v5, vcc, v5, v7
	v_addc_co_u32_e32 v8, vcc, v6, v8, vcc
	v_mad_u64_u32 v[6:7], s[0:1], v0, v8, 0
	v_mul_hi_u32 v9, v0, v5
	v_add_co_u32_e32 v10, vcc, v9, v6
	v_addc_co_u32_e32 v11, vcc, 0, v7, vcc
	v_mad_u64_u32 v[6:7], s[0:1], v1, v8, 0
	v_mad_u64_u32 v[8:9], s[0:1], v1, v5, 0
	v_add_co_u32_e32 v5, vcc, v10, v8
	v_addc_co_u32_e32 v5, vcc, v11, v9, vcc
	v_addc_co_u32_e32 v7, vcc, 0, v7, vcc
	v_add_co_u32_e32 v5, vcc, v5, v6
	v_addc_co_u32_e32 v8, vcc, 0, v7, vcc
	v_mul_lo_u32 v9, s3, v5
	v_mul_lo_u32 v10, s2, v8
	v_mad_u64_u32 v[6:7], s[0:1], s2, v5, 0
	v_add3_u32 v7, v7, v10, v9
	v_sub_u32_e32 v9, v1, v7
	v_mov_b32_e32 v10, s3
	v_sub_co_u32_e32 v6, vcc, v0, v6
	v_subb_co_u32_e64 v9, s[0:1], v9, v10, vcc
	v_subrev_co_u32_e64 v10, s[0:1], s2, v6
	v_subbrev_co_u32_e64 v9, s[0:1], 0, v9, s[0:1]
	v_cmp_le_u32_e64 s[0:1], s3, v9
	v_cndmask_b32_e64 v11, 0, -1, s[0:1]
	v_cmp_le_u32_e64 s[0:1], s2, v10
	v_cndmask_b32_e64 v10, 0, -1, s[0:1]
	v_cmp_eq_u32_e64 s[0:1], s3, v9
	v_cndmask_b32_e64 v9, v11, v10, s[0:1]
	v_add_co_u32_e64 v10, s[0:1], 2, v5
	v_addc_co_u32_e64 v11, s[0:1], 0, v8, s[0:1]
	v_add_co_u32_e64 v17, s[0:1], 1, v5
	v_addc_co_u32_e64 v18, s[0:1], 0, v8, s[0:1]
	v_subb_co_u32_e32 v7, vcc, v1, v7, vcc
	v_cmp_ne_u32_e64 s[0:1], 0, v9
	v_cmp_le_u32_e32 vcc, s3, v7
	v_cndmask_b32_e64 v9, v18, v11, s[0:1]
	v_cndmask_b32_e64 v11, 0, -1, vcc
	v_cmp_le_u32_e32 vcc, s2, v6
	v_cndmask_b32_e64 v6, 0, -1, vcc
	v_cmp_eq_u32_e32 vcc, s3, v7
	v_cndmask_b32_e32 v6, v11, v6, vcc
	v_cmp_ne_u32_e32 vcc, 0, v6
	v_cndmask_b32_e64 v6, v17, v10, s[0:1]
	v_cndmask_b32_e32 v7, v8, v9, vcc
	v_cndmask_b32_e32 v6, v5, v6, vcc
.LBB64_5:                               ;   in Loop: Header=BB64_3 Depth=1
	s_andn2_saveexec_b64 s[0:1], s[12:13]
	s_cbranch_execz .LBB64_7
; %bb.6:                                ;   in Loop: Header=BB64_3 Depth=1
	s_sub_i32 s12, 0, s2
	v_mul_lo_u32 v5, s12, v14
	v_mul_hi_u32 v5, v14, v5
	v_add_u32_e32 v5, v14, v5
	v_mul_hi_u32 v5, v0, v5
	v_mul_lo_u32 v6, v5, s2
	v_sub_u32_e32 v6, v0, v6
	v_subrev_u32_e32 v7, s2, v6
	v_cmp_le_u32_e32 vcc, s2, v6
	v_cndmask_b32_e32 v6, v6, v7, vcc
	v_add_u32_e32 v7, 1, v5
	v_cndmask_b32_e32 v5, v5, v7, vcc
	v_add_u32_e32 v7, 1, v5
	v_cmp_le_u32_e32 vcc, s2, v6
	v_cndmask_b32_e32 v6, v5, v7, vcc
	v_mov_b32_e32 v7, v4
.LBB64_7:                               ;   in Loop: Header=BB64_3 Depth=1
	s_or_b64 exec, exec, s[0:1]
	v_mul_lo_u32 v5, v7, s2
	v_mul_lo_u32 v10, v6, s3
	v_mad_u64_u32 v[8:9], s[0:1], v6, s2, 0
	v_add3_u32 v5, v9, v10, v5
	v_sub_co_u32_e32 v8, vcc, v0, v8
	s_cmpk_lt_i32 s20, 0x7a
	v_subb_co_u32_e32 v9, vcc, v1, v5, vcc
	s_cbranch_scc1 .LBB64_10
; %bb.8:                                ;   in Loop: Header=BB64_3 Depth=1
	s_mov_b64 s[0:1], 0
	s_cmpk_eq_i32 s20, 0x7a
	s_mov_b64 s[12:13], 0
                                        ; implicit-def: $vgpr10_vgpr11
	s_cbranch_scc0 .LBB64_11
; %bb.9:                                ;   in Loop: Header=BB64_3 Depth=1
	v_lshlrev_b64 v[10:11], 3, v[8:9]
	v_mov_b32_e32 v5, s24
	v_sub_co_u32_e32 v17, vcc, s21, v10
	v_subb_co_u32_e32 v5, vcc, v5, v11, vcc
	v_cvt_f64_u32_e32 v[10:11], v5
	v_ldexp_f64 v[10:11], v[10:11], 32
	v_cvt_f64_u32_e32 v[18:19], v17
	v_add_f64 v[10:11], v[10:11], v[18:19]
	v_cmp_gt_f64_e32 vcc, s[10:11], v[10:11]
	v_cndmask_b32_e64 v5, 0, 1, vcc
	v_lshlrev_b32_e32 v5, 8, v5
	v_ldexp_f64 v[10:11], v[10:11], v5
	v_rsq_f64_e32 v[18:19], v[10:11]
	v_cndmask_b32_e32 v5, 0, v16, vcc
	v_cmp_class_f64_e32 vcc, v[10:11], v15
	v_mul_f64 v[20:21], v[10:11], v[18:19]
	v_mul_f64 v[18:19], v[18:19], 0.5
	v_fma_f64 v[22:23], -v[18:19], v[20:21], 0.5
	v_fmac_f64_e32 v[20:21], v[20:21], v[22:23]
	v_fma_f64 v[24:25], -v[20:21], v[20:21], v[10:11]
	v_fmac_f64_e32 v[18:19], v[18:19], v[22:23]
	v_fmac_f64_e32 v[20:21], v[24:25], v[18:19]
	v_fma_f64 v[22:23], -v[20:21], v[20:21], v[10:11]
	v_fmac_f64_e32 v[20:21], v[22:23], v[18:19]
	v_ldexp_f64 v[18:19], v[20:21], v5
	v_cndmask_b32_e32 v11, v19, v11, vcc
	v_cndmask_b32_e32 v10, v18, v10, vcc
	v_fma_f64 v[10:11], v[10:11], 0.5, -0.5
	v_floor_f64_e32 v[10:11], v[10:11]
	v_add_f64 v[10:11], v[2:3], -v[10:11]
	v_trunc_f64_e32 v[10:11], v[10:11]
	v_ldexp_f64 v[18:19], v[10:11], s27
	v_floor_f64_e32 v[18:19], v[18:19]
	v_fmac_f64_e32 v[10:11], 0xc1f00000, v[18:19]
	v_cvt_u32_f64_e32 v10, v[10:11]
	v_cvt_u32_f64_e32 v11, v[18:19]
	v_mov_b32_e32 v5, s5
	v_subrev_co_u32_e32 v18, vcc, s4, v8
	v_subb_co_u32_e32 v19, vcc, v9, v5, vcc
	v_mov_b32_e32 v5, s22
	v_sub_co_u32_e32 v17, vcc, s23, v10
	v_subb_co_u32_e32 v5, vcc, v5, v11, vcc
	v_add_co_u32_e32 v20, vcc, -1, v17
	v_addc_co_u32_e32 v21, vcc, -1, v5, vcc
	v_mul_lo_u32 v22, v21, v17
	v_mul_lo_u32 v5, v20, v5
	v_mad_u64_u32 v[20:21], s[12:13], v20, v17, 0
	v_add3_u32 v21, v21, v5, v22
	v_mul_lo_u32 v5, v7, s8
	v_mul_lo_u32 v17, v6, s9
	v_mad_u64_u32 v[22:23], s[12:13], v6, s8, 0
	v_add3_u32 v23, v23, v17, v5
	v_mul_lo_u32 v5, v10, s19
	v_mad_u64_u32 v[24:25], s[12:13], v10, s18, 0
	v_mul_lo_u32 v17, v11, s18
	v_lshlrev_b64 v[22:23], 2, v[22:23]
	v_add3_u32 v25, v25, v5, v17
	v_mov_b32_e32 v5, s15
	v_add_co_u32_e32 v17, vcc, s14, v22
	v_addc_co_u32_e32 v5, vcc, v5, v23, vcc
	v_lshlrev_b64 v[22:23], 2, v[24:25]
	v_add_co_u32_e32 v17, vcc, v17, v22
	v_addc_co_u32_e32 v5, vcc, v5, v23, vcc
	v_lshlrev_b64 v[18:19], 2, v[18:19]
	;; [unrolled: 3-line block ×4, first 2 shown]
	v_and_b32_e32 v10, -4, v10
	v_add_co_u32_e32 v10, vcc, v17, v10
	v_addc_co_u32_e32 v5, vcc, v5, v11, vcc
	v_add_co_u32_e32 v10, vcc, 4, v10
	v_addc_co_u32_e32 v11, vcc, 0, v5, vcc
	s_mov_b64 s[12:13], -1
	s_branch .LBB64_11
.LBB64_10:                              ;   in Loop: Header=BB64_3 Depth=1
	s_mov_b64 s[0:1], -1
	s_mov_b64 s[12:13], 0
                                        ; implicit-def: $vgpr10_vgpr11
.LBB64_11:                              ;   in Loop: Header=BB64_3 Depth=1
	s_and_b64 vcc, exec, s[0:1]
	s_cbranch_vccz .LBB64_14
; %bb.12:                               ;   in Loop: Header=BB64_3 Depth=1
	s_cmpk_eq_i32 s20, 0x79
                                        ; implicit-def: $vgpr10_vgpr11
	s_cbranch_scc0 .LBB64_14
; %bb.13:                               ;   in Loop: Header=BB64_3 Depth=1
	v_lshlrev_b64 v[10:11], 3, v[8:9]
	v_or_b32_e32 v5, 1, v10
	v_cvt_f64_u32_e32 v[10:11], v11
	v_ldexp_f64 v[10:11], v[10:11], 32
	v_cvt_f64_u32_e32 v[18:19], v5
	v_add_f64 v[10:11], v[10:11], v[18:19]
	v_cmp_gt_f64_e32 vcc, s[10:11], v[10:11]
	v_cndmask_b32_e64 v5, 0, 1, vcc
	v_lshlrev_b32_e32 v5, 8, v5
	v_ldexp_f64 v[10:11], v[10:11], v5
	v_rsq_f64_e32 v[18:19], v[10:11]
	v_cndmask_b32_e32 v5, 0, v16, vcc
	v_cmp_class_f64_e32 vcc, v[10:11], v15
	v_mul_lo_u32 v17, v6, s9
	v_mul_f64 v[20:21], v[10:11], v[18:19]
	v_mul_f64 v[18:19], v[18:19], 0.5
	v_fma_f64 v[22:23], -v[18:19], v[20:21], 0.5
	v_fmac_f64_e32 v[20:21], v[20:21], v[22:23]
	v_fma_f64 v[24:25], -v[20:21], v[20:21], v[10:11]
	v_fmac_f64_e32 v[18:19], v[18:19], v[22:23]
	v_fmac_f64_e32 v[20:21], v[24:25], v[18:19]
	v_fma_f64 v[22:23], -v[20:21], v[20:21], v[10:11]
	v_fmac_f64_e32 v[20:21], v[22:23], v[18:19]
	v_ldexp_f64 v[18:19], v[20:21], v5
	v_cndmask_b32_e32 v11, v19, v11, vcc
	v_cndmask_b32_e32 v10, v18, v10, vcc
	v_add_f64 v[10:11], v[10:11], -1.0
	v_mul_f64 v[10:11], v[10:11], 0.5
	v_trunc_f64_e32 v[10:11], v[10:11]
	v_ldexp_f64 v[18:19], v[10:11], s27
	v_floor_f64_e32 v[18:19], v[18:19]
	v_fmac_f64_e32 v[10:11], 0xc1f00000, v[18:19]
	v_cvt_u32_f64_e32 v10, v[10:11]
	v_cvt_u32_f64_e32 v11, v[18:19]
	v_mad_u64_u32 v[18:19], s[0:1], v10, v10, v[10:11]
	v_mul_lo_u32 v5, v10, v11
	v_add3_u32 v19, v5, v19, v5
	v_lshrrev_b64 v[18:19], 1, v[18:19]
	v_sub_co_u32_e32 v8, vcc, v8, v18
	v_mul_lo_u32 v5, v7, s8
	v_mad_u64_u32 v[6:7], s[0:1], v6, s8, 0
	v_subb_co_u32_e32 v9, vcc, v9, v19, vcc
	v_add3_u32 v7, v7, v17, v5
	v_pk_mov_b32 v[18:19], s[18:19], s[18:19] op_sel:[0,1]
	v_mul_lo_u32 v5, s19, v10
	v_mad_u64_u32 v[18:19], s[0:1], s18, v10, v[18:19]
	v_mul_lo_u32 v10, s18, v11
	v_lshlrev_b64 v[6:7], 2, v[6:7]
	v_add3_u32 v19, v5, v19, v10
	v_mov_b32_e32 v5, s15
	v_add_co_u32_e32 v10, vcc, s14, v6
	v_addc_co_u32_e32 v5, vcc, v5, v7, vcc
	v_lshlrev_b64 v[6:7], 2, v[18:19]
	v_add_co_u32_e32 v10, vcc, v10, v6
	v_addc_co_u32_e32 v5, vcc, v5, v7, vcc
	v_lshlrev_b64 v[6:7], 2, v[8:9]
	v_add_co_u32_e32 v10, vcc, v10, v6
	v_addc_co_u32_e32 v11, vcc, v5, v7, vcc
	s_mov_b64 s[12:13], -1
.LBB64_14:                              ;   in Loop: Header=BB64_3 Depth=1
	s_and_b64 vcc, exec, s[12:13]
	s_cbranch_vccz .LBB64_2
; %bb.15:                               ;   in Loop: Header=BB64_3 Depth=1
	global_store_dword v[10:11], v4, off
	s_branch .LBB64_2
.LBB64_16:
	s_endpgm
	.section	.rodata,"a",@progbits
	.p2align	6, 0x0
	.amdhsa_kernel _ZL18rocblas_trtri_fillILi128EfPfEvP15_rocblas_handle13rocblas_fill_ililT1_llii
		.amdhsa_group_segment_fixed_size 0
		.amdhsa_private_segment_fixed_size 0
		.amdhsa_kernarg_size 328
		.amdhsa_user_sgpr_count 6
		.amdhsa_user_sgpr_private_segment_buffer 1
		.amdhsa_user_sgpr_dispatch_ptr 0
		.amdhsa_user_sgpr_queue_ptr 0
		.amdhsa_user_sgpr_kernarg_segment_ptr 1
		.amdhsa_user_sgpr_dispatch_id 0
		.amdhsa_user_sgpr_flat_scratch_init 0
		.amdhsa_user_sgpr_kernarg_preload_length 0
		.amdhsa_user_sgpr_kernarg_preload_offset 0
		.amdhsa_user_sgpr_private_segment_size 0
		.amdhsa_uses_dynamic_stack 0
		.amdhsa_system_sgpr_private_segment_wavefront_offset 0
		.amdhsa_system_sgpr_workgroup_id_x 1
		.amdhsa_system_sgpr_workgroup_id_y 0
		.amdhsa_system_sgpr_workgroup_id_z 1
		.amdhsa_system_sgpr_workgroup_info 0
		.amdhsa_system_vgpr_workitem_id 0
		.amdhsa_next_free_vgpr 26
		.amdhsa_next_free_sgpr 28
		.amdhsa_accum_offset 28
		.amdhsa_reserve_vcc 1
		.amdhsa_reserve_flat_scratch 0
		.amdhsa_float_round_mode_32 0
		.amdhsa_float_round_mode_16_64 0
		.amdhsa_float_denorm_mode_32 3
		.amdhsa_float_denorm_mode_16_64 3
		.amdhsa_dx10_clamp 1
		.amdhsa_ieee_mode 1
		.amdhsa_fp16_overflow 0
		.amdhsa_tg_split 0
		.amdhsa_exception_fp_ieee_invalid_op 0
		.amdhsa_exception_fp_denorm_src 0
		.amdhsa_exception_fp_ieee_div_zero 0
		.amdhsa_exception_fp_ieee_overflow 0
		.amdhsa_exception_fp_ieee_underflow 0
		.amdhsa_exception_fp_ieee_inexact 0
		.amdhsa_exception_int_div_zero 0
	.end_amdhsa_kernel
	.section	.text._ZL18rocblas_trtri_fillILi128EfPfEvP15_rocblas_handle13rocblas_fill_ililT1_llii,"axG",@progbits,_ZL18rocblas_trtri_fillILi128EfPfEvP15_rocblas_handle13rocblas_fill_ililT1_llii,comdat
.Lfunc_end64:
	.size	_ZL18rocblas_trtri_fillILi128EfPfEvP15_rocblas_handle13rocblas_fill_ililT1_llii, .Lfunc_end64-_ZL18rocblas_trtri_fillILi128EfPfEvP15_rocblas_handle13rocblas_fill_ililT1_llii
                                        ; -- End function
	.section	.AMDGPU.csdata,"",@progbits
; Kernel info:
; codeLenInByte = 1948
; NumSgprs: 32
; NumVgprs: 26
; NumAgprs: 0
; TotalNumVgprs: 26
; ScratchSize: 0
; MemoryBound: 0
; FloatMode: 240
; IeeeMode: 1
; LDSByteSize: 0 bytes/workgroup (compile time only)
; SGPRBlocks: 3
; VGPRBlocks: 3
; NumSGPRsForWavesPerEU: 32
; NumVGPRsForWavesPerEU: 26
; AccumOffset: 28
; Occupancy: 8
; WaveLimiterHint : 0
; COMPUTE_PGM_RSRC2:SCRATCH_EN: 0
; COMPUTE_PGM_RSRC2:USER_SGPR: 6
; COMPUTE_PGM_RSRC2:TRAP_HANDLER: 0
; COMPUTE_PGM_RSRC2:TGID_X_EN: 1
; COMPUTE_PGM_RSRC2:TGID_Y_EN: 0
; COMPUTE_PGM_RSRC2:TGID_Z_EN: 1
; COMPUTE_PGM_RSRC2:TIDIG_COMP_CNT: 0
; COMPUTE_PGM_RSRC3_GFX90A:ACCUM_OFFSET: 6
; COMPUTE_PGM_RSRC3_GFX90A:TG_SPLIT: 0
	.section	.text._ZL24rocblas_copy_matrix_trsmILi128ELi8EfPKfPfEviiiT2_ilT3_illli,"axG",@progbits,_ZL24rocblas_copy_matrix_trsmILi128ELi8EfPKfPfEviiiT2_ilT3_illli,comdat
	.globl	_ZL24rocblas_copy_matrix_trsmILi128ELi8EfPKfPfEviiiT2_ilT3_illli ; -- Begin function _ZL24rocblas_copy_matrix_trsmILi128ELi8EfPKfPfEviiiT2_ilT3_illli
	.p2align	8
	.type	_ZL24rocblas_copy_matrix_trsmILi128ELi8EfPKfPfEviiiT2_ilT3_illli,@function
_ZL24rocblas_copy_matrix_trsmILi128ELi8EfPKfPfEviiiT2_ilT3_illli: ; @_ZL24rocblas_copy_matrix_trsmILi128ELi8EfPKfPfEviiiT2_ilT3_illli
; %bb.0:
	s_load_dwordx2 s[0:1], s[4:5], 0x0
	v_and_b32_e32 v1, 0x3ff, v0
	v_mov_b32_e32 v3, 0
	v_bfe_u32 v0, v0, 10, 10
	v_lshl_add_u32 v2, s6, 7, v1
	v_lshl_add_u32 v0, s7, 3, v0
	v_mov_b32_e32 v1, v3
	s_waitcnt lgkmcnt(0)
	s_ashr_i32 s7, s1, 31
	s_mov_b32 s6, s1
	s_ashr_i32 s1, s0, 31
	v_cmp_gt_u64_e32 vcc, s[0:1], v[2:3]
	v_cmp_gt_u64_e64 s[0:1], s[6:7], v[0:1]
	s_mov_b32 s9, 0
	s_and_b64 s[0:1], vcc, s[0:1]
	s_and_saveexec_b64 s[2:3], s[0:1]
	s_cbranch_execz .LBB65_3
; %bb.1:
	s_load_dwordx2 s[16:17], s[4:5], 0x10
	s_load_dword s11, s[4:5], 0x18
	s_load_dwordx4 s[0:3], s[4:5], 0x20
	s_load_dword s20, s[4:5], 0x30
	s_load_dword s10, s[4:5], 0x5c
	s_load_dwordx4 s[12:15], s[4:5], 0x38
	s_load_dwordx2 s[18:19], s[4:5], 0x48
	s_waitcnt lgkmcnt(0)
	s_ashr_i32 s21, s11, 31
	s_ashr_i32 s22, s20, 31
	s_lshl_b32 s10, s10, 3
	s_mul_i32 s4, s13, s8
	s_mul_hi_u32 s5, s12, s8
	s_add_i32 s5, s5, s4
	s_mul_i32 s4, s12, s8
	v_mad_u64_u32 v[4:5], s[12:13], s20, v0, 0
	v_mov_b32_e32 v6, v5
	v_mad_u64_u32 v[6:7], s[12:13], s22, v0, v[6:7]
	s_lshl_b64 s[4:5], s[4:5], 2
	s_lshl_b64 s[12:13], s[18:19], 2
	v_mov_b32_e32 v5, v6
	s_add_u32 s4, s12, s4
	v_lshlrev_b64 v[4:5], 2, v[4:5]
	s_addc_u32 s5, s13, s5
	v_mov_b32_e32 v6, s5
	v_add_co_u32_e32 v7, vcc, s4, v4
	v_addc_co_u32_e32 v6, vcc, v6, v5, vcc
	v_lshlrev_b64 v[4:5], 2, v[2:3]
	v_add_co_u32_e32 v2, vcc, v7, v4
	v_addc_co_u32_e32 v3, vcc, v6, v5, vcc
	v_mov_b32_e32 v6, s3
	v_add_co_u32_e32 v2, vcc, s2, v2
	s_mul_i32 s1, s1, s8
	s_mul_hi_u32 s4, s0, s8
	v_addc_co_u32_e32 v3, vcc, v6, v3, vcc
	s_add_i32 s1, s4, s1
	v_mad_u64_u32 v[6:7], s[4:5], s11, v0, 0
	s_mul_i32 s22, s22, s10
	s_mul_hi_u32 s2, s20, s10
	v_mov_b32_e32 v8, v7
	s_add_i32 s3, s2, s22
	s_mul_i32 s2, s20, s10
	s_mul_i32 s0, s0, s8
	v_mad_u64_u32 v[8:9], s[4:5], s21, v0, v[8:9]
	s_lshl_b64 s[2:3], s[2:3], 2
	s_lshl_b64 s[0:1], s[0:1], 2
	;; [unrolled: 1-line block ×3, first 2 shown]
	v_mov_b32_e32 v7, v8
	s_add_u32 s0, s4, s0
	v_lshlrev_b64 v[6:7], 2, v[6:7]
	s_addc_u32 s1, s5, s1
	v_mov_b32_e32 v8, s1
	v_add_co_u32_e32 v6, vcc, s0, v6
	v_addc_co_u32_e32 v7, vcc, v8, v7, vcc
	v_add_co_u32_e32 v4, vcc, v6, v4
	s_mul_i32 s21, s21, s10
	s_mul_hi_u32 s0, s11, s10
	v_addc_co_u32_e32 v5, vcc, v7, v5, vcc
	s_add_i32 s1, s0, s21
	s_mul_i32 s0, s11, s10
	v_mov_b32_e32 v6, s17
	v_add_co_u32_e32 v4, vcc, s16, v4
	s_lshl_b64 s[0:1], s[0:1], 2
	v_addc_co_u32_e32 v5, vcc, v6, v5, vcc
	s_mov_b64 s[4:5], 0
	v_mov_b32_e32 v6, s9
	v_mov_b32_e32 v7, s3
	;; [unrolled: 1-line block ×3, first 2 shown]
.LBB65_2:                               ; =>This Inner Loop Header: Depth=1
	global_load_dword v9, v[4:5], off
	v_add_co_u32_e32 v0, vcc, s10, v0
	v_addc_co_u32_e32 v1, vcc, v1, v6, vcc
	v_add_co_u32_e32 v4, vcc, s0, v4
	v_addc_co_u32_e32 v5, vcc, v5, v8, vcc
	v_cmp_le_u64_e32 vcc, s[6:7], v[0:1]
	s_or_b64 s[4:5], vcc, s[4:5]
	s_waitcnt vmcnt(0)
	global_store_dword v[2:3], v9, off
	v_add_co_u32_e32 v2, vcc, s2, v2
	v_addc_co_u32_e32 v3, vcc, v3, v7, vcc
	s_andn2_b64 exec, exec, s[4:5]
	s_cbranch_execnz .LBB65_2
.LBB65_3:
	s_endpgm
	.section	.rodata,"a",@progbits
	.p2align	6, 0x0
	.amdhsa_kernel _ZL24rocblas_copy_matrix_trsmILi128ELi8EfPKfPfEviiiT2_ilT3_illli
		.amdhsa_group_segment_fixed_size 0
		.amdhsa_private_segment_fixed_size 0
		.amdhsa_kernarg_size 344
		.amdhsa_user_sgpr_count 6
		.amdhsa_user_sgpr_private_segment_buffer 1
		.amdhsa_user_sgpr_dispatch_ptr 0
		.amdhsa_user_sgpr_queue_ptr 0
		.amdhsa_user_sgpr_kernarg_segment_ptr 1
		.amdhsa_user_sgpr_dispatch_id 0
		.amdhsa_user_sgpr_flat_scratch_init 0
		.amdhsa_user_sgpr_kernarg_preload_length 0
		.amdhsa_user_sgpr_kernarg_preload_offset 0
		.amdhsa_user_sgpr_private_segment_size 0
		.amdhsa_uses_dynamic_stack 0
		.amdhsa_system_sgpr_private_segment_wavefront_offset 0
		.amdhsa_system_sgpr_workgroup_id_x 1
		.amdhsa_system_sgpr_workgroup_id_y 1
		.amdhsa_system_sgpr_workgroup_id_z 1
		.amdhsa_system_sgpr_workgroup_info 0
		.amdhsa_system_vgpr_workitem_id 1
		.amdhsa_next_free_vgpr 10
		.amdhsa_next_free_sgpr 23
		.amdhsa_accum_offset 12
		.amdhsa_reserve_vcc 1
		.amdhsa_reserve_flat_scratch 0
		.amdhsa_float_round_mode_32 0
		.amdhsa_float_round_mode_16_64 0
		.amdhsa_float_denorm_mode_32 3
		.amdhsa_float_denorm_mode_16_64 3
		.amdhsa_dx10_clamp 1
		.amdhsa_ieee_mode 1
		.amdhsa_fp16_overflow 0
		.amdhsa_tg_split 0
		.amdhsa_exception_fp_ieee_invalid_op 0
		.amdhsa_exception_fp_denorm_src 0
		.amdhsa_exception_fp_ieee_div_zero 0
		.amdhsa_exception_fp_ieee_overflow 0
		.amdhsa_exception_fp_ieee_underflow 0
		.amdhsa_exception_fp_ieee_inexact 0
		.amdhsa_exception_int_div_zero 0
	.end_amdhsa_kernel
	.section	.text._ZL24rocblas_copy_matrix_trsmILi128ELi8EfPKfPfEviiiT2_ilT3_illli,"axG",@progbits,_ZL24rocblas_copy_matrix_trsmILi128ELi8EfPKfPfEviiiT2_ilT3_illli,comdat
.Lfunc_end65:
	.size	_ZL24rocblas_copy_matrix_trsmILi128ELi8EfPKfPfEviiiT2_ilT3_illli, .Lfunc_end65-_ZL24rocblas_copy_matrix_trsmILi128ELi8EfPKfPfEviiiT2_ilT3_illli
                                        ; -- End function
	.section	.AMDGPU.csdata,"",@progbits
; Kernel info:
; codeLenInByte = 484
; NumSgprs: 27
; NumVgprs: 10
; NumAgprs: 0
; TotalNumVgprs: 10
; ScratchSize: 0
; MemoryBound: 0
; FloatMode: 240
; IeeeMode: 1
; LDSByteSize: 0 bytes/workgroup (compile time only)
; SGPRBlocks: 3
; VGPRBlocks: 1
; NumSGPRsForWavesPerEU: 27
; NumVGPRsForWavesPerEU: 10
; AccumOffset: 12
; Occupancy: 8
; WaveLimiterHint : 0
; COMPUTE_PGM_RSRC2:SCRATCH_EN: 0
; COMPUTE_PGM_RSRC2:USER_SGPR: 6
; COMPUTE_PGM_RSRC2:TRAP_HANDLER: 0
; COMPUTE_PGM_RSRC2:TGID_X_EN: 1
; COMPUTE_PGM_RSRC2:TGID_Y_EN: 1
; COMPUTE_PGM_RSRC2:TGID_Z_EN: 1
; COMPUTE_PGM_RSRC2:TIDIG_COMP_CNT: 1
; COMPUTE_PGM_RSRC3_GFX90A:ACCUM_OFFSET: 2
; COMPUTE_PGM_RSRC3_GFX90A:TG_SPLIT: 0
	.section	.text._ZL23rocblas_set_matrix_trsmILi128ELi8EdPdEvlliT2_llT1_li,"axG",@progbits,_ZL23rocblas_set_matrix_trsmILi128ELi8EdPdEvlliT2_llT1_li,comdat
	.globl	_ZL23rocblas_set_matrix_trsmILi128ELi8EdPdEvlliT2_llT1_li ; -- Begin function _ZL23rocblas_set_matrix_trsmILi128ELi8EdPdEvlliT2_llT1_li
	.p2align	8
	.type	_ZL23rocblas_set_matrix_trsmILi128ELi8EdPdEvlliT2_llT1_li,@function
_ZL23rocblas_set_matrix_trsmILi128ELi8EdPdEvlliT2_llT1_li: ; @_ZL23rocblas_set_matrix_trsmILi128ELi8EdPdEvlliT2_llT1_li
; %bb.0:
	s_load_dwordx4 s[0:3], s[4:5], 0x0
	v_and_b32_e32 v1, 0x3ff, v0
	v_mov_b32_e32 v3, 0
	v_bfe_u32 v0, v0, 10, 10
	v_lshl_add_u32 v2, s6, 7, v1
	v_lshl_add_u32 v0, s7, 3, v0
	v_mov_b32_e32 v1, v3
	s_waitcnt lgkmcnt(0)
	v_cmp_gt_u64_e32 vcc, s[0:1], v[2:3]
	v_cmp_gt_u64_e64 s[0:1], s[2:3], v[0:1]
	s_and_b64 s[0:1], vcc, s[0:1]
	s_and_saveexec_b64 s[2:3], s[0:1]
	s_cbranch_execz .LBB66_2
; %bb.1:
	s_load_dwordx2 s[6:7], s[4:5], 0x28
	s_load_dwordx4 s[0:3], s[4:5], 0x18
	s_load_dwordx2 s[10:11], s[4:5], 0x38
	s_waitcnt lgkmcnt(0)
	s_mul_i32 s5, s8, s7
	s_mul_hi_u32 s7, s8, s6
	s_mul_i32 s4, s8, s6
	s_add_i32 s5, s7, s5
	s_lshl_b64 s[4:5], s[4:5], 3
	s_add_u32 s4, s0, s4
	s_addc_u32 s5, s1, s5
	s_lshl_b64 s[0:1], s[10:11], 3
	s_add_u32 s4, s4, s0
	s_addc_u32 s5, s5, s1
	v_mad_u64_u32 v[4:5], s[0:1], v0, s2, 0
	v_mov_b32_e32 v6, v5
	v_mad_u64_u32 v[0:1], s[0:1], v0, s3, v[6:7]
	v_mov_b32_e32 v5, v0
	v_lshlrev_b64 v[0:1], 3, v[4:5]
	v_mov_b32_e32 v4, s5
	v_add_co_u32_e32 v5, vcc, s4, v0
	v_addc_co_u32_e32 v4, vcc, v4, v1, vcc
	v_lshlrev_b64 v[0:1], 3, v[2:3]
	v_add_co_u32_e32 v0, vcc, v5, v0
	v_addc_co_u32_e32 v1, vcc, v4, v1, vcc
	v_mov_b32_e32 v2, v3
	global_store_dwordx2 v[0:1], v[2:3], off
.LBB66_2:
	s_endpgm
	.section	.rodata,"a",@progbits
	.p2align	6, 0x0
	.amdhsa_kernel _ZL23rocblas_set_matrix_trsmILi128ELi8EdPdEvlliT2_llT1_li
		.amdhsa_group_segment_fixed_size 0
		.amdhsa_private_segment_fixed_size 0
		.amdhsa_kernarg_size 68
		.amdhsa_user_sgpr_count 6
		.amdhsa_user_sgpr_private_segment_buffer 1
		.amdhsa_user_sgpr_dispatch_ptr 0
		.amdhsa_user_sgpr_queue_ptr 0
		.amdhsa_user_sgpr_kernarg_segment_ptr 1
		.amdhsa_user_sgpr_dispatch_id 0
		.amdhsa_user_sgpr_flat_scratch_init 0
		.amdhsa_user_sgpr_kernarg_preload_length 0
		.amdhsa_user_sgpr_kernarg_preload_offset 0
		.amdhsa_user_sgpr_private_segment_size 0
		.amdhsa_uses_dynamic_stack 0
		.amdhsa_system_sgpr_private_segment_wavefront_offset 0
		.amdhsa_system_sgpr_workgroup_id_x 1
		.amdhsa_system_sgpr_workgroup_id_y 1
		.amdhsa_system_sgpr_workgroup_id_z 1
		.amdhsa_system_sgpr_workgroup_info 0
		.amdhsa_system_vgpr_workitem_id 1
		.amdhsa_next_free_vgpr 8
		.amdhsa_next_free_sgpr 12
		.amdhsa_accum_offset 8
		.amdhsa_reserve_vcc 1
		.amdhsa_reserve_flat_scratch 0
		.amdhsa_float_round_mode_32 0
		.amdhsa_float_round_mode_16_64 0
		.amdhsa_float_denorm_mode_32 3
		.amdhsa_float_denorm_mode_16_64 3
		.amdhsa_dx10_clamp 1
		.amdhsa_ieee_mode 1
		.amdhsa_fp16_overflow 0
		.amdhsa_tg_split 0
		.amdhsa_exception_fp_ieee_invalid_op 0
		.amdhsa_exception_fp_denorm_src 0
		.amdhsa_exception_fp_ieee_div_zero 0
		.amdhsa_exception_fp_ieee_overflow 0
		.amdhsa_exception_fp_ieee_underflow 0
		.amdhsa_exception_fp_ieee_inexact 0
		.amdhsa_exception_int_div_zero 0
	.end_amdhsa_kernel
	.section	.text._ZL23rocblas_set_matrix_trsmILi128ELi8EdPdEvlliT2_llT1_li,"axG",@progbits,_ZL23rocblas_set_matrix_trsmILi128ELi8EdPdEvlliT2_llT1_li,comdat
.Lfunc_end66:
	.size	_ZL23rocblas_set_matrix_trsmILi128ELi8EdPdEvlliT2_llT1_li, .Lfunc_end66-_ZL23rocblas_set_matrix_trsmILi128ELi8EdPdEvlliT2_llT1_li
                                        ; -- End function
	.section	.AMDGPU.csdata,"",@progbits
; Kernel info:
; codeLenInByte = 220
; NumSgprs: 16
; NumVgprs: 8
; NumAgprs: 0
; TotalNumVgprs: 8
; ScratchSize: 0
; MemoryBound: 0
; FloatMode: 240
; IeeeMode: 1
; LDSByteSize: 0 bytes/workgroup (compile time only)
; SGPRBlocks: 1
; VGPRBlocks: 0
; NumSGPRsForWavesPerEU: 16
; NumVGPRsForWavesPerEU: 8
; AccumOffset: 8
; Occupancy: 8
; WaveLimiterHint : 0
; COMPUTE_PGM_RSRC2:SCRATCH_EN: 0
; COMPUTE_PGM_RSRC2:USER_SGPR: 6
; COMPUTE_PGM_RSRC2:TRAP_HANDLER: 0
; COMPUTE_PGM_RSRC2:TGID_X_EN: 1
; COMPUTE_PGM_RSRC2:TGID_Y_EN: 1
; COMPUTE_PGM_RSRC2:TGID_Z_EN: 1
; COMPUTE_PGM_RSRC2:TIDIG_COMP_CNT: 1
; COMPUTE_PGM_RSRC3_GFX90A:ACCUM_OFFSET: 1
; COMPUTE_PGM_RSRC3_GFX90A:TG_SPLIT: 0
	.section	.text._ZL38rocblas_trsm_small_left_device_sharedBILi4ELi4ELb0EddPKdPdEv13rocblas_fill_18rocblas_operation_17rocblas_diagonal_iiT3_T4_lilT5_lili,"axG",@progbits,_ZL38rocblas_trsm_small_left_device_sharedBILi4ELi4ELb0EddPKdPdEv13rocblas_fill_18rocblas_operation_17rocblas_diagonal_iiT3_T4_lilT5_lili,comdat
	.globl	_ZL38rocblas_trsm_small_left_device_sharedBILi4ELi4ELb0EddPKdPdEv13rocblas_fill_18rocblas_operation_17rocblas_diagonal_iiT3_T4_lilT5_lili ; -- Begin function _ZL38rocblas_trsm_small_left_device_sharedBILi4ELi4ELb0EddPKdPdEv13rocblas_fill_18rocblas_operation_17rocblas_diagonal_iiT3_T4_lilT5_lili
	.p2align	8
	.type	_ZL38rocblas_trsm_small_left_device_sharedBILi4ELi4ELb0EddPKdPdEv13rocblas_fill_18rocblas_operation_17rocblas_diagonal_iiT3_T4_lilT5_lili,@function
_ZL38rocblas_trsm_small_left_device_sharedBILi4ELi4ELb0EddPKdPdEv13rocblas_fill_18rocblas_operation_17rocblas_diagonal_iiT3_T4_lilT5_lili: ; @_ZL38rocblas_trsm_small_left_device_sharedBILi4ELi4ELb0EddPKdPdEv13rocblas_fill_18rocblas_operation_17rocblas_diagonal_iiT3_T4_lilT5_lili
; %bb.0:
	s_load_dwordx4 s[0:3], s[4:5], 0x4
	s_load_dwordx4 s[8:11], s[4:5], 0x18
	s_load_dwordx2 s[20:21], s[4:5], 0x28
	s_load_dwordx4 s[12:15], s[4:5], 0x38
	s_load_dwordx2 s[16:17], s[4:5], 0x48
	s_waitcnt lgkmcnt(0)
	s_min_i32 s30, s2, 4
	s_mov_b32 s33, 0
	s_add_i32 s31, s30, -1
	v_cmp_gt_i32_e32 vcc, s30, v0
	s_and_saveexec_b64 s[18:19], vcc
	s_cbranch_execz .LBB67_10
; %bb.1:
	s_load_dword s22, s[4:5], 0x30
	s_mul_i32 s13, s7, s13
	s_mul_hi_u32 s24, s7, s12
	s_add_i32 s13, s24, s13
	s_mul_i32 s12, s7, s12
	s_waitcnt lgkmcnt(0)
	s_ashr_i32 s23, s22, 31
	s_cmp_lt_u32 s31, 3
	s_cbranch_scc1 .LBB67_4
; %bb.2:
	s_lshl_b64 s[24:25], s[12:13], 3
	s_add_u32 s26, s10, s24
	s_addc_u32 s27, s11, s25
	s_lshl_b64 s[24:25], s[20:21], 3
	s_add_u32 s24, s26, s24
	s_addc_u32 s25, s27, s25
	v_lshlrev_b32_e32 v1, 3, v0
	v_mov_b32_e32 v3, s25
	v_add_co_u32_e32 v2, vcc, s24, v1
	s_mul_hi_i32 s36, s22, 24
	s_lshl_b64 s[24:25], s[22:23], 5
	s_lshl_b64 s[26:27], s[22:23], 4
	;; [unrolled: 1-line block ×3, first 2 shown]
	v_addc_co_u32_e32 v3, vcc, 0, v3, vcc
	s_and_b32 s33, s30, -4
	s_mul_i32 s34, s22, 24
	s_mov_b32 s35, 0
	v_mov_b32_e32 v4, s29
	v_mov_b32_e32 v5, s27
	;; [unrolled: 1-line block ×4, first 2 shown]
.LBB67_3:                               ; =>This Inner Loop Header: Depth=1
	v_add_co_u32_e32 v10, vcc, s28, v2
	v_addc_co_u32_e32 v11, vcc, v3, v4, vcc
	v_add_co_u32_e32 v12, vcc, s26, v2
	v_addc_co_u32_e32 v13, vcc, v3, v5, vcc
	v_add_co_u32_e32 v14, vcc, s34, v2
	global_load_dwordx2 v[8:9], v[2:3], off
	v_addc_co_u32_e32 v15, vcc, v3, v6, vcc
	global_load_dwordx2 v[16:17], v[10:11], off
	global_load_dwordx2 v[18:19], v[12:13], off
	;; [unrolled: 1-line block ×3, first 2 shown]
	s_add_i32 s35, s35, 4
	v_add_co_u32_e32 v2, vcc, s24, v2
	v_addc_co_u32_e32 v3, vcc, v3, v7, vcc
	s_cmp_eq_u32 s33, s35
	s_waitcnt vmcnt(2)
	ds_write2_b64 v1, v[8:9], v[16:17] offset1:4
	s_waitcnt vmcnt(0)
	ds_write2_b64 v1, v[18:19], v[20:21] offset0:8 offset1:12
	v_add_u32_e32 v1, 0x80, v1
	s_cbranch_scc0 .LBB67_3
.LBB67_4:
	s_and_b32 s24, s30, 3
	s_cmp_eq_u32 s24, 0
	s_cbranch_scc1 .LBB67_7
; %bb.5:
	s_mul_i32 s25, s23, s33
	s_mul_hi_u32 s26, s22, s33
	s_add_i32 s27, s26, s25
	s_mul_i32 s26, s22, s33
	s_lshl_b64 s[12:13], s[12:13], 3
	s_lshl_b64 s[26:27], s[26:27], 3
	s_add_u32 s25, s12, s26
	s_addc_u32 s26, s13, s27
	s_lshl_b64 s[12:13], s[20:21], 3
	s_add_u32 s12, s25, s12
	s_addc_u32 s13, s26, s13
	s_add_u32 s10, s10, s12
	v_lshlrev_b32_e32 v2, 3, v0
	s_addc_u32 s11, s11, s13
	v_lshl_or_b32 v1, s33, 5, v2
	v_mov_b32_e32 v3, s11
	v_add_co_u32_e32 v2, vcc, s10, v2
	s_lshl_b64 s[10:11], s[22:23], 3
	v_addc_co_u32_e32 v3, vcc, 0, v3, vcc
	v_mov_b32_e32 v4, s11
.LBB67_6:                               ; =>This Inner Loop Header: Depth=1
	global_load_dwordx2 v[6:7], v[2:3], off
	v_add_co_u32_e32 v2, vcc, s10, v2
	s_add_i32 s24, s24, -1
	v_addc_co_u32_e32 v3, vcc, v3, v4, vcc
	s_cmp_lg_u32 s24, 0
	s_waitcnt vmcnt(0)
	ds_write_b64 v1, v[6:7]
	v_add_u32_e32 v1, 32, v1
	s_cbranch_scc1 .LBB67_6
.LBB67_7:
	v_mul_u32_u24_e32 v1, 5, v0
	v_mov_b32_e32 v2, 0
	s_cmpk_lg_i32 s1, 0x84
	v_lshlrev_b32_e32 v1, 3, v1
	v_mov_b32_e32 v3, 0x3ff00000
	s_cbranch_scc0 .LBB67_9
; %bb.8:
	ds_read_b64 v[2:3], v1
	s_waitcnt lgkmcnt(0)
	v_div_scale_f64 v[4:5], s[10:11], v[2:3], v[2:3], 1.0
	v_rcp_f64_e32 v[6:7], v[4:5]
	v_div_scale_f64 v[8:9], vcc, 1.0, v[2:3], 1.0
	v_fma_f64 v[10:11], -v[4:5], v[6:7], 1.0
	v_fmac_f64_e32 v[6:7], v[6:7], v[10:11]
	v_fma_f64 v[10:11], -v[4:5], v[6:7], 1.0
	v_fmac_f64_e32 v[6:7], v[6:7], v[10:11]
	v_mul_f64 v[10:11], v[8:9], v[6:7]
	v_fma_f64 v[4:5], -v[4:5], v[10:11], v[8:9]
	v_div_fmas_f64 v[4:5], v[4:5], v[6:7], v[10:11]
	v_div_fixup_f64 v[2:3], v[4:5], v[2:3], 1.0
.LBB67_9:
	ds_write_b64 v1, v[2:3]
.LBB67_10:
	s_or_b64 exec, exec, s[18:19]
	s_load_dword s1, s[4:5], 0x68
	s_load_dwordx2 s[12:13], s[4:5], 0x58
	s_load_dword s10, s[4:5], 0x50
	s_waitcnt lgkmcnt(0)
	s_mul_i32 s5, s7, s13
	s_mul_hi_u32 s11, s7, s12
	s_mul_i32 s4, s7, s12
	s_add_i32 s5, s11, s5
	s_lshl_b64 s[4:5], s[4:5], 3
	s_add_u32 s7, s14, s4
	s_addc_u32 s11, s15, s5
	s_lshl_b64 s[4:5], s[16:17], 3
	s_add_u32 s7, s7, s4
	s_addc_u32 s11, s11, s5
	s_lshl_b32 s4, s6, 2
	s_add_i32 s1, s1, -1
	s_sub_i32 s3, s3, s4
	s_cmp_ge_u32 s6, s1
	s_mul_hi_i32 s5, s10, s4
	s_mul_i32 s4, s10, s4
	s_cselect_b32 s1, s3, 4
	s_lshl_b64 s[4:5], s[4:5], 3
	s_add_u32 s3, s7, s4
	s_addc_u32 s11, s11, s5
	s_cmp_gt_i32 s2, 0
	v_cmp_gt_i32_e32 vcc, s1, v0
	s_cselect_b64 s[4:5], -1, 0
	s_and_b64 s[4:5], vcc, s[4:5]
	s_and_saveexec_b64 s[6:7], s[4:5]
	s_cbranch_execz .LBB67_13
; %bb.11:
	v_mad_i64_i32 v[2:3], s[12:13], s10, v0, 0
	v_lshlrev_b64 v[2:3], 3, v[2:3]
	v_mov_b32_e32 v1, s11
	v_add_co_u32_e32 v2, vcc, s3, v2
	v_addc_co_u32_e32 v3, vcc, v1, v3, vcc
	v_mov_b32_e32 v1, 0x80
	v_lshl_or_b32 v1, v0, 3, v1
	s_mov_b32 s1, s30
.LBB67_12:                              ; =>This Inner Loop Header: Depth=1
	global_load_dwordx2 v[4:5], v[2:3], off
	s_add_i32 s1, s1, -1
	v_add_co_u32_e32 v2, vcc, 8, v2
	v_addc_co_u32_e32 v3, vcc, 0, v3, vcc
	s_cmp_lg_u32 s1, 0
	s_waitcnt vmcnt(0)
	v_mul_f64 v[4:5], v[4:5], s[8:9]
	ds_write_b64 v1, v[4:5]
	v_add_u32_e32 v1, 32, v1
	s_cbranch_scc1 .LBB67_12
.LBB67_13:
	s_or_b64 exec, exec, s[6:7]
	s_cmpk_eq_i32 s0, 0x6f
	s_mov_b64 s[0:1], -1
	s_waitcnt lgkmcnt(0)
	; wave barrier
	s_waitcnt lgkmcnt(0)
	s_cbranch_scc1 .LBB67_23
; %bb.14:
	s_cmp_gt_i32 s2, 3
	s_cbranch_scc0 .LBB67_16
; %bb.15:
	v_lshlrev_b32_e32 v1, 3, v0
	ds_read2_b64 v[2:5], v1 offset0:16 offset1:20
	v_mov_b32_e32 v24, 0
	ds_read2_b64 v[6:9], v24 offset1:10
	ds_read_b128 v[10:13], v24 offset:32
	ds_read2_b64 v[14:17], v1 offset0:24 offset1:28
	ds_read_b128 v[18:21], v24 offset:64
	s_mov_b32 s0, 4
	s_waitcnt lgkmcnt(3)
	v_mul_f64 v[6:7], v[2:3], v[6:7]
	s_waitcnt lgkmcnt(2)
	v_fma_f64 v[2:3], -v[6:7], v[10:11], v[4:5]
	v_mul_f64 v[22:23], v[2:3], v[12:13]
	ds_read_b128 v[2:5], v24 offset:96
	ds_read_b128 v[10:13], v24 offset:112
	s_waitcnt lgkmcnt(2)
	v_fma_f64 v[14:15], -v[6:7], v[18:19], v[14:15]
	v_fma_f64 v[14:15], -v[22:23], v[20:21], v[14:15]
	v_mul_f64 v[8:9], v[14:15], v[8:9]
	s_waitcnt lgkmcnt(1)
	v_fma_f64 v[2:3], -v[6:7], v[2:3], v[16:17]
	v_fma_f64 v[2:3], -v[22:23], v[4:5], v[2:3]
	s_waitcnt lgkmcnt(0)
	v_fma_f64 v[2:3], -v[8:9], v[10:11], v[2:3]
	v_mul_f64 v[2:3], v[2:3], v[12:13]
	ds_write2_b64 v1, v[6:7], v[22:23] offset0:16 offset1:20
	ds_write2_b64 v1, v[8:9], v[2:3] offset0:24 offset1:28
	s_cmp_ge_i32 s0, s30
	s_cbranch_scc0 .LBB67_17
	s_branch .LBB67_22
.LBB67_16:
	s_mov_b32 s0, 0
	s_cmp_ge_i32 s0, s30
	s_cbranch_scc1 .LBB67_22
.LBB67_17:
	v_mov_b32_e32 v1, 0x80
	s_lshl_b32 s1, s0, 5
	v_lshl_or_b32 v1, v0, 3, v1
	v_lshlrev_b32_e32 v4, 3, v0
	s_branch .LBB67_19
.LBB67_18:                              ;   in Loop: Header=BB67_19 Depth=1
	s_mul_i32 s6, s0, 40
	v_mov_b32_e32 v6, s6
	ds_read_b64 v[6:7], v6
	s_add_i32 s0, s0, 1
	s_add_i32 s1, s1, 32
	v_add_u32_e32 v5, 0x80, v5
	s_cmp_ge_i32 s0, s30
	s_waitcnt lgkmcnt(0)
	v_mul_f64 v[2:3], v[2:3], v[6:7]
	ds_write_b64 v5, v[2:3]
	s_cbranch_scc1 .LBB67_22
.LBB67_19:                              ; =>This Loop Header: Depth=1
                                        ;     Child Loop BB67_21 Depth 2
	v_lshl_or_b32 v5, s0, 5, v4
	ds_read_b64 v[2:3], v5 offset:128
	s_cmp_eq_u32 s0, 0
	s_cbranch_scc1 .LBB67_18
; %bb.20:                               ;   in Loop: Header=BB67_19 Depth=1
	s_mov_b32 s6, 0
	v_mov_b32_e32 v6, v1
	s_mov_b32 s7, s1
.LBB67_21:                              ;   Parent Loop BB67_19 Depth=1
                                        ; =>  This Inner Loop Header: Depth=2
	v_mov_b32_e32 v7, s7
	ds_read_b64 v[8:9], v6
	ds_read_b64 v[10:11], v7
	s_add_i32 s6, s6, 1
	s_add_i32 s7, s7, 8
	v_add_u32_e32 v6, 32, v6
	s_cmp_lt_u32 s6, s0
	s_waitcnt lgkmcnt(0)
	v_fma_f64 v[2:3], -v[8:9], v[10:11], v[2:3]
	s_cbranch_scc1 .LBB67_21
	s_branch .LBB67_18
.LBB67_22:
	s_mov_b64 s[0:1], 0
.LBB67_23:
	s_and_b64 vcc, exec, s[0:1]
	s_cbranch_vccz .LBB67_39
; %bb.24:
	s_cmp_gt_i32 s2, 3
	v_lshlrev_b32_e32 v1, 3, v0
	s_cbranch_scc0 .LBB67_26
; %bb.25:
	s_lshl_b32 s0, s31, 2
	s_lshl_b32 s1, s30, 2
	v_or_b32_e32 v2, s0, v0
	s_add_i32 s2, s1, -8
	v_lshlrev_b32_e32 v18, 3, v2
	v_or_b32_e32 v2, s2, v0
	s_add_i32 s2, s1, -12
	v_lshlrev_b32_e32 v20, 3, v2
	;; [unrolled: 3-line block ×3, first 2 shown]
	v_or_b32_e32 v2, s1, v0
	s_add_i32 s1, s30, -2
	s_add_i32 s6, s1, s0
	v_lshlrev_b32_e32 v2, 3, v2
	s_lshl_b32 s6, s6, 3
	ds_read_b64 v[6:7], v18 offset:128
	ds_read_b64 v[8:9], v20 offset:128
	;; [unrolled: 1-line block ×4, first 2 shown]
	v_mov_b32_e32 v2, s6
	s_mul_i32 s6, s31, 40
	ds_read2_b64 v[2:5], v2 offset1:1
	s_sub_i32 s7, s6, 40
	v_mov_b32_e32 v12, s7
	ds_read_b64 v[12:13], v12
	s_add_i32 s7, s30, -4
	s_waitcnt lgkmcnt(1)
	v_mul_f64 v[16:17], v[6:7], v[4:5]
	s_add_i32 s0, s7, s0
	v_fma_f64 v[2:3], -v[16:17], v[2:3], v[8:9]
	s_lshl_b32 s1, s1, 2
	s_lshl_b32 s0, s0, 3
	ds_write_b64 v18, v[16:17] offset:128
	s_waitcnt lgkmcnt(1)
	v_mul_f64 v[18:19], v[2:3], v[12:13]
	v_mov_b32_e32 v2, s0
	s_add_i32 s0, s7, s1
	ds_read2_b64 v[2:5], v2 offset1:1
	s_lshl_b32 s0, s0, 3
	v_mov_b32_e32 v6, s0
	ds_read2_b64 v[6:9], v6 offset1:1
	s_add_i32 s0, s7, s2
	s_lshl_b32 s0, s0, 3
	s_waitcnt lgkmcnt(1)
	v_fma_f64 v[4:5], -v[16:17], v[4:5], v[10:11]
	v_mov_b32_e32 v10, s0
	ds_read2_b64 v[10:13], v10 offset1:1
	s_add_i32 s0, s6, 0xffffff88
	s_waitcnt lgkmcnt(1)
	v_fma_f64 v[4:5], -v[18:19], v[8:9], v[4:5]
	v_mov_b32_e32 v8, s0
	ds_read_b64 v[8:9], v8
	v_fma_f64 v[2:3], -v[16:17], v[2:3], v[14:15]
	s_waitcnt lgkmcnt(1)
	v_mul_f64 v[4:5], v[4:5], v[12:13]
	v_fma_f64 v[2:3], -v[18:19], v[6:7], v[2:3]
	v_fma_f64 v[2:3], -v[4:5], v[10:11], v[2:3]
	ds_write_b64 v21, v[4:5] offset:128
	s_waitcnt lgkmcnt(1)
	v_mul_f64 v[2:3], v[2:3], v[8:9]
	v_lshl_or_b32 v4, s7, 5, v1
	s_add_i32 s1, s30, -5
	ds_write_b64 v20, v[18:19] offset:128
	ds_write_b64 v4, v[2:3] offset:128
	s_cmp_lt_i32 s1, 0
	s_cbranch_scc0 .LBB67_27
	s_branch .LBB67_39
.LBB67_26:
	s_mov_b32 s1, s31
	s_cmp_lt_i32 s1, 0
	s_cbranch_scc1 .LBB67_39
.LBB67_27:
	s_bitcmp1_b32 s1, 0
	s_cselect_b64 s[6:7], -1, 0
	s_and_b64 vcc, exec, s[6:7]
	s_mov_b32 s0, s1
	s_cbranch_vccnz .LBB67_32
; %bb.28:
	v_lshl_or_b32 v4, s1, 5, v1
	ds_read_b64 v[2:3], v4 offset:128
	s_cmp_le_i32 s31, s1
	s_cbranch_scc1 .LBB67_31
; %bb.29:
	s_lshl_b32 s2, s30, 5
	s_lshl_b32 s0, s1, 3
	s_add_i32 s0, s2, s0
	v_lshl_or_b32 v5, v0, 3, s2
	s_sub_i32 s0, s0, 32
	v_add_u32_e32 v5, 0x60, v5
	s_mov_b32 s2, s31
.LBB67_30:                              ; =>This Inner Loop Header: Depth=1
	v_mov_b32_e32 v8, s0
	ds_read_b64 v[6:7], v5
	ds_read_b64 v[8:9], v8
	s_add_i32 s2, s2, -1
	s_sub_i32 s0, s0, 32
	v_subrev_u32_e32 v5, 32, v5
	s_cmp_gt_i32 s2, s1
	s_waitcnt lgkmcnt(0)
	v_fma_f64 v[2:3], -v[6:7], v[8:9], v[2:3]
	s_cbranch_scc1 .LBB67_30
.LBB67_31:
	s_mul_i32 s0, s1, 40
	v_mov_b32_e32 v5, s0
	ds_read_b64 v[6:7], v5
	v_add_u32_e32 v4, 0x80, v4
	s_add_i32 s0, s1, -1
	s_waitcnt lgkmcnt(0)
	v_mul_f64 v[2:3], v[2:3], v[6:7]
	ds_write_b64 v4, v[2:3]
.LBB67_32:
	s_cmp_eq_u32 s1, 0
	s_cbranch_scc1 .LBB67_39
; %bb.33:
	s_lshl_b32 s2, s30, 5
	s_lshl_b32 s1, s0, 3
	s_add_i32 s6, s2, s1
	v_lshl_or_b32 v2, v0, 3, s2
	s_sub_i32 s1, s6, 32
	v_add_u32_e32 v6, 0x60, v2
	s_sub_i32 s2, s6, 40
	s_branch .LBB67_35
.LBB67_34:                              ;   in Loop: Header=BB67_35 Depth=1
	s_sub_i32 s6, s6, 40
	v_mov_b32_e32 v5, s6
	ds_read_b64 v[8:9], v5
	s_add_i32 s6, s0, -2
	s_add_i32 s1, s1, -16
	;; [unrolled: 1-line block ×3, first 2 shown]
	v_add_u32_e32 v4, 0x80, v7
	s_cmp_lt_i32 s0, 2
	s_waitcnt lgkmcnt(0)
	v_mul_f64 v[2:3], v[2:3], v[8:9]
	s_mov_b32 s0, s6
	ds_write_b64 v4, v[2:3]
	s_cbranch_scc1 .LBB67_39
.LBB67_35:                              ; =>This Loop Header: Depth=1
                                        ;     Child Loop BB67_36 Depth 2
                                        ;     Child Loop BB67_38 Depth 2
	v_lshl_or_b32 v2, s0, 5, v1
	ds_read_b64 v[4:5], v2 offset:128
	s_cmp_le_i32 s31, s0
	v_mov_b32_e32 v3, v6
	s_mov_b32 s6, s1
	s_mov_b32 s7, s31
	s_cbranch_scc1 .LBB67_37
.LBB67_36:                              ;   Parent Loop BB67_35 Depth=1
                                        ; =>  This Inner Loop Header: Depth=2
	v_mov_b32_e32 v7, s6
	ds_read_b64 v[8:9], v3
	ds_read_b64 v[10:11], v7
	s_add_i32 s7, s7, -1
	s_sub_i32 s6, s6, 32
	v_subrev_u32_e32 v3, 32, v3
	s_cmp_gt_i32 s7, s0
	s_waitcnt lgkmcnt(0)
	v_fma_f64 v[4:5], -v[8:9], v[10:11], v[4:5]
	s_cbranch_scc1 .LBB67_36
.LBB67_37:                              ;   in Loop: Header=BB67_35 Depth=1
	s_mul_i32 s6, s0, 40
	v_add_u32_e32 v8, 0x80, v2
	v_mov_b32_e32 v2, s6
	s_lshl_b32 s7, s0, 5
	ds_read_b64 v[10:11], v2
	s_sub_i32 s7, s7, 32
	v_lshl_or_b32 v7, v0, 3, s7
	ds_read_b64 v[2:3], v7 offset:128
	s_cmp_lt_i32 s31, s0
	s_waitcnt lgkmcnt(1)
	v_mul_f64 v[4:5], v[4:5], v[10:11]
	ds_write_b64 v8, v[4:5]
	v_mov_b32_e32 v4, v6
	s_mov_b32 s7, s2
	s_mov_b32 s8, s30
	s_cbranch_scc1 .LBB67_34
.LBB67_38:                              ;   Parent Loop BB67_35 Depth=1
                                        ; =>  This Inner Loop Header: Depth=2
	v_mov_b32_e32 v5, s7
	ds_read_b64 v[8:9], v4
	ds_read_b64 v[10:11], v5
	s_add_i32 s8, s8, -1
	s_sub_i32 s7, s7, 32
	v_subrev_u32_e32 v4, 32, v4
	s_cmp_gt_i32 s8, s0
	s_waitcnt lgkmcnt(0)
	v_fma_f64 v[2:3], -v[8:9], v[10:11], v[2:3]
	s_cbranch_scc1 .LBB67_38
	s_branch .LBB67_34
.LBB67_39:
	s_waitcnt lgkmcnt(0)
	; wave barrier
	s_waitcnt lgkmcnt(0)
	s_and_saveexec_b64 s[0:1], s[4:5]
	s_cbranch_execz .LBB67_42
; %bb.40:
	v_mad_i64_i32 v[2:3], s[0:1], s10, v0, 0
	v_lshlrev_b64 v[2:3], 3, v[2:3]
	v_mov_b32_e32 v1, s11
	v_add_co_u32_e32 v2, vcc, s3, v2
	v_addc_co_u32_e32 v3, vcc, v1, v3, vcc
	v_mov_b32_e32 v1, 0x80
	v_lshl_or_b32 v0, v0, 3, v1
.LBB67_41:                              ; =>This Inner Loop Header: Depth=1
	ds_read_b64 v[4:5], v0
	s_add_i32 s30, s30, -1
	v_add_u32_e32 v0, 32, v0
	s_cmp_lg_u32 s30, 0
	s_waitcnt lgkmcnt(0)
	global_store_dwordx2 v[2:3], v[4:5], off
	v_add_co_u32_e32 v2, vcc, 8, v2
	v_addc_co_u32_e32 v3, vcc, 0, v3, vcc
	s_cbranch_scc1 .LBB67_41
.LBB67_42:
	s_endpgm
	.section	.rodata,"a",@progbits
	.p2align	6, 0x0
	.amdhsa_kernel _ZL38rocblas_trsm_small_left_device_sharedBILi4ELi4ELb0EddPKdPdEv13rocblas_fill_18rocblas_operation_17rocblas_diagonal_iiT3_T4_lilT5_lili
		.amdhsa_group_segment_fixed_size 256
		.amdhsa_private_segment_fixed_size 0
		.amdhsa_kernarg_size 360
		.amdhsa_user_sgpr_count 6
		.amdhsa_user_sgpr_private_segment_buffer 1
		.amdhsa_user_sgpr_dispatch_ptr 0
		.amdhsa_user_sgpr_queue_ptr 0
		.amdhsa_user_sgpr_kernarg_segment_ptr 1
		.amdhsa_user_sgpr_dispatch_id 0
		.amdhsa_user_sgpr_flat_scratch_init 0
		.amdhsa_user_sgpr_kernarg_preload_length 0
		.amdhsa_user_sgpr_kernarg_preload_offset 0
		.amdhsa_user_sgpr_private_segment_size 0
		.amdhsa_uses_dynamic_stack 0
		.amdhsa_system_sgpr_private_segment_wavefront_offset 0
		.amdhsa_system_sgpr_workgroup_id_x 1
		.amdhsa_system_sgpr_workgroup_id_y 0
		.amdhsa_system_sgpr_workgroup_id_z 1
		.amdhsa_system_sgpr_workgroup_info 0
		.amdhsa_system_vgpr_workitem_id 0
		.amdhsa_next_free_vgpr 25
		.amdhsa_next_free_sgpr 37
		.amdhsa_accum_offset 28
		.amdhsa_reserve_vcc 1
		.amdhsa_reserve_flat_scratch 0
		.amdhsa_float_round_mode_32 0
		.amdhsa_float_round_mode_16_64 0
		.amdhsa_float_denorm_mode_32 3
		.amdhsa_float_denorm_mode_16_64 3
		.amdhsa_dx10_clamp 1
		.amdhsa_ieee_mode 1
		.amdhsa_fp16_overflow 0
		.amdhsa_tg_split 0
		.amdhsa_exception_fp_ieee_invalid_op 0
		.amdhsa_exception_fp_denorm_src 0
		.amdhsa_exception_fp_ieee_div_zero 0
		.amdhsa_exception_fp_ieee_overflow 0
		.amdhsa_exception_fp_ieee_underflow 0
		.amdhsa_exception_fp_ieee_inexact 0
		.amdhsa_exception_int_div_zero 0
	.end_amdhsa_kernel
	.section	.text._ZL38rocblas_trsm_small_left_device_sharedBILi4ELi4ELb0EddPKdPdEv13rocblas_fill_18rocblas_operation_17rocblas_diagonal_iiT3_T4_lilT5_lili,"axG",@progbits,_ZL38rocblas_trsm_small_left_device_sharedBILi4ELi4ELb0EddPKdPdEv13rocblas_fill_18rocblas_operation_17rocblas_diagonal_iiT3_T4_lilT5_lili,comdat
.Lfunc_end67:
	.size	_ZL38rocblas_trsm_small_left_device_sharedBILi4ELi4ELb0EddPKdPdEv13rocblas_fill_18rocblas_operation_17rocblas_diagonal_iiT3_T4_lilT5_lili, .Lfunc_end67-_ZL38rocblas_trsm_small_left_device_sharedBILi4ELi4ELb0EddPKdPdEv13rocblas_fill_18rocblas_operation_17rocblas_diagonal_iiT3_T4_lilT5_lili
                                        ; -- End function
	.section	.AMDGPU.csdata,"",@progbits
; Kernel info:
; codeLenInByte = 2268
; NumSgprs: 41
; NumVgprs: 25
; NumAgprs: 0
; TotalNumVgprs: 25
; ScratchSize: 0
; MemoryBound: 0
; FloatMode: 240
; IeeeMode: 1
; LDSByteSize: 256 bytes/workgroup (compile time only)
; SGPRBlocks: 5
; VGPRBlocks: 3
; NumSGPRsForWavesPerEU: 41
; NumVGPRsForWavesPerEU: 25
; AccumOffset: 28
; Occupancy: 8
; WaveLimiterHint : 0
; COMPUTE_PGM_RSRC2:SCRATCH_EN: 0
; COMPUTE_PGM_RSRC2:USER_SGPR: 6
; COMPUTE_PGM_RSRC2:TRAP_HANDLER: 0
; COMPUTE_PGM_RSRC2:TGID_X_EN: 1
; COMPUTE_PGM_RSRC2:TGID_Y_EN: 0
; COMPUTE_PGM_RSRC2:TGID_Z_EN: 1
; COMPUTE_PGM_RSRC2:TIDIG_COMP_CNT: 0
; COMPUTE_PGM_RSRC3_GFX90A:ACCUM_OFFSET: 6
; COMPUTE_PGM_RSRC3_GFX90A:TG_SPLIT: 0
	.section	.text._ZL30rocblas_trsm_small_left_deviceILi4ELi4ELb0EddPKdPdEv13rocblas_fill_18rocblas_operation_17rocblas_diagonal_iiT3_T4_lilT5_lili,"axG",@progbits,_ZL30rocblas_trsm_small_left_deviceILi4ELi4ELb0EddPKdPdEv13rocblas_fill_18rocblas_operation_17rocblas_diagonal_iiT3_T4_lilT5_lili,comdat
	.globl	_ZL30rocblas_trsm_small_left_deviceILi4ELi4ELb0EddPKdPdEv13rocblas_fill_18rocblas_operation_17rocblas_diagonal_iiT3_T4_lilT5_lili ; -- Begin function _ZL30rocblas_trsm_small_left_deviceILi4ELi4ELb0EddPKdPdEv13rocblas_fill_18rocblas_operation_17rocblas_diagonal_iiT3_T4_lilT5_lili
	.p2align	8
	.type	_ZL30rocblas_trsm_small_left_deviceILi4ELi4ELb0EddPKdPdEv13rocblas_fill_18rocblas_operation_17rocblas_diagonal_iiT3_T4_lilT5_lili,@function
_ZL30rocblas_trsm_small_left_deviceILi4ELi4ELb0EddPKdPdEv13rocblas_fill_18rocblas_operation_17rocblas_diagonal_iiT3_T4_lilT5_lili: ; @_ZL30rocblas_trsm_small_left_deviceILi4ELi4ELb0EddPKdPdEv13rocblas_fill_18rocblas_operation_17rocblas_diagonal_iiT3_T4_lilT5_lili
; %bb.0:
	s_load_dwordx4 s[12:15], s[4:5], 0x4
	s_load_dwordx4 s[0:3], s[4:5], 0x18
	s_load_dwordx2 s[24:25], s[4:5], 0x28
	s_load_dwordx4 s[8:11], s[4:5], 0x38
	s_load_dwordx2 s[20:21], s[4:5], 0x48
	s_waitcnt lgkmcnt(0)
	s_min_i32 s16, s14, 4
	s_mov_b32 s17, 0
	s_add_i32 s18, s16, -1
	v_cmp_gt_i32_e32 vcc, s16, v0
	s_and_saveexec_b64 s[22:23], vcc
	s_cbranch_execz .LBB68_10
; %bb.1:
	s_load_dword s26, s[4:5], 0x30
	s_mul_i32 s9, s7, s9
	s_mul_hi_u32 s19, s7, s8
	s_add_i32 s9, s19, s9
	s_mul_i32 s8, s7, s8
	s_waitcnt lgkmcnt(0)
	s_ashr_i32 s27, s26, 31
	s_cmp_lt_u32 s18, 3
	v_lshlrev_b32_e32 v1, 3, v0
	s_cbranch_scc1 .LBB68_4
; %bb.2:
	s_lshl_b64 s[28:29], s[8:9], 3
	s_add_u32 s17, s2, s28
	s_addc_u32 s19, s3, s29
	s_lshl_b64 s[28:29], s[24:25], 3
	s_add_u32 s17, s17, s28
	s_addc_u32 s19, s19, s29
	v_mov_b32_e32 v3, s19
	v_add_co_u32_e32 v2, vcc, s17, v1
	s_mul_hi_i32 s36, s26, 24
	s_lshl_b64 s[28:29], s[26:27], 5
	s_lshl_b64 s[30:31], s[26:27], 4
	;; [unrolled: 1-line block ×3, first 2 shown]
	v_addc_co_u32_e32 v3, vcc, 0, v3, vcc
	s_and_b32 s17, s16, -4
	s_mul_i32 s19, s26, 24
	s_mov_b32 s33, 0
	v_mov_b32_e32 v4, s35
	v_mov_b32_e32 v5, s31
	;; [unrolled: 1-line block ×5, first 2 shown]
.LBB68_3:                               ; =>This Inner Loop Header: Depth=1
	v_add_co_u32_e32 v12, vcc, s34, v2
	v_addc_co_u32_e32 v13, vcc, v3, v4, vcc
	v_add_co_u32_e32 v14, vcc, s30, v2
	v_addc_co_u32_e32 v15, vcc, v3, v5, vcc
	v_add_co_u32_e32 v16, vcc, s19, v2
	global_load_dwordx2 v[10:11], v[2:3], off
	v_addc_co_u32_e32 v17, vcc, v3, v6, vcc
	global_load_dwordx2 v[18:19], v[12:13], off
	global_load_dwordx2 v[20:21], v[14:15], off
	;; [unrolled: 1-line block ×3, first 2 shown]
	s_add_i32 s33, s33, 4
	v_add_co_u32_e32 v2, vcc, s28, v2
	v_addc_co_u32_e32 v3, vcc, v3, v7, vcc
	s_cmp_eq_u32 s17, s33
	s_waitcnt vmcnt(2)
	ds_write2_b64 v8, v[10:11], v[18:19] offset1:4
	s_waitcnt vmcnt(0)
	ds_write2_b64 v8, v[20:21], v[22:23] offset0:8 offset1:12
	v_add_u32_e32 v8, 0x80, v8
	s_cbranch_scc0 .LBB68_3
.LBB68_4:
	s_and_b32 s19, s16, 3
	s_cmp_eq_u32 s19, 0
	s_cbranch_scc1 .LBB68_7
; %bb.5:
	s_mul_i32 s28, s27, s17
	s_mul_hi_u32 s29, s26, s17
	s_add_i32 s29, s29, s28
	s_mul_i32 s28, s26, s17
	s_lshl_b64 s[8:9], s[8:9], 3
	s_lshl_b64 s[28:29], s[28:29], 3
	v_lshl_or_b32 v4, s17, 5, v1
	s_add_u32 s17, s8, s28
	s_addc_u32 s28, s9, s29
	s_lshl_b64 s[8:9], s[24:25], 3
	s_add_u32 s8, s17, s8
	s_addc_u32 s9, s28, s9
	s_add_u32 s2, s2, s8
	s_addc_u32 s3, s3, s9
	v_mov_b32_e32 v3, s3
	v_add_co_u32_e32 v2, vcc, s2, v1
	s_lshl_b64 s[2:3], s[26:27], 3
	v_addc_co_u32_e32 v3, vcc, 0, v3, vcc
	v_mov_b32_e32 v1, s3
.LBB68_6:                               ; =>This Inner Loop Header: Depth=1
	global_load_dwordx2 v[6:7], v[2:3], off
	v_add_co_u32_e32 v2, vcc, s2, v2
	s_add_i32 s19, s19, -1
	v_addc_co_u32_e32 v3, vcc, v3, v1, vcc
	s_cmp_lg_u32 s19, 0
	s_waitcnt vmcnt(0)
	ds_write_b64 v4, v[6:7]
	v_add_u32_e32 v4, 32, v4
	s_cbranch_scc1 .LBB68_6
.LBB68_7:
	v_mul_u32_u24_e32 v1, 5, v0
	v_mov_b32_e32 v2, 0
	s_cmpk_lg_i32 s13, 0x84
	v_lshlrev_b32_e32 v1, 3, v1
	v_mov_b32_e32 v3, 0x3ff00000
	s_cbranch_scc0 .LBB68_9
; %bb.8:
	ds_read_b64 v[2:3], v1
	s_waitcnt lgkmcnt(0)
	v_div_scale_f64 v[4:5], s[2:3], v[2:3], v[2:3], 1.0
	v_rcp_f64_e32 v[6:7], v[4:5]
	v_div_scale_f64 v[8:9], vcc, 1.0, v[2:3], 1.0
	v_fma_f64 v[10:11], -v[4:5], v[6:7], 1.0
	v_fmac_f64_e32 v[6:7], v[6:7], v[10:11]
	v_fma_f64 v[10:11], -v[4:5], v[6:7], 1.0
	v_fmac_f64_e32 v[6:7], v[6:7], v[10:11]
	v_mul_f64 v[10:11], v[8:9], v[6:7]
	v_fma_f64 v[4:5], -v[4:5], v[10:11], v[8:9]
	v_div_fmas_f64 v[4:5], v[4:5], v[6:7], v[10:11]
	v_div_fixup_f64 v[2:3], v[4:5], v[2:3], 1.0
.LBB68_9:
	ds_write_b64 v1, v[2:3]
.LBB68_10:
	s_or_b64 exec, exec, s[22:23]
	s_load_dword s2, s[4:5], 0x68
	s_lshl_b32 s8, s6, 2
	s_sub_i32 s3, s15, s8
	s_waitcnt lgkmcnt(0)
	; wave barrier
	s_waitcnt lgkmcnt(0)
	s_add_i32 s2, s2, -1
	s_cmp_ge_u32 s6, s2
	s_cselect_b32 s2, s3, 4
	v_cmp_gt_i32_e32 vcc, s2, v0
	s_and_saveexec_b64 s[2:3], vcc
	s_cbranch_execz .LBB68_41
; %bb.11:
	s_load_dwordx2 s[2:3], s[4:5], 0x58
	s_load_dword s6, s[4:5], 0x50
	v_add_u32_e32 v0, s8, v0
	s_waitcnt lgkmcnt(0)
	s_mul_i32 s3, s7, s3
	s_mul_hi_u32 s4, s7, s2
	s_mul_i32 s2, s7, s2
	s_add_i32 s3, s4, s3
	s_lshl_b64 s[2:3], s[2:3], 3
	s_add_u32 s7, s10, s2
	s_addc_u32 s9, s11, s3
	s_lshl_b64 s[4:5], s[20:21], 3
	s_add_u32 s13, s7, s4
	v_mad_i64_i32 v[0:1], s[6:7], s6, v0, 0
	s_addc_u32 s9, s9, s5
	v_lshlrev_b64 v[2:3], 3, v[0:1]
	v_mov_b32_e32 v1, s9
	v_add_co_u32_e32 v0, vcc, s13, v2
	v_addc_co_u32_e32 v1, vcc, v1, v3, vcc
	s_cmpk_eq_i32 s12, 0x6f
	s_mov_b64 s[6:7], -1
	s_cbranch_scc1 .LBB68_21
; %bb.12:
	s_cmp_gt_i32 s14, 3
	s_cbranch_scc0 .LBB68_14
; %bb.13:
	global_load_dwordx4 v[4:7], v[0:1], off
	global_load_dwordx4 v[8:11], v[0:1], off offset:16
	v_mov_b32_e32 v28, 0
	ds_read2_b64 v[12:15], v28 offset1:10
	ds_read_b128 v[16:19], v28 offset:32
	ds_read_b128 v[20:23], v28 offset:64
	;; [unrolled: 1-line block ×4, first 2 shown]
	s_mov_b32 s6, 4
	s_waitcnt vmcnt(1)
	v_mul_f64 v[4:5], v[4:5], s[0:1]
	s_waitcnt lgkmcnt(4)
	v_mul_f64 v[4:5], v[4:5], v[12:13]
	s_waitcnt lgkmcnt(3)
	;; [unrolled: 2-line block ×3, first 2 shown]
	v_mul_f64 v[16:17], v[4:5], v[20:21]
	v_fma_f64 v[6:7], v[6:7], s[0:1], -v[12:13]
	s_waitcnt lgkmcnt(1)
	v_mul_f64 v[20:21], v[4:5], v[24:25]
	s_waitcnt vmcnt(0)
	v_fma_f64 v[8:9], v[8:9], s[0:1], -v[16:17]
	v_mul_f64 v[6:7], v[6:7], v[18:19]
	v_fma_f64 v[10:11], v[10:11], s[0:1], -v[20:21]
	global_store_dwordx4 v[0:1], v[4:7], off
	s_nop 0
	v_fma_f64 v[4:5], -v[6:7], v[22:23], v[8:9]
	v_fma_f64 v[6:7], -v[6:7], v[26:27], v[10:11]
	v_mul_f64 v[4:5], v[4:5], v[14:15]
	s_waitcnt lgkmcnt(0)
	v_fma_f64 v[6:7], -v[4:5], v[28:29], v[6:7]
	v_mul_f64 v[6:7], v[6:7], v[30:31]
	global_store_dwordx4 v[0:1], v[4:7], off offset:16
	s_cmp_ge_i32 s6, s16
	s_cbranch_scc0 .LBB68_15
	s_branch .LBB68_20
.LBB68_14:
	s_mov_b32 s6, 0
	s_cmp_ge_i32 s6, s16
	s_cbranch_scc1 .LBB68_20
.LBB68_15:
	s_lshl_b32 s8, s6, 5
	s_mov_b32 s7, 0
	s_branch .LBB68_17
.LBB68_16:                              ;   in Loop: Header=BB68_17 Depth=1
	s_mul_i32 s9, s6, 40
	v_mov_b32_e32 v8, s9
	ds_read_b64 v[8:9], v8
	s_add_i32 s6, s6, 1
	s_add_i32 s8, s8, 32
	s_cmp_ge_i32 s6, s16
	s_waitcnt lgkmcnt(0)
	v_mul_f64 v[6:7], v[6:7], v[8:9]
	global_store_dwordx2 v[4:5], v[6:7], off
	s_cbranch_scc1 .LBB68_20
.LBB68_17:                              ; =>This Loop Header: Depth=1
                                        ;     Child Loop BB68_19 Depth 2
	s_lshl_b64 s[12:13], s[6:7], 3
	v_mov_b32_e32 v5, s13
	v_add_co_u32_e32 v4, vcc, s12, v0
	v_addc_co_u32_e32 v5, vcc, v1, v5, vcc
	global_load_dwordx2 v[6:7], v[4:5], off
	s_cmp_eq_u32 s6, 0
	s_waitcnt vmcnt(0)
	v_mul_f64 v[6:7], v[6:7], s[0:1]
	s_cbranch_scc1 .LBB68_16
; %bb.18:                               ;   in Loop: Header=BB68_17 Depth=1
	s_mov_b32 s9, 0
	v_pk_mov_b32 v[8:9], v[0:1], v[0:1] op_sel:[0,1]
	s_mov_b32 s12, s8
.LBB68_19:                              ;   Parent Loop BB68_17 Depth=1
                                        ; =>  This Inner Loop Header: Depth=2
	global_load_dwordx2 v[10:11], v[8:9], off
	v_mov_b32_e32 v12, s12
	ds_read_b64 v[12:13], v12
	s_add_i32 s9, s9, 1
	s_add_i32 s12, s12, 8
	v_add_co_u32_e32 v8, vcc, 8, v8
	v_addc_co_u32_e32 v9, vcc, 0, v9, vcc
	s_cmp_lt_u32 s9, s6
	s_waitcnt vmcnt(0) lgkmcnt(0)
	v_fma_f64 v[6:7], -v[10:11], v[12:13], v[6:7]
	s_cbranch_scc1 .LBB68_19
	s_branch .LBB68_16
.LBB68_20:
	s_mov_b64 s[6:7], 0
.LBB68_21:
	s_and_b64 vcc, exec, s[6:7]
	s_cbranch_vccz .LBB68_41
; %bb.22:
	s_cmp_gt_i32 s14, 3
	s_cbranch_scc0 .LBB68_24
; %bb.23:
	s_ashr_i32 s19, s18, 31
	s_lshl_b64 s[6:7], s[18:19], 3
	v_mov_b32_e32 v4, s7
	v_add_co_u32_e32 v24, vcc, s6, v0
	v_addc_co_u32_e32 v25, vcc, v1, v4, vcc
	global_load_dwordx2 v[26:27], v[24:25], off
	s_mov_b32 s17, 0
	s_lshl_b64 s[6:7], s[16:17], 3
	v_mov_b32_e32 v4, s7
	v_add_co_u32_e32 v8, vcc, s6, v0
	v_addc_co_u32_e32 v9, vcc, v1, v4, vcc
	global_load_dwordx2 v[28:29], v[8:9], off offset:-16
	global_load_dwordx4 v[4:7], v[8:9], off offset:-32
	s_add_i32 s7, s16, -2
	s_lshl_b32 s8, s18, 2
	s_add_i32 s13, s7, s8
	s_mul_i32 s6, s18, 40
	s_lshl_b32 s13, s13, 3
	s_lshl_b32 s9, s16, 2
	s_add_i32 s12, s16, -4
	s_sub_i32 s14, s6, 40
	v_mov_b32_e32 v8, s13
	s_ashr_i32 s17, s16, 31
	s_add_i32 s8, s12, s8
	s_lshl_b32 s15, s7, 2
	s_add_i32 s9, s9, s12
	v_mov_b32_e32 v12, s14
	ds_read2_b64 v[8:11], v8 offset1:1
	ds_read_b64 v[30:31], v12
	s_add_i32 s19, s6, 0xffffff88
	s_lshl_b64 s[6:7], s[16:17], 3
	s_lshl_b32 s8, s8, 3
	s_add_i32 s12, s12, s15
	s_lshl_b32 s9, s9, 3
	v_mov_b32_e32 v13, s7
	v_mov_b32_e32 v14, s8
	s_lshl_b32 s7, s12, 3
	s_add_i32 s8, s9, 0xffffffa0
	v_mov_b32_e32 v34, s19
	v_add_co_u32_e32 v32, vcc, s6, v0
	v_mov_b32_e32 v16, s7
	v_mov_b32_e32 v20, s8
	v_addc_co_u32_e32 v33, vcc, v1, v13, vcc
	ds_read2_b64 v[12:15], v14 offset1:1
	ds_read2_b64 v[16:19], v16 offset1:1
	;; [unrolled: 1-line block ×3, first 2 shown]
	ds_read_b64 v[34:35], v34
	s_add_i32 s8, s16, -5
	s_waitcnt vmcnt(2)
	v_mul_f64 v[26:27], v[26:27], s[0:1]
	s_waitcnt lgkmcnt(5)
	v_mul_f64 v[10:11], v[26:27], v[10:11]
	v_mul_f64 v[8:9], v[10:11], v[8:9]
	s_waitcnt lgkmcnt(3)
	v_mul_f64 v[14:15], v[10:11], v[14:15]
	global_store_dwordx2 v[24:25], v[10:11], off
	v_mul_f64 v[10:11], v[10:11], v[12:13]
	s_waitcnt vmcnt(2)
	v_fma_f64 v[8:9], v[28:29], s[0:1], -v[8:9]
	s_waitcnt vmcnt(1)
	v_fma_f64 v[6:7], v[6:7], s[0:1], -v[14:15]
	v_mul_f64 v[8:9], v[8:9], v[30:31]
	v_fma_f64 v[4:5], v[4:5], s[0:1], -v[10:11]
	s_waitcnt lgkmcnt(2)
	v_fma_f64 v[6:7], -v[8:9], v[18:19], v[6:7]
	v_fma_f64 v[4:5], -v[8:9], v[16:17], v[4:5]
	s_waitcnt lgkmcnt(1)
	v_mul_f64 v[6:7], v[6:7], v[22:23]
	v_fma_f64 v[4:5], -v[6:7], v[20:21], v[4:5]
	s_waitcnt lgkmcnt(0)
	v_mul_f64 v[4:5], v[4:5], v[34:35]
	global_store_dwordx2 v[32:33], v[8:9], off offset:-16
	global_store_dwordx4 v[32:33], v[4:7], off offset:-32
	s_cmp_lt_i32 s8, 0
	s_cbranch_scc0 .LBB68_25
	s_branch .LBB68_41
.LBB68_24:
	s_mov_b32 s8, s18
	s_cmp_lt_i32 s8, 0
	s_cbranch_scc1 .LBB68_41
.LBB68_25:
	s_add_i32 s6, s8, 1
	s_and_b32 s9, s6, 3
	s_cmp_eq_u32 s9, 0
	s_mov_b32 s6, s8
	s_cbranch_scc1 .LBB68_30
; %bb.26:
	s_lshl_b32 s6, s16, 5
	s_lshl_b32 s7, s8, 3
	s_add_i32 s6, s6, s7
	s_ashr_i32 s19, s18, 31
	s_sub_i32 s12, s6, 32
	s_lshl_b64 s[6:7], s[18:19], 3
	s_add_u32 s6, s10, s6
	s_addc_u32 s7, s11, s7
	s_add_u32 s6, s6, s4
	s_addc_u32 s7, s7, s5
	;; [unrolled: 2-line block ×3, first 2 shown]
	v_mov_b32_e32 v5, s7
	v_add_co_u32_e32 v4, vcc, s6, v2
	s_mov_b32 s7, 0
	v_addc_co_u32_e32 v5, vcc, v5, v3, vcc
	s_mov_b32 s6, s8
	s_mov_b32 s13, s7
	s_branch .LBB68_28
.LBB68_27:                              ;   in Loop: Header=BB68_28 Depth=1
	s_mul_i32 s14, s6, 40
	v_mov_b32_e32 v8, s14
	ds_read_b64 v[8:9], v8
	s_ashr_i32 s15, s6, 31
	s_mov_b32 s14, s6
	s_lshl_b64 s[14:15], s[14:15], 3
	v_mov_b32_e32 v10, s15
	s_waitcnt lgkmcnt(0)
	v_mul_f64 v[6:7], v[6:7], v[8:9]
	v_add_co_u32_e32 v8, vcc, s14, v0
	s_add_i32 s6, s6, -1
	s_add_i32 s13, s13, 1
	s_add_i32 s12, s12, -8
	v_addc_co_u32_e32 v9, vcc, v1, v10, vcc
	s_cmp_lg_u32 s13, s9
	global_store_dwordx2 v[8:9], v[6:7], off
	s_cbranch_scc0 .LBB68_30
.LBB68_28:                              ; =>This Loop Header: Depth=1
                                        ;     Child Loop BB68_29 Depth 2
	s_lshl_b64 s[14:15], s[6:7], 3
	v_mov_b32_e32 v7, s15
	v_add_co_u32_e32 v6, vcc, s14, v0
	v_addc_co_u32_e32 v7, vcc, v1, v7, vcc
	global_load_dwordx2 v[6:7], v[6:7], off
	v_pk_mov_b32 v[8:9], v[4:5], v[4:5] op_sel:[0,1]
	s_mov_b32 s14, s12
	s_cmp_le_i32 s18, s6
	s_mov_b32 s15, s18
	s_waitcnt vmcnt(0)
	v_mul_f64 v[6:7], v[6:7], s[0:1]
	s_cbranch_scc1 .LBB68_27
.LBB68_29:                              ;   Parent Loop BB68_28 Depth=1
                                        ; =>  This Inner Loop Header: Depth=2
	global_load_dwordx2 v[10:11], v[8:9], off
	v_mov_b32_e32 v12, s14
	ds_read_b64 v[12:13], v12
	s_add_i32 s15, s15, -1
	s_sub_i32 s14, s14, 32
	v_add_co_u32_e32 v8, vcc, -8, v8
	v_addc_co_u32_e32 v9, vcc, -1, v9, vcc
	s_cmp_gt_i32 s15, s6
	s_waitcnt vmcnt(0) lgkmcnt(0)
	v_fma_f64 v[6:7], -v[10:11], v[12:13], v[6:7]
	s_cbranch_scc1 .LBB68_29
	s_branch .LBB68_27
.LBB68_30:
	s_cmp_lt_u32 s8, 3
	s_cbranch_scc1 .LBB68_41
; %bb.31:
	s_lshl_b32 s7, s16, 5
	s_lshl_b32 s8, s6, 3
	s_add_i32 s7, s7, s8
	s_ashr_i32 s19, s18, 31
	s_sub_i32 s8, s7, 32
	s_lshl_b64 s[12:13], s[18:19], 3
	s_add_u32 s9, s10, s12
	s_addc_u32 s10, s11, s13
	s_add_u32 s4, s9, s4
	s_addc_u32 s5, s10, s5
	;; [unrolled: 2-line block ×3, first 2 shown]
	v_mov_b32_e32 v4, s3
	v_add_co_u32_e32 v2, vcc, s2, v2
	v_addc_co_u32_e32 v3, vcc, v4, v3, vcc
	s_sub_i32 s4, s7, 40
	s_sub_i32 s5, s7, 48
	;; [unrolled: 1-line block ×3, first 2 shown]
	s_mov_b32 s7, 0
	s_branch .LBB68_33
.LBB68_32:                              ;   in Loop: Header=BB68_33 Depth=1
	s_sub_i32 s2, s3, 40
	v_mov_b32_e32 v8, s2
	ds_read_b64 v[8:9], v8
	s_add_i32 s2, s6, -4
	s_sub_i32 s8, s8, 32
	s_sub_i32 s4, s4, 32
	;; [unrolled: 1-line block ×4, first 2 shown]
	s_waitcnt lgkmcnt(0)
	v_mul_f64 v[6:7], v[6:7], v[8:9]
	s_cmp_lt_i32 s6, 4
	s_mov_b32 s6, s2
	global_store_dwordx2 v[4:5], v[6:7], off offset:-24
	s_cbranch_scc1 .LBB68_41
.LBB68_33:                              ; =>This Loop Header: Depth=1
                                        ;     Child Loop BB68_34 Depth 2
                                        ;     Child Loop BB68_36 Depth 2
	;; [unrolled: 1-line block ×4, first 2 shown]
	s_lshl_b64 s[2:3], s[6:7], 3
	v_mov_b32_e32 v5, s3
	v_add_co_u32_e32 v4, vcc, s2, v0
	v_addc_co_u32_e32 v5, vcc, v1, v5, vcc
	global_load_dwordx2 v[6:7], v[4:5], off
	v_pk_mov_b32 v[4:5], v[2:3], v[2:3] op_sel:[0,1]
	s_mov_b32 s2, s8
	s_cmp_le_i32 s18, s6
	s_mov_b32 s3, s18
	s_waitcnt vmcnt(0)
	v_mul_f64 v[6:7], v[6:7], s[0:1]
	s_cbranch_scc1 .LBB68_35
.LBB68_34:                              ;   Parent Loop BB68_33 Depth=1
                                        ; =>  This Inner Loop Header: Depth=2
	global_load_dwordx2 v[8:9], v[4:5], off
	v_mov_b32_e32 v10, s2
	ds_read_b64 v[10:11], v10
	s_add_i32 s3, s3, -1
	s_sub_i32 s2, s2, 32
	v_add_co_u32_e32 v4, vcc, -8, v4
	v_addc_co_u32_e32 v5, vcc, -1, v5, vcc
	s_cmp_gt_i32 s3, s6
	s_waitcnt vmcnt(0) lgkmcnt(0)
	v_fma_f64 v[6:7], -v[8:9], v[10:11], v[6:7]
	s_cbranch_scc1 .LBB68_34
.LBB68_35:                              ;   in Loop: Header=BB68_33 Depth=1
	s_add_i32 s2, s6, -1
	s_mov_b32 s3, s7
	s_lshl_b64 s[2:3], s[2:3], 3
	v_mov_b32_e32 v5, s3
	v_add_co_u32_e32 v4, vcc, s2, v0
	v_addc_co_u32_e32 v5, vcc, v1, v5, vcc
	global_load_dwordx2 v[10:11], v[4:5], off
	s_mul_i32 s10, s6, 40
	v_mov_b32_e32 v4, s10
	ds_read_b64 v[12:13], v4
	s_ashr_i32 s13, s6, 31
	s_mov_b32 s12, s6
	s_lshl_b64 s[12:13], s[12:13], 3
	v_mov_b32_e32 v5, s13
	v_add_co_u32_e32 v4, vcc, s12, v0
	v_addc_co_u32_e32 v5, vcc, v1, v5, vcc
	s_waitcnt lgkmcnt(0)
	v_mul_f64 v[6:7], v[6:7], v[12:13]
	v_pk_mov_b32 v[8:9], v[2:3], v[2:3] op_sel:[0,1]
	s_mov_b32 s2, s4
	s_cmp_lt_i32 s18, s6
	global_store_dwordx2 v[4:5], v[6:7], off
	s_mov_b32 s3, s16
	s_waitcnt vmcnt(1)
	v_mul_f64 v[6:7], v[10:11], s[0:1]
	s_cbranch_scc1 .LBB68_37
.LBB68_36:                              ;   Parent Loop BB68_33 Depth=1
                                        ; =>  This Inner Loop Header: Depth=2
	global_load_dwordx2 v[10:11], v[8:9], off
	v_mov_b32_e32 v12, s2
	ds_read_b64 v[12:13], v12
	s_add_i32 s3, s3, -1
	s_sub_i32 s2, s2, 32
	v_add_co_u32_e32 v8, vcc, -8, v8
	v_addc_co_u32_e32 v9, vcc, -1, v9, vcc
	s_cmp_gt_i32 s3, s6
	s_waitcnt vmcnt(0) lgkmcnt(0)
	v_fma_f64 v[6:7], -v[10:11], v[12:13], v[6:7]
	s_cbranch_scc1 .LBB68_36
.LBB68_37:                              ;   in Loop: Header=BB68_33 Depth=1
	s_add_i32 s2, s6, -2
	s_mov_b32 s3, s7
	s_lshl_b64 s[12:13], s[2:3], 3
	v_mov_b32_e32 v9, s13
	v_add_co_u32_e32 v8, vcc, s12, v0
	v_addc_co_u32_e32 v9, vcc, v1, v9, vcc
	global_load_dwordx2 v[10:11], v[8:9], off
	s_sub_i32 s10, s10, 40
	v_mov_b32_e32 v8, s10
	ds_read_b64 v[12:13], v8
	v_pk_mov_b32 v[8:9], v[2:3], v[2:3] op_sel:[0,1]
	s_mov_b32 s3, s5
	s_cmp_le_i32 s18, s2
	s_mov_b32 s11, s18
	s_waitcnt lgkmcnt(0)
	v_mul_f64 v[6:7], v[6:7], v[12:13]
	global_store_dwordx2 v[4:5], v[6:7], off offset:-8
	s_waitcnt vmcnt(1)
	v_mul_f64 v[6:7], v[10:11], s[0:1]
	s_cbranch_scc1 .LBB68_39
.LBB68_38:                              ;   Parent Loop BB68_33 Depth=1
                                        ; =>  This Inner Loop Header: Depth=2
	global_load_dwordx2 v[10:11], v[8:9], off
	v_mov_b32_e32 v12, s3
	ds_read_b64 v[12:13], v12
	s_add_i32 s11, s11, -1
	s_sub_i32 s3, s3, 32
	v_add_co_u32_e32 v8, vcc, -8, v8
	v_addc_co_u32_e32 v9, vcc, -1, v9, vcc
	s_cmp_gt_i32 s11, s2
	s_waitcnt vmcnt(0) lgkmcnt(0)
	v_fma_f64 v[6:7], -v[10:11], v[12:13], v[6:7]
	s_cbranch_scc1 .LBB68_38
.LBB68_39:                              ;   in Loop: Header=BB68_33 Depth=1
	s_add_i32 s2, s6, -3
	s_mov_b32 s3, s7
	s_lshl_b64 s[12:13], s[2:3], 3
	v_mov_b32_e32 v9, s13
	v_add_co_u32_e32 v8, vcc, s12, v0
	v_addc_co_u32_e32 v9, vcc, v1, v9, vcc
	global_load_dwordx2 v[10:11], v[8:9], off
	s_sub_i32 s3, s10, 40
	v_mov_b32_e32 v8, s3
	ds_read_b64 v[12:13], v8
	v_pk_mov_b32 v[8:9], v[2:3], v[2:3] op_sel:[0,1]
	s_mov_b32 s10, s9
	s_cmp_le_i32 s18, s2
	s_mov_b32 s11, s18
	s_waitcnt lgkmcnt(0)
	v_mul_f64 v[6:7], v[6:7], v[12:13]
	global_store_dwordx2 v[4:5], v[6:7], off offset:-16
	s_waitcnt vmcnt(1)
	v_mul_f64 v[6:7], v[10:11], s[0:1]
	s_cbranch_scc1 .LBB68_32
.LBB68_40:                              ;   Parent Loop BB68_33 Depth=1
                                        ; =>  This Inner Loop Header: Depth=2
	global_load_dwordx2 v[10:11], v[8:9], off
	v_mov_b32_e32 v12, s10
	ds_read_b64 v[12:13], v12
	s_add_i32 s11, s11, -1
	s_sub_i32 s10, s10, 32
	v_add_co_u32_e32 v8, vcc, -8, v8
	v_addc_co_u32_e32 v9, vcc, -1, v9, vcc
	s_cmp_gt_i32 s11, s2
	s_waitcnt vmcnt(0) lgkmcnt(0)
	v_fma_f64 v[6:7], -v[10:11], v[12:13], v[6:7]
	s_cbranch_scc1 .LBB68_40
	s_branch .LBB68_32
.LBB68_41:
	s_endpgm
	.section	.rodata,"a",@progbits
	.p2align	6, 0x0
	.amdhsa_kernel _ZL30rocblas_trsm_small_left_deviceILi4ELi4ELb0EddPKdPdEv13rocblas_fill_18rocblas_operation_17rocblas_diagonal_iiT3_T4_lilT5_lili
		.amdhsa_group_segment_fixed_size 128
		.amdhsa_private_segment_fixed_size 0
		.amdhsa_kernarg_size 360
		.amdhsa_user_sgpr_count 6
		.amdhsa_user_sgpr_private_segment_buffer 1
		.amdhsa_user_sgpr_dispatch_ptr 0
		.amdhsa_user_sgpr_queue_ptr 0
		.amdhsa_user_sgpr_kernarg_segment_ptr 1
		.amdhsa_user_sgpr_dispatch_id 0
		.amdhsa_user_sgpr_flat_scratch_init 0
		.amdhsa_user_sgpr_kernarg_preload_length 0
		.amdhsa_user_sgpr_kernarg_preload_offset 0
		.amdhsa_user_sgpr_private_segment_size 0
		.amdhsa_uses_dynamic_stack 0
		.amdhsa_system_sgpr_private_segment_wavefront_offset 0
		.amdhsa_system_sgpr_workgroup_id_x 1
		.amdhsa_system_sgpr_workgroup_id_y 0
		.amdhsa_system_sgpr_workgroup_id_z 1
		.amdhsa_system_sgpr_workgroup_info 0
		.amdhsa_system_vgpr_workitem_id 0
		.amdhsa_next_free_vgpr 36
		.amdhsa_next_free_sgpr 37
		.amdhsa_accum_offset 36
		.amdhsa_reserve_vcc 1
		.amdhsa_reserve_flat_scratch 0
		.amdhsa_float_round_mode_32 0
		.amdhsa_float_round_mode_16_64 0
		.amdhsa_float_denorm_mode_32 3
		.amdhsa_float_denorm_mode_16_64 3
		.amdhsa_dx10_clamp 1
		.amdhsa_ieee_mode 1
		.amdhsa_fp16_overflow 0
		.amdhsa_tg_split 0
		.amdhsa_exception_fp_ieee_invalid_op 0
		.amdhsa_exception_fp_denorm_src 0
		.amdhsa_exception_fp_ieee_div_zero 0
		.amdhsa_exception_fp_ieee_overflow 0
		.amdhsa_exception_fp_ieee_underflow 0
		.amdhsa_exception_fp_ieee_inexact 0
		.amdhsa_exception_int_div_zero 0
	.end_amdhsa_kernel
	.section	.text._ZL30rocblas_trsm_small_left_deviceILi4ELi4ELb0EddPKdPdEv13rocblas_fill_18rocblas_operation_17rocblas_diagonal_iiT3_T4_lilT5_lili,"axG",@progbits,_ZL30rocblas_trsm_small_left_deviceILi4ELi4ELb0EddPKdPdEv13rocblas_fill_18rocblas_operation_17rocblas_diagonal_iiT3_T4_lilT5_lili,comdat
.Lfunc_end68:
	.size	_ZL30rocblas_trsm_small_left_deviceILi4ELi4ELb0EddPKdPdEv13rocblas_fill_18rocblas_operation_17rocblas_diagonal_iiT3_T4_lilT5_lili, .Lfunc_end68-_ZL30rocblas_trsm_small_left_deviceILi4ELi4ELb0EddPKdPdEv13rocblas_fill_18rocblas_operation_17rocblas_diagonal_iiT3_T4_lilT5_lili
                                        ; -- End function
	.section	.AMDGPU.csdata,"",@progbits
; Kernel info:
; codeLenInByte = 2688
; NumSgprs: 41
; NumVgprs: 36
; NumAgprs: 0
; TotalNumVgprs: 36
; ScratchSize: 0
; MemoryBound: 0
; FloatMode: 240
; IeeeMode: 1
; LDSByteSize: 128 bytes/workgroup (compile time only)
; SGPRBlocks: 5
; VGPRBlocks: 4
; NumSGPRsForWavesPerEU: 41
; NumVGPRsForWavesPerEU: 36
; AccumOffset: 36
; Occupancy: 8
; WaveLimiterHint : 0
; COMPUTE_PGM_RSRC2:SCRATCH_EN: 0
; COMPUTE_PGM_RSRC2:USER_SGPR: 6
; COMPUTE_PGM_RSRC2:TRAP_HANDLER: 0
; COMPUTE_PGM_RSRC2:TGID_X_EN: 1
; COMPUTE_PGM_RSRC2:TGID_Y_EN: 0
; COMPUTE_PGM_RSRC2:TGID_Z_EN: 1
; COMPUTE_PGM_RSRC2:TIDIG_COMP_CNT: 0
; COMPUTE_PGM_RSRC3_GFX90A:ACCUM_OFFSET: 8
; COMPUTE_PGM_RSRC3_GFX90A:TG_SPLIT: 0
	.section	.text._ZL38rocblas_trsm_small_left_device_sharedBILi4ELi4ELb1EddPKdPdEv13rocblas_fill_18rocblas_operation_17rocblas_diagonal_iiT3_T4_lilT5_lili,"axG",@progbits,_ZL38rocblas_trsm_small_left_device_sharedBILi4ELi4ELb1EddPKdPdEv13rocblas_fill_18rocblas_operation_17rocblas_diagonal_iiT3_T4_lilT5_lili,comdat
	.globl	_ZL38rocblas_trsm_small_left_device_sharedBILi4ELi4ELb1EddPKdPdEv13rocblas_fill_18rocblas_operation_17rocblas_diagonal_iiT3_T4_lilT5_lili ; -- Begin function _ZL38rocblas_trsm_small_left_device_sharedBILi4ELi4ELb1EddPKdPdEv13rocblas_fill_18rocblas_operation_17rocblas_diagonal_iiT3_T4_lilT5_lili
	.p2align	8
	.type	_ZL38rocblas_trsm_small_left_device_sharedBILi4ELi4ELb1EddPKdPdEv13rocblas_fill_18rocblas_operation_17rocblas_diagonal_iiT3_T4_lilT5_lili,@function
_ZL38rocblas_trsm_small_left_device_sharedBILi4ELi4ELb1EddPKdPdEv13rocblas_fill_18rocblas_operation_17rocblas_diagonal_iiT3_T4_lilT5_lili: ; @_ZL38rocblas_trsm_small_left_device_sharedBILi4ELi4ELb1EddPKdPdEv13rocblas_fill_18rocblas_operation_17rocblas_diagonal_iiT3_T4_lilT5_lili
; %bb.0:
	s_load_dwordx4 s[0:3], s[4:5], 0x4
	s_load_dwordx4 s[8:11], s[4:5], 0x18
	s_load_dwordx2 s[20:21], s[4:5], 0x28
	s_load_dwordx4 s[12:15], s[4:5], 0x38
	s_load_dwordx2 s[16:17], s[4:5], 0x48
	s_waitcnt lgkmcnt(0)
	s_min_i32 s30, s2, 4
	s_mov_b32 s33, 0
	s_add_i32 s31, s30, -1
	v_cmp_gt_i32_e32 vcc, s30, v0
	s_and_saveexec_b64 s[18:19], vcc
	s_cbranch_execz .LBB69_10
; %bb.1:
	s_load_dword s22, s[4:5], 0x30
	s_mul_i32 s13, s7, s13
	s_mul_hi_u32 s24, s7, s12
	s_add_i32 s13, s24, s13
	s_mul_i32 s12, s7, s12
	s_waitcnt lgkmcnt(0)
	s_ashr_i32 s23, s22, 31
	s_cmp_lt_u32 s31, 3
	s_cbranch_scc1 .LBB69_4
; %bb.2:
	s_lshl_b64 s[24:25], s[12:13], 3
	s_add_u32 s26, s10, s24
	s_addc_u32 s27, s11, s25
	s_lshl_b64 s[24:25], s[20:21], 3
	s_add_u32 s24, s26, s24
	s_addc_u32 s25, s27, s25
	v_lshlrev_b32_e32 v1, 3, v0
	v_mov_b32_e32 v3, s25
	v_add_co_u32_e32 v2, vcc, s24, v1
	s_mul_hi_i32 s36, s22, 24
	s_lshl_b64 s[24:25], s[22:23], 5
	s_lshl_b64 s[26:27], s[22:23], 4
	;; [unrolled: 1-line block ×3, first 2 shown]
	v_addc_co_u32_e32 v3, vcc, 0, v3, vcc
	s_and_b32 s33, s30, -4
	s_mul_i32 s34, s22, 24
	s_mov_b32 s35, 0
	v_mov_b32_e32 v4, s29
	v_mov_b32_e32 v5, s27
	;; [unrolled: 1-line block ×4, first 2 shown]
.LBB69_3:                               ; =>This Inner Loop Header: Depth=1
	v_add_co_u32_e32 v10, vcc, s28, v2
	v_addc_co_u32_e32 v11, vcc, v3, v4, vcc
	v_add_co_u32_e32 v12, vcc, s26, v2
	v_addc_co_u32_e32 v13, vcc, v3, v5, vcc
	v_add_co_u32_e32 v14, vcc, s34, v2
	global_load_dwordx2 v[8:9], v[2:3], off
	v_addc_co_u32_e32 v15, vcc, v3, v6, vcc
	global_load_dwordx2 v[16:17], v[10:11], off
	global_load_dwordx2 v[18:19], v[12:13], off
	;; [unrolled: 1-line block ×3, first 2 shown]
	s_add_i32 s35, s35, 4
	v_add_co_u32_e32 v2, vcc, s24, v2
	v_addc_co_u32_e32 v3, vcc, v3, v7, vcc
	s_cmp_eq_u32 s33, s35
	s_waitcnt vmcnt(2)
	ds_write2_b64 v1, v[8:9], v[16:17] offset1:4
	s_waitcnt vmcnt(0)
	ds_write2_b64 v1, v[18:19], v[20:21] offset0:8 offset1:12
	v_add_u32_e32 v1, 0x80, v1
	s_cbranch_scc0 .LBB69_3
.LBB69_4:
	s_and_b32 s24, s30, 3
	s_cmp_eq_u32 s24, 0
	s_cbranch_scc1 .LBB69_7
; %bb.5:
	s_mul_i32 s25, s23, s33
	s_mul_hi_u32 s26, s22, s33
	s_add_i32 s27, s26, s25
	s_mul_i32 s26, s22, s33
	s_lshl_b64 s[12:13], s[12:13], 3
	s_lshl_b64 s[26:27], s[26:27], 3
	s_add_u32 s25, s12, s26
	s_addc_u32 s26, s13, s27
	s_lshl_b64 s[12:13], s[20:21], 3
	s_add_u32 s12, s25, s12
	s_addc_u32 s13, s26, s13
	s_add_u32 s10, s10, s12
	v_lshlrev_b32_e32 v2, 3, v0
	s_addc_u32 s11, s11, s13
	v_lshl_or_b32 v1, s33, 5, v2
	v_mov_b32_e32 v3, s11
	v_add_co_u32_e32 v2, vcc, s10, v2
	s_lshl_b64 s[10:11], s[22:23], 3
	v_addc_co_u32_e32 v3, vcc, 0, v3, vcc
	v_mov_b32_e32 v4, s11
.LBB69_6:                               ; =>This Inner Loop Header: Depth=1
	global_load_dwordx2 v[6:7], v[2:3], off
	v_add_co_u32_e32 v2, vcc, s10, v2
	s_add_i32 s24, s24, -1
	v_addc_co_u32_e32 v3, vcc, v3, v4, vcc
	s_cmp_lg_u32 s24, 0
	s_waitcnt vmcnt(0)
	ds_write_b64 v1, v[6:7]
	v_add_u32_e32 v1, 32, v1
	s_cbranch_scc1 .LBB69_6
.LBB69_7:
	v_mul_u32_u24_e32 v1, 5, v0
	v_mov_b32_e32 v2, 0
	s_cmpk_lg_i32 s1, 0x84
	v_lshlrev_b32_e32 v1, 3, v1
	v_mov_b32_e32 v3, 0x3ff00000
	s_cbranch_scc0 .LBB69_9
; %bb.8:
	ds_read_b64 v[2:3], v1
	s_waitcnt lgkmcnt(0)
	v_div_scale_f64 v[4:5], s[10:11], v[2:3], v[2:3], 1.0
	v_rcp_f64_e32 v[6:7], v[4:5]
	v_div_scale_f64 v[8:9], vcc, 1.0, v[2:3], 1.0
	v_fma_f64 v[10:11], -v[4:5], v[6:7], 1.0
	v_fmac_f64_e32 v[6:7], v[6:7], v[10:11]
	v_fma_f64 v[10:11], -v[4:5], v[6:7], 1.0
	v_fmac_f64_e32 v[6:7], v[6:7], v[10:11]
	v_mul_f64 v[10:11], v[8:9], v[6:7]
	v_fma_f64 v[4:5], -v[4:5], v[10:11], v[8:9]
	v_div_fmas_f64 v[4:5], v[4:5], v[6:7], v[10:11]
	v_div_fixup_f64 v[2:3], v[4:5], v[2:3], 1.0
.LBB69_9:
	ds_write_b64 v1, v[2:3]
.LBB69_10:
	s_or_b64 exec, exec, s[18:19]
	s_load_dword s1, s[4:5], 0x68
	s_load_dwordx2 s[12:13], s[4:5], 0x58
	s_load_dword s10, s[4:5], 0x50
	s_waitcnt lgkmcnt(0)
	s_mul_i32 s5, s7, s13
	s_mul_hi_u32 s11, s7, s12
	s_mul_i32 s4, s7, s12
	s_add_i32 s5, s11, s5
	s_lshl_b64 s[4:5], s[4:5], 3
	s_add_u32 s7, s14, s4
	s_addc_u32 s11, s15, s5
	s_lshl_b64 s[4:5], s[16:17], 3
	s_add_u32 s7, s7, s4
	s_addc_u32 s11, s11, s5
	s_lshl_b32 s4, s6, 2
	s_add_i32 s1, s1, -1
	s_sub_i32 s3, s3, s4
	s_cmp_ge_u32 s6, s1
	s_mul_hi_i32 s5, s10, s4
	s_mul_i32 s4, s10, s4
	s_cselect_b32 s1, s3, 4
	s_lshl_b64 s[4:5], s[4:5], 3
	s_add_u32 s3, s7, s4
	s_addc_u32 s11, s11, s5
	s_cmp_gt_i32 s2, 0
	v_cmp_gt_i32_e32 vcc, s1, v0
	s_cselect_b64 s[4:5], -1, 0
	s_and_b64 s[4:5], vcc, s[4:5]
	s_and_saveexec_b64 s[6:7], s[4:5]
	s_cbranch_execz .LBB69_13
; %bb.11:
	v_mad_i64_i32 v[2:3], s[12:13], s10, v0, 0
	v_lshlrev_b64 v[2:3], 3, v[2:3]
	v_mov_b32_e32 v1, s11
	v_add_co_u32_e32 v2, vcc, s3, v2
	v_addc_co_u32_e32 v3, vcc, v1, v3, vcc
	v_mov_b32_e32 v1, 0x80
	v_lshl_or_b32 v1, v0, 3, v1
	s_mov_b32 s1, s30
.LBB69_12:                              ; =>This Inner Loop Header: Depth=1
	global_load_dwordx2 v[4:5], v[2:3], off
	s_add_i32 s1, s1, -1
	v_add_co_u32_e32 v2, vcc, 8, v2
	v_addc_co_u32_e32 v3, vcc, 0, v3, vcc
	s_cmp_lg_u32 s1, 0
	s_waitcnt vmcnt(0)
	v_mul_f64 v[4:5], v[4:5], s[8:9]
	ds_write_b64 v1, v[4:5]
	v_add_u32_e32 v1, 32, v1
	s_cbranch_scc1 .LBB69_12
.LBB69_13:
	s_or_b64 exec, exec, s[6:7]
	s_cmpk_eq_i32 s0, 0x6f
	s_mov_b64 s[0:1], -1
	s_waitcnt lgkmcnt(0)
	; wave barrier
	s_waitcnt lgkmcnt(0)
	s_cbranch_scc1 .LBB69_30
; %bb.14:
	s_cmp_gt_i32 s2, 3
	s_cbranch_scc0 .LBB69_16
; %bb.15:
	s_lshl_b32 s0, s30, 2
	s_add_i32 s1, s0, -8
	v_or_b32_e32 v2, s1, v0
	s_add_i32 s1, s0, -12
	v_lshlrev_b32_e32 v22, 3, v2
	v_or_b32_e32 v2, s1, v0
	s_add_i32 s0, s0, -16
	v_lshlrev_b32_e32 v23, 3, v2
	v_or_b32_e32 v2, s0, v0
	s_mul_i32 s6, s31, 40
	v_lshlrev_b32_e32 v1, 3, v0
	v_lshlrev_b32_e32 v24, 3, v2
	v_mov_b32_e32 v2, s6
	v_lshl_or_b32 v1, s31, 5, v1
	ds_read_b64 v[6:7], v2
	ds_read_b64 v[8:9], v1 offset:128
	ds_read_b64 v[10:11], v22 offset:128
	;; [unrolled: 1-line block ×4, first 2 shown]
	s_sub_i32 s7, s6, 40
	s_add_i32 s1, s1, s31
	v_mov_b32_e32 v2, s7
	s_waitcnt lgkmcnt(3)
	v_mul_f64 v[16:17], v[8:9], v[6:7]
	s_lshl_b32 s1, s1, 3
	ds_read2_b64 v[2:5], v2 offset1:1
	ds_write_b64 v1, v[16:17] offset:128
	v_mov_b32_e32 v1, s1
	s_add_i32 s1, s6, 0xffffffb0
	v_mov_b32_e32 v6, s1
	ds_read_b64 v[18:19], v1
	ds_read2_b64 v[6:9], v6 offset1:1
	s_add_i32 s0, s0, s31
	s_lshl_b32 s0, s0, 3
	s_waitcnt lgkmcnt(3)
	v_fma_f64 v[4:5], -v[16:17], v[4:5], v[10:11]
	s_add_i32 s0, s0, -8
	v_mul_f64 v[20:21], v[4:5], v[2:3]
	s_waitcnt lgkmcnt(1)
	v_fma_f64 v[2:3], -v[16:17], v[18:19], v[12:13]
	v_mov_b32_e32 v1, s0
	s_waitcnt lgkmcnt(0)
	v_fma_f64 v[12:13], -v[20:21], v[8:9], v[2:3]
	s_add_i32 s0, s6, 0xffffff88
	ds_read2_b64 v[2:5], v1 offset1:1
	v_mov_b32_e32 v1, s0
	ds_read2_b64 v[8:11], v1 offset1:1
	v_mul_f64 v[6:7], v[12:13], v[6:7]
	s_add_i32 s1, s30, -5
	s_waitcnt lgkmcnt(1)
	v_fma_f64 v[4:5], -v[16:17], v[4:5], v[14:15]
	v_fma_f64 v[2:3], -v[20:21], v[2:3], v[4:5]
	s_waitcnt lgkmcnt(0)
	v_fma_f64 v[2:3], -v[6:7], v[10:11], v[2:3]
	v_mul_f64 v[2:3], v[2:3], v[8:9]
	ds_write_b64 v22, v[20:21] offset:128
	ds_write_b64 v23, v[6:7] offset:128
	;; [unrolled: 1-line block ×3, first 2 shown]
	s_cmp_lt_i32 s1, 0
	s_cbranch_scc0 .LBB69_17
	s_branch .LBB69_29
.LBB69_16:
	s_mov_b32 s1, s31
	s_cmp_lt_i32 s1, 0
	s_cbranch_scc1 .LBB69_29
.LBB69_17:
	s_bitcmp1_b32 s1, 0
	s_cselect_b64 s[6:7], -1, 0
	s_and_b64 vcc, exec, s[6:7]
	s_mov_b32 s0, s1
	s_cbranch_vccnz .LBB69_22
; %bb.18:
	v_lshlrev_b32_e32 v4, 3, v0
	v_lshl_or_b32 v1, s1, 5, v4
	ds_read_b64 v[2:3], v1 offset:128
	s_cmp_le_i32 s31, s1
	s_cbranch_scc1 .LBB69_21
; %bb.19:
	s_lshl_b32 s0, s1, 5
	s_lshl_b32 s6, s30, 3
	s_add_i32 s0, s0, s6
	v_lshl_or_b32 v4, s30, 5, v4
	s_add_i32 s0, s0, -8
	v_add_u32_e32 v4, 0x60, v4
	s_mov_b32 s6, s31
.LBB69_20:                              ; =>This Inner Loop Header: Depth=1
	v_mov_b32_e32 v5, s0
	ds_read_b64 v[6:7], v4
	ds_read_b64 v[8:9], v5
	s_add_i32 s6, s6, -1
	s_add_i32 s0, s0, -8
	v_subrev_u32_e32 v4, 32, v4
	s_cmp_gt_i32 s6, s1
	s_waitcnt lgkmcnt(0)
	v_fma_f64 v[2:3], -v[6:7], v[8:9], v[2:3]
	s_cbranch_scc1 .LBB69_20
.LBB69_21:
	s_mul_i32 s0, s1, 40
	v_mov_b32_e32 v4, s0
	ds_read_b64 v[4:5], v4
	v_add_u32_e32 v1, 0x80, v1
	s_add_i32 s0, s1, -1
	s_waitcnt lgkmcnt(0)
	v_mul_f64 v[2:3], v[2:3], v[4:5]
	ds_write_b64 v1, v[2:3]
.LBB69_22:
	s_cmp_eq_u32 s1, 0
	s_cbranch_scc1 .LBB69_29
; %bb.23:
	s_lshl_b32 s1, s0, 5
	s_lshl_b32 s6, s30, 3
	v_lshlrev_b32_e32 v1, 3, v0
	s_add_i32 s6, s1, s6
	v_lshl_or_b32 v2, s30, 5, v1
	s_add_i32 s1, s6, -8
	v_add_u32_e32 v6, 0x60, v2
	s_sub_i32 s6, s6, 40
	s_branch .LBB69_25
.LBB69_24:                              ;   in Loop: Header=BB69_25 Depth=1
	s_sub_i32 s7, s7, 40
	v_mov_b32_e32 v5, s7
	ds_read_b64 v[8:9], v5
	s_add_i32 s7, s0, -2
	s_sub_i32 s1, s1, 64
	s_sub_i32 s6, s6, 64
	v_add_u32_e32 v4, 0x80, v7
	s_cmp_lt_i32 s0, 2
	s_waitcnt lgkmcnt(0)
	v_mul_f64 v[2:3], v[2:3], v[8:9]
	s_mov_b32 s0, s7
	ds_write_b64 v4, v[2:3]
	s_cbranch_scc1 .LBB69_29
.LBB69_25:                              ; =>This Loop Header: Depth=1
                                        ;     Child Loop BB69_26 Depth 2
                                        ;     Child Loop BB69_28 Depth 2
	v_lshl_or_b32 v2, s0, 5, v1
	ds_read_b64 v[4:5], v2 offset:128
	s_cmp_le_i32 s31, s0
	v_mov_b32_e32 v3, v6
	s_mov_b32 s7, s1
	s_mov_b32 s8, s31
	s_cbranch_scc1 .LBB69_27
.LBB69_26:                              ;   Parent Loop BB69_25 Depth=1
                                        ; =>  This Inner Loop Header: Depth=2
	v_mov_b32_e32 v7, s7
	ds_read_b64 v[8:9], v3
	ds_read_b64 v[10:11], v7
	s_add_i32 s8, s8, -1
	s_add_i32 s7, s7, -8
	v_subrev_u32_e32 v3, 32, v3
	s_cmp_gt_i32 s8, s0
	s_waitcnt lgkmcnt(0)
	v_fma_f64 v[4:5], -v[8:9], v[10:11], v[4:5]
	s_cbranch_scc1 .LBB69_26
.LBB69_27:                              ;   in Loop: Header=BB69_25 Depth=1
	s_mul_i32 s7, s0, 40
	v_add_u32_e32 v8, 0x80, v2
	v_mov_b32_e32 v2, s7
	s_lshl_b32 s8, s0, 5
	ds_read_b64 v[10:11], v2
	s_sub_i32 s8, s8, 32
	v_lshl_or_b32 v7, v0, 3, s8
	ds_read_b64 v[2:3], v7 offset:128
	s_cmp_lt_i32 s31, s0
	s_waitcnt lgkmcnt(1)
	v_mul_f64 v[4:5], v[4:5], v[10:11]
	ds_write_b64 v8, v[4:5]
	v_mov_b32_e32 v4, v6
	s_mov_b32 s8, s6
	s_mov_b32 s9, s30
	s_cbranch_scc1 .LBB69_24
.LBB69_28:                              ;   Parent Loop BB69_25 Depth=1
                                        ; =>  This Inner Loop Header: Depth=2
	v_mov_b32_e32 v5, s8
	ds_read_b64 v[8:9], v4
	ds_read_b64 v[10:11], v5
	s_add_i32 s9, s9, -1
	s_add_i32 s8, s8, -8
	v_subrev_u32_e32 v4, 32, v4
	s_cmp_gt_i32 s9, s0
	s_waitcnt lgkmcnt(0)
	v_fma_f64 v[2:3], -v[8:9], v[10:11], v[2:3]
	s_cbranch_scc1 .LBB69_28
	s_branch .LBB69_24
.LBB69_29:
	s_mov_b64 s[0:1], 0
.LBB69_30:
	s_and_b64 vcc, exec, s[0:1]
	s_cbranch_vccz .LBB69_39
; %bb.31:
	s_cmp_gt_i32 s2, 3
	s_cbranch_scc0 .LBB69_33
; %bb.32:
	v_lshlrev_b32_e32 v1, 3, v0
	ds_read2_b64 v[2:5], v1 offset0:16 offset1:20
	v_mov_b32_e32 v26, 0
	ds_read_b128 v[6:9], v26
	ds_read2_b64 v[10:13], v1 offset0:24 offset1:28
	ds_read_b128 v[14:17], v26 offset:16
	ds_read2_b64 v[18:21], v26 offset0:5 offset1:6
	ds_read2_b64 v[22:25], v26 offset0:7 offset1:15
	s_mov_b32 s0, 4
	s_waitcnt lgkmcnt(4)
	v_mul_f64 v[6:7], v[2:3], v[6:7]
	v_fma_f64 v[8:9], -v[6:7], v[8:9], v[4:5]
	ds_read_b128 v[2:5], v26 offset:80
	s_waitcnt lgkmcnt(2)
	v_mul_f64 v[8:9], v[8:9], v[18:19]
	v_fma_f64 v[10:11], -v[6:7], v[14:15], v[10:11]
	ds_write2_b64 v1, v[6:7], v[8:9] offset0:16 offset1:20
	v_fma_f64 v[10:11], -v[8:9], v[20:21], v[10:11]
	v_fma_f64 v[6:7], -v[6:7], v[16:17], v[12:13]
	s_waitcnt lgkmcnt(1)
	v_mul_f64 v[2:3], v[10:11], v[2:3]
	v_fma_f64 v[6:7], -v[8:9], v[22:23], v[6:7]
	v_fma_f64 v[4:5], -v[2:3], v[4:5], v[6:7]
	v_mul_f64 v[4:5], v[4:5], v[24:25]
	ds_write2_b64 v1, v[2:3], v[4:5] offset0:24 offset1:28
	s_cmp_ge_i32 s0, s30
	s_cbranch_scc0 .LBB69_34
	s_branch .LBB69_39
.LBB69_33:
	s_mov_b32 s0, 0
	s_cmp_ge_i32 s0, s30
	s_cbranch_scc1 .LBB69_39
.LBB69_34:
	v_mov_b32_e32 v1, 0x80
	s_lshl_b32 s1, s0, 3
	v_lshl_or_b32 v1, v0, 3, v1
	v_lshlrev_b32_e32 v4, 3, v0
	s_branch .LBB69_36
.LBB69_35:                              ;   in Loop: Header=BB69_36 Depth=1
	s_mul_i32 s2, s0, 40
	v_mov_b32_e32 v6, s2
	ds_read_b64 v[6:7], v6
	s_add_i32 s0, s0, 1
	s_add_i32 s1, s1, 8
	v_add_u32_e32 v5, 0x80, v5
	s_cmp_ge_i32 s0, s30
	s_waitcnt lgkmcnt(0)
	v_mul_f64 v[2:3], v[2:3], v[6:7]
	ds_write_b64 v5, v[2:3]
	s_cbranch_scc1 .LBB69_39
.LBB69_36:                              ; =>This Loop Header: Depth=1
                                        ;     Child Loop BB69_38 Depth 2
	v_lshl_or_b32 v5, s0, 5, v4
	ds_read_b64 v[2:3], v5 offset:128
	s_cmp_eq_u32 s0, 0
	s_cbranch_scc1 .LBB69_35
; %bb.37:                               ;   in Loop: Header=BB69_36 Depth=1
	s_mov_b32 s2, 0
	v_mov_b32_e32 v6, v1
	s_mov_b32 s6, s1
.LBB69_38:                              ;   Parent Loop BB69_36 Depth=1
                                        ; =>  This Inner Loop Header: Depth=2
	v_mov_b32_e32 v7, s6
	ds_read_b64 v[8:9], v6
	ds_read_b64 v[10:11], v7
	s_add_i32 s2, s2, 1
	s_add_i32 s6, s6, 32
	v_add_u32_e32 v6, 32, v6
	s_cmp_lt_u32 s2, s0
	s_waitcnt lgkmcnt(0)
	v_fma_f64 v[2:3], -v[8:9], v[10:11], v[2:3]
	s_cbranch_scc1 .LBB69_38
	s_branch .LBB69_35
.LBB69_39:
	s_waitcnt lgkmcnt(0)
	; wave barrier
	s_waitcnt lgkmcnt(0)
	s_and_saveexec_b64 s[0:1], s[4:5]
	s_cbranch_execz .LBB69_42
; %bb.40:
	v_mad_i64_i32 v[2:3], s[0:1], s10, v0, 0
	v_lshlrev_b64 v[2:3], 3, v[2:3]
	v_mov_b32_e32 v1, s11
	v_add_co_u32_e32 v2, vcc, s3, v2
	v_addc_co_u32_e32 v3, vcc, v1, v3, vcc
	v_mov_b32_e32 v1, 0x80
	v_lshl_or_b32 v0, v0, 3, v1
.LBB69_41:                              ; =>This Inner Loop Header: Depth=1
	ds_read_b64 v[4:5], v0
	s_add_i32 s30, s30, -1
	v_add_u32_e32 v0, 32, v0
	s_cmp_lg_u32 s30, 0
	s_waitcnt lgkmcnt(0)
	global_store_dwordx2 v[2:3], v[4:5], off
	v_add_co_u32_e32 v2, vcc, 8, v2
	v_addc_co_u32_e32 v3, vcc, 0, v3, vcc
	s_cbranch_scc1 .LBB69_41
.LBB69_42:
	s_endpgm
	.section	.rodata,"a",@progbits
	.p2align	6, 0x0
	.amdhsa_kernel _ZL38rocblas_trsm_small_left_device_sharedBILi4ELi4ELb1EddPKdPdEv13rocblas_fill_18rocblas_operation_17rocblas_diagonal_iiT3_T4_lilT5_lili
		.amdhsa_group_segment_fixed_size 256
		.amdhsa_private_segment_fixed_size 0
		.amdhsa_kernarg_size 360
		.amdhsa_user_sgpr_count 6
		.amdhsa_user_sgpr_private_segment_buffer 1
		.amdhsa_user_sgpr_dispatch_ptr 0
		.amdhsa_user_sgpr_queue_ptr 0
		.amdhsa_user_sgpr_kernarg_segment_ptr 1
		.amdhsa_user_sgpr_dispatch_id 0
		.amdhsa_user_sgpr_flat_scratch_init 0
		.amdhsa_user_sgpr_kernarg_preload_length 0
		.amdhsa_user_sgpr_kernarg_preload_offset 0
		.amdhsa_user_sgpr_private_segment_size 0
		.amdhsa_uses_dynamic_stack 0
		.amdhsa_system_sgpr_private_segment_wavefront_offset 0
		.amdhsa_system_sgpr_workgroup_id_x 1
		.amdhsa_system_sgpr_workgroup_id_y 0
		.amdhsa_system_sgpr_workgroup_id_z 1
		.amdhsa_system_sgpr_workgroup_info 0
		.amdhsa_system_vgpr_workitem_id 0
		.amdhsa_next_free_vgpr 27
		.amdhsa_next_free_sgpr 37
		.amdhsa_accum_offset 28
		.amdhsa_reserve_vcc 1
		.amdhsa_reserve_flat_scratch 0
		.amdhsa_float_round_mode_32 0
		.amdhsa_float_round_mode_16_64 0
		.amdhsa_float_denorm_mode_32 3
		.amdhsa_float_denorm_mode_16_64 3
		.amdhsa_dx10_clamp 1
		.amdhsa_ieee_mode 1
		.amdhsa_fp16_overflow 0
		.amdhsa_tg_split 0
		.amdhsa_exception_fp_ieee_invalid_op 0
		.amdhsa_exception_fp_denorm_src 0
		.amdhsa_exception_fp_ieee_div_zero 0
		.amdhsa_exception_fp_ieee_overflow 0
		.amdhsa_exception_fp_ieee_underflow 0
		.amdhsa_exception_fp_ieee_inexact 0
		.amdhsa_exception_int_div_zero 0
	.end_amdhsa_kernel
	.section	.text._ZL38rocblas_trsm_small_left_device_sharedBILi4ELi4ELb1EddPKdPdEv13rocblas_fill_18rocblas_operation_17rocblas_diagonal_iiT3_T4_lilT5_lili,"axG",@progbits,_ZL38rocblas_trsm_small_left_device_sharedBILi4ELi4ELb1EddPKdPdEv13rocblas_fill_18rocblas_operation_17rocblas_diagonal_iiT3_T4_lilT5_lili,comdat
.Lfunc_end69:
	.size	_ZL38rocblas_trsm_small_left_device_sharedBILi4ELi4ELb1EddPKdPdEv13rocblas_fill_18rocblas_operation_17rocblas_diagonal_iiT3_T4_lilT5_lili, .Lfunc_end69-_ZL38rocblas_trsm_small_left_device_sharedBILi4ELi4ELb1EddPKdPdEv13rocblas_fill_18rocblas_operation_17rocblas_diagonal_iiT3_T4_lilT5_lili
                                        ; -- End function
	.section	.AMDGPU.csdata,"",@progbits
; Kernel info:
; codeLenInByte = 2240
; NumSgprs: 41
; NumVgprs: 27
; NumAgprs: 0
; TotalNumVgprs: 27
; ScratchSize: 0
; MemoryBound: 0
; FloatMode: 240
; IeeeMode: 1
; LDSByteSize: 256 bytes/workgroup (compile time only)
; SGPRBlocks: 5
; VGPRBlocks: 3
; NumSGPRsForWavesPerEU: 41
; NumVGPRsForWavesPerEU: 27
; AccumOffset: 28
; Occupancy: 8
; WaveLimiterHint : 0
; COMPUTE_PGM_RSRC2:SCRATCH_EN: 0
; COMPUTE_PGM_RSRC2:USER_SGPR: 6
; COMPUTE_PGM_RSRC2:TRAP_HANDLER: 0
; COMPUTE_PGM_RSRC2:TGID_X_EN: 1
; COMPUTE_PGM_RSRC2:TGID_Y_EN: 0
; COMPUTE_PGM_RSRC2:TGID_Z_EN: 1
; COMPUTE_PGM_RSRC2:TIDIG_COMP_CNT: 0
; COMPUTE_PGM_RSRC3_GFX90A:ACCUM_OFFSET: 6
; COMPUTE_PGM_RSRC3_GFX90A:TG_SPLIT: 0
	.section	.text._ZL30rocblas_trsm_small_left_deviceILi4ELi4ELb1EddPKdPdEv13rocblas_fill_18rocblas_operation_17rocblas_diagonal_iiT3_T4_lilT5_lili,"axG",@progbits,_ZL30rocblas_trsm_small_left_deviceILi4ELi4ELb1EddPKdPdEv13rocblas_fill_18rocblas_operation_17rocblas_diagonal_iiT3_T4_lilT5_lili,comdat
	.globl	_ZL30rocblas_trsm_small_left_deviceILi4ELi4ELb1EddPKdPdEv13rocblas_fill_18rocblas_operation_17rocblas_diagonal_iiT3_T4_lilT5_lili ; -- Begin function _ZL30rocblas_trsm_small_left_deviceILi4ELi4ELb1EddPKdPdEv13rocblas_fill_18rocblas_operation_17rocblas_diagonal_iiT3_T4_lilT5_lili
	.p2align	8
	.type	_ZL30rocblas_trsm_small_left_deviceILi4ELi4ELb1EddPKdPdEv13rocblas_fill_18rocblas_operation_17rocblas_diagonal_iiT3_T4_lilT5_lili,@function
_ZL30rocblas_trsm_small_left_deviceILi4ELi4ELb1EddPKdPdEv13rocblas_fill_18rocblas_operation_17rocblas_diagonal_iiT3_T4_lilT5_lili: ; @_ZL30rocblas_trsm_small_left_deviceILi4ELi4ELb1EddPKdPdEv13rocblas_fill_18rocblas_operation_17rocblas_diagonal_iiT3_T4_lilT5_lili
; %bb.0:
	s_load_dwordx4 s[8:11], s[4:5], 0x4
	s_load_dwordx4 s[0:3], s[4:5], 0x18
	s_load_dwordx2 s[24:25], s[4:5], 0x28
	s_load_dwordx4 s[12:15], s[4:5], 0x38
	s_load_dwordx2 s[20:21], s[4:5], 0x48
	s_waitcnt lgkmcnt(0)
	s_min_i32 s16, s10, 4
	s_mov_b32 s17, 0
	s_add_i32 s18, s16, -1
	v_cmp_gt_i32_e32 vcc, s16, v0
	s_and_saveexec_b64 s[22:23], vcc
	s_cbranch_execz .LBB70_10
; %bb.1:
	s_load_dword s26, s[4:5], 0x30
	s_mul_i32 s13, s7, s13
	s_mul_hi_u32 s19, s7, s12
	s_add_i32 s13, s19, s13
	s_mul_i32 s12, s7, s12
	s_waitcnt lgkmcnt(0)
	s_ashr_i32 s27, s26, 31
	s_cmp_lt_u32 s18, 3
	v_lshlrev_b32_e32 v1, 3, v0
	s_cbranch_scc1 .LBB70_4
; %bb.2:
	s_lshl_b64 s[28:29], s[12:13], 3
	s_add_u32 s17, s2, s28
	s_addc_u32 s19, s3, s29
	s_lshl_b64 s[28:29], s[24:25], 3
	s_add_u32 s17, s17, s28
	s_addc_u32 s19, s19, s29
	v_mov_b32_e32 v3, s19
	v_add_co_u32_e32 v2, vcc, s17, v1
	s_mul_hi_i32 s36, s26, 24
	s_lshl_b64 s[28:29], s[26:27], 5
	s_lshl_b64 s[30:31], s[26:27], 4
	s_lshl_b64 s[34:35], s[26:27], 3
	v_addc_co_u32_e32 v3, vcc, 0, v3, vcc
	s_and_b32 s17, s16, -4
	s_mul_i32 s19, s26, 24
	s_mov_b32 s33, 0
	v_mov_b32_e32 v4, s35
	v_mov_b32_e32 v5, s31
	;; [unrolled: 1-line block ×5, first 2 shown]
.LBB70_3:                               ; =>This Inner Loop Header: Depth=1
	v_add_co_u32_e32 v12, vcc, s34, v2
	v_addc_co_u32_e32 v13, vcc, v3, v4, vcc
	v_add_co_u32_e32 v14, vcc, s30, v2
	v_addc_co_u32_e32 v15, vcc, v3, v5, vcc
	v_add_co_u32_e32 v16, vcc, s19, v2
	global_load_dwordx2 v[10:11], v[2:3], off
	v_addc_co_u32_e32 v17, vcc, v3, v6, vcc
	global_load_dwordx2 v[18:19], v[12:13], off
	global_load_dwordx2 v[20:21], v[14:15], off
	;; [unrolled: 1-line block ×3, first 2 shown]
	s_add_i32 s33, s33, 4
	v_add_co_u32_e32 v2, vcc, s28, v2
	v_addc_co_u32_e32 v3, vcc, v3, v7, vcc
	s_cmp_eq_u32 s17, s33
	s_waitcnt vmcnt(2)
	ds_write2_b64 v8, v[10:11], v[18:19] offset1:4
	s_waitcnt vmcnt(0)
	ds_write2_b64 v8, v[20:21], v[22:23] offset0:8 offset1:12
	v_add_u32_e32 v8, 0x80, v8
	s_cbranch_scc0 .LBB70_3
.LBB70_4:
	s_and_b32 s19, s16, 3
	s_cmp_eq_u32 s19, 0
	s_cbranch_scc1 .LBB70_7
; %bb.5:
	s_mul_i32 s28, s27, s17
	s_mul_hi_u32 s29, s26, s17
	s_add_i32 s29, s29, s28
	s_mul_i32 s28, s26, s17
	s_lshl_b64 s[12:13], s[12:13], 3
	s_lshl_b64 s[28:29], s[28:29], 3
	v_lshl_or_b32 v4, s17, 5, v1
	s_add_u32 s17, s12, s28
	s_addc_u32 s28, s13, s29
	s_lshl_b64 s[12:13], s[24:25], 3
	s_add_u32 s12, s17, s12
	s_addc_u32 s13, s28, s13
	s_add_u32 s2, s2, s12
	s_addc_u32 s3, s3, s13
	v_mov_b32_e32 v3, s3
	v_add_co_u32_e32 v2, vcc, s2, v1
	s_lshl_b64 s[2:3], s[26:27], 3
	v_addc_co_u32_e32 v3, vcc, 0, v3, vcc
	v_mov_b32_e32 v1, s3
.LBB70_6:                               ; =>This Inner Loop Header: Depth=1
	global_load_dwordx2 v[6:7], v[2:3], off
	v_add_co_u32_e32 v2, vcc, s2, v2
	s_add_i32 s19, s19, -1
	v_addc_co_u32_e32 v3, vcc, v3, v1, vcc
	s_cmp_lg_u32 s19, 0
	s_waitcnt vmcnt(0)
	ds_write_b64 v4, v[6:7]
	v_add_u32_e32 v4, 32, v4
	s_cbranch_scc1 .LBB70_6
.LBB70_7:
	v_mul_u32_u24_e32 v1, 5, v0
	v_mov_b32_e32 v2, 0
	s_cmpk_lg_i32 s9, 0x84
	v_lshlrev_b32_e32 v1, 3, v1
	v_mov_b32_e32 v3, 0x3ff00000
	s_cbranch_scc0 .LBB70_9
; %bb.8:
	ds_read_b64 v[2:3], v1
	s_waitcnt lgkmcnt(0)
	v_div_scale_f64 v[4:5], s[2:3], v[2:3], v[2:3], 1.0
	v_rcp_f64_e32 v[6:7], v[4:5]
	v_div_scale_f64 v[8:9], vcc, 1.0, v[2:3], 1.0
	v_fma_f64 v[10:11], -v[4:5], v[6:7], 1.0
	v_fmac_f64_e32 v[6:7], v[6:7], v[10:11]
	v_fma_f64 v[10:11], -v[4:5], v[6:7], 1.0
	v_fmac_f64_e32 v[6:7], v[6:7], v[10:11]
	v_mul_f64 v[10:11], v[8:9], v[6:7]
	v_fma_f64 v[4:5], -v[4:5], v[10:11], v[8:9]
	v_div_fmas_f64 v[4:5], v[4:5], v[6:7], v[10:11]
	v_div_fixup_f64 v[2:3], v[4:5], v[2:3], 1.0
.LBB70_9:
	ds_write_b64 v1, v[2:3]
.LBB70_10:
	s_or_b64 exec, exec, s[22:23]
	s_load_dword s2, s[4:5], 0x68
	s_waitcnt lgkmcnt(0)
	; wave barrier
	s_waitcnt lgkmcnt(0)
	s_add_i32 s3, s2, -1
	s_lshl_b32 s2, s6, 2
	s_sub_i32 s9, s11, s2
	s_cmp_ge_u32 s6, s3
	s_cselect_b32 s3, s9, 4
	v_cmp_gt_i32_e32 vcc, s3, v0
	s_and_saveexec_b64 s[12:13], vcc
	s_cbranch_execz .LBB70_41
; %bb.11:
	s_load_dwordx2 s[12:13], s[4:5], 0x58
	s_load_dword s3, s[4:5], 0x50
	v_add_u32_e32 v0, s2, v0
	s_waitcnt lgkmcnt(0)
	s_mul_i32 s5, s7, s13
	s_mul_hi_u32 s6, s7, s12
	s_mul_i32 s4, s7, s12
	s_add_i32 s5, s6, s5
	s_lshl_b64 s[4:5], s[4:5], 3
	s_add_u32 s9, s14, s4
	s_addc_u32 s11, s15, s5
	s_lshl_b64 s[6:7], s[20:21], 3
	s_add_u32 s9, s9, s6
	v_mad_i64_i32 v[0:1], s[2:3], s3, v0, 0
	s_addc_u32 s11, s11, s7
	v_lshlrev_b64 v[2:3], 3, v[0:1]
	v_mov_b32_e32 v1, s11
	v_add_co_u32_e32 v0, vcc, s9, v2
	v_addc_co_u32_e32 v1, vcc, v1, v3, vcc
	s_cmpk_eq_i32 s8, 0x6f
	s_mov_b64 s[2:3], -1
	s_cbranch_scc1 .LBB70_32
; %bb.12:
	s_cmp_gt_i32 s10, 3
	s_cbranch_scc0 .LBB70_14
; %bb.13:
	s_ashr_i32 s19, s18, 31
	s_lshl_b64 s[2:3], s[18:19], 3
	v_mov_b32_e32 v4, s3
	v_add_co_u32_e32 v24, vcc, s2, v0
	v_addc_co_u32_e32 v25, vcc, v1, v4, vcc
	global_load_dwordx2 v[26:27], v[24:25], off
	s_mov_b32 s17, 0
	s_lshl_b64 s[2:3], s[16:17], 3
	v_mov_b32_e32 v4, s3
	v_add_co_u32_e32 v8, vcc, s2, v0
	v_addc_co_u32_e32 v9, vcc, v1, v4, vcc
	global_load_dwordx2 v[28:29], v[8:9], off offset:-16
	global_load_dwordx4 v[4:7], v[8:9], off offset:-32
	s_mul_i32 s2, s18, 40
	s_lshl_b32 s3, s16, 2
	s_sub_i32 s8, s2, 40
	v_mov_b32_e32 v8, s2
	s_ashr_i32 s17, s16, 31
	s_add_i32 s9, s3, s18
	v_mov_b32_e32 v9, s8
	s_add_i32 s11, s2, 0xffffffb0
	s_add_i32 s12, s2, 0xffffff88
	s_lshl_b64 s[2:3], s[16:17], 3
	s_lshl_b32 s8, s9, 3
	ds_read_b64 v[30:31], v8
	ds_read2_b64 v[8:11], v9 offset1:1
	v_mov_b32_e32 v13, s3
	s_add_i32 s3, s8, 0xffffffa0
	s_addk_i32 s8, 0xff78
	v_add_co_u32_e32 v32, vcc, s2, v0
	v_mov_b32_e32 v12, s11
	v_mov_b32_e32 v20, s12
	v_addc_co_u32_e32 v33, vcc, v1, v13, vcc
	v_mov_b32_e32 v13, s3
	v_mov_b32_e32 v16, s8
	ds_read_b64 v[34:35], v13
	ds_read2_b64 v[12:15], v12 offset1:1
	ds_read2_b64 v[16:19], v16 offset1:1
	;; [unrolled: 1-line block ×3, first 2 shown]
	s_add_i32 s8, s16, -5
	s_waitcnt vmcnt(2)
	v_mul_f64 v[26:27], v[26:27], s[0:1]
	s_waitcnt lgkmcnt(5)
	v_mul_f64 v[26:27], v[26:27], v[30:31]
	s_waitcnt lgkmcnt(4)
	v_mul_f64 v[10:11], v[26:27], v[10:11]
	global_store_dwordx2 v[24:25], v[26:27], off
	s_waitcnt lgkmcnt(3)
	v_mul_f64 v[24:25], v[26:27], v[34:35]
	s_waitcnt lgkmcnt(1)
	v_mul_f64 v[18:19], v[26:27], v[18:19]
	s_waitcnt vmcnt(2)
	v_fma_f64 v[10:11], v[28:29], s[0:1], -v[10:11]
	s_waitcnt vmcnt(1)
	v_fma_f64 v[6:7], v[6:7], s[0:1], -v[24:25]
	v_mul_f64 v[8:9], v[10:11], v[8:9]
	v_fma_f64 v[4:5], v[4:5], s[0:1], -v[18:19]
	v_fma_f64 v[6:7], -v[8:9], v[14:15], v[6:7]
	v_fma_f64 v[4:5], -v[8:9], v[16:17], v[4:5]
	v_mul_f64 v[6:7], v[6:7], v[12:13]
	s_waitcnt lgkmcnt(0)
	v_fma_f64 v[4:5], -v[6:7], v[22:23], v[4:5]
	v_mul_f64 v[4:5], v[4:5], v[20:21]
	global_store_dwordx2 v[32:33], v[8:9], off offset:-16
	global_store_dwordx4 v[32:33], v[4:7], off offset:-32
	s_cmp_lt_i32 s8, 0
	s_cbranch_scc0 .LBB70_15
	s_branch .LBB70_31
.LBB70_14:
	s_mov_b32 s8, s18
	s_cmp_lt_i32 s8, 0
	s_cbranch_scc1 .LBB70_31
.LBB70_15:
	s_add_i32 s2, s8, 1
	s_and_b32 s9, s2, 3
	s_cmp_eq_u32 s9, 0
	s_mov_b32 s2, s8
	s_cbranch_scc1 .LBB70_20
; %bb.16:
	s_lshl_b32 s2, s8, 5
	s_lshl_b32 s3, s16, 3
	s_add_i32 s2, s2, s3
	s_ashr_i32 s19, s18, 31
	s_add_i32 s11, s2, -8
	s_lshl_b64 s[2:3], s[18:19], 3
	s_add_u32 s2, s14, s2
	s_addc_u32 s3, s15, s3
	s_add_u32 s2, s2, s6
	s_addc_u32 s3, s3, s7
	;; [unrolled: 2-line block ×3, first 2 shown]
	v_mov_b32_e32 v5, s3
	v_add_co_u32_e32 v4, vcc, s2, v2
	s_mov_b32 s3, 0
	v_addc_co_u32_e32 v5, vcc, v5, v3, vcc
	s_mov_b32 s2, s8
	s_mov_b32 s12, s3
	s_branch .LBB70_18
.LBB70_17:                              ;   in Loop: Header=BB70_18 Depth=1
	s_mul_i32 s13, s2, 40
	v_mov_b32_e32 v8, s13
	ds_read_b64 v[8:9], v8
	s_ashr_i32 s21, s2, 31
	s_mov_b32 s20, s2
	s_lshl_b64 s[20:21], s[20:21], 3
	v_mov_b32_e32 v10, s21
	s_waitcnt lgkmcnt(0)
	v_mul_f64 v[6:7], v[6:7], v[8:9]
	v_add_co_u32_e32 v8, vcc, s20, v0
	s_add_i32 s2, s2, -1
	s_add_i32 s12, s12, 1
	s_sub_i32 s11, s11, 32
	v_addc_co_u32_e32 v9, vcc, v1, v10, vcc
	s_cmp_lg_u32 s12, s9
	global_store_dwordx2 v[8:9], v[6:7], off
	s_cbranch_scc0 .LBB70_20
.LBB70_18:                              ; =>This Loop Header: Depth=1
                                        ;     Child Loop BB70_19 Depth 2
	s_lshl_b64 s[20:21], s[2:3], 3
	v_mov_b32_e32 v7, s21
	v_add_co_u32_e32 v6, vcc, s20, v0
	v_addc_co_u32_e32 v7, vcc, v1, v7, vcc
	global_load_dwordx2 v[6:7], v[6:7], off
	v_pk_mov_b32 v[8:9], v[4:5], v[4:5] op_sel:[0,1]
	s_mov_b32 s13, s11
	s_cmp_le_i32 s18, s2
	s_mov_b32 s17, s18
	s_waitcnt vmcnt(0)
	v_mul_f64 v[6:7], v[6:7], s[0:1]
	s_cbranch_scc1 .LBB70_17
.LBB70_19:                              ;   Parent Loop BB70_18 Depth=1
                                        ; =>  This Inner Loop Header: Depth=2
	global_load_dwordx2 v[10:11], v[8:9], off
	v_mov_b32_e32 v12, s13
	ds_read_b64 v[12:13], v12
	s_add_i32 s17, s17, -1
	s_add_i32 s13, s13, -8
	v_add_co_u32_e32 v8, vcc, -8, v8
	v_addc_co_u32_e32 v9, vcc, -1, v9, vcc
	s_cmp_gt_i32 s17, s2
	s_waitcnt vmcnt(0) lgkmcnt(0)
	v_fma_f64 v[6:7], -v[10:11], v[12:13], v[6:7]
	s_cbranch_scc1 .LBB70_19
	s_branch .LBB70_17
.LBB70_20:
	s_cmp_lt_u32 s8, 3
	s_cbranch_scc1 .LBB70_31
; %bb.21:
	s_lshl_b32 s3, s2, 5
	s_lshl_b32 s8, s16, 3
	s_add_i32 s3, s3, s8
	s_ashr_i32 s19, s18, 31
	s_add_i32 s8, s3, -8
	s_lshl_b64 s[12:13], s[18:19], 3
	s_add_u32 s9, s14, s12
	s_addc_u32 s11, s15, s13
	s_add_u32 s6, s9, s6
	s_addc_u32 s7, s11, s7
	;; [unrolled: 2-line block ×3, first 2 shown]
	v_mov_b32_e32 v4, s5
	v_add_co_u32_e32 v2, vcc, s4, v2
	v_addc_co_u32_e32 v3, vcc, v4, v3, vcc
	s_sub_i32 s6, s3, 40
	s_add_i32 s7, s3, 0xffffffb8
	s_add_i32 s9, s3, 0xffffff98
	s_mov_b32 s3, 0
	s_branch .LBB70_23
.LBB70_22:                              ;   in Loop: Header=BB70_23 Depth=1
	s_sub_i32 s4, s5, 40
	v_mov_b32_e32 v8, s4
	ds_read_b64 v[8:9], v8
	s_add_i32 s4, s2, -4
	s_addk_i32 s8, 0xff80
	s_addk_i32 s6, 0xff80
	;; [unrolled: 1-line block ×4, first 2 shown]
	s_waitcnt lgkmcnt(0)
	v_mul_f64 v[6:7], v[6:7], v[8:9]
	s_cmp_lt_i32 s2, 4
	s_mov_b32 s2, s4
	global_store_dwordx2 v[4:5], v[6:7], off offset:-24
	s_cbranch_scc1 .LBB70_31
.LBB70_23:                              ; =>This Loop Header: Depth=1
                                        ;     Child Loop BB70_24 Depth 2
                                        ;     Child Loop BB70_26 Depth 2
	;; [unrolled: 1-line block ×4, first 2 shown]
	s_lshl_b64 s[4:5], s[2:3], 3
	v_mov_b32_e32 v5, s5
	v_add_co_u32_e32 v4, vcc, s4, v0
	v_addc_co_u32_e32 v5, vcc, v1, v5, vcc
	global_load_dwordx2 v[6:7], v[4:5], off
	v_pk_mov_b32 v[4:5], v[2:3], v[2:3] op_sel:[0,1]
	s_mov_b32 s4, s8
	s_cmp_le_i32 s18, s2
	s_mov_b32 s5, s18
	s_waitcnt vmcnt(0)
	v_mul_f64 v[6:7], v[6:7], s[0:1]
	s_cbranch_scc1 .LBB70_25
.LBB70_24:                              ;   Parent Loop BB70_23 Depth=1
                                        ; =>  This Inner Loop Header: Depth=2
	global_load_dwordx2 v[8:9], v[4:5], off
	v_mov_b32_e32 v10, s4
	ds_read_b64 v[10:11], v10
	s_add_i32 s5, s5, -1
	s_add_i32 s4, s4, -8
	v_add_co_u32_e32 v4, vcc, -8, v4
	v_addc_co_u32_e32 v5, vcc, -1, v5, vcc
	s_cmp_gt_i32 s5, s2
	s_waitcnt vmcnt(0) lgkmcnt(0)
	v_fma_f64 v[6:7], -v[8:9], v[10:11], v[6:7]
	s_cbranch_scc1 .LBB70_24
.LBB70_25:                              ;   in Loop: Header=BB70_23 Depth=1
	s_add_i32 s4, s2, -1
	s_mov_b32 s5, s3
	s_lshl_b64 s[4:5], s[4:5], 3
	v_mov_b32_e32 v5, s5
	v_add_co_u32_e32 v4, vcc, s4, v0
	v_addc_co_u32_e32 v5, vcc, v1, v5, vcc
	global_load_dwordx2 v[10:11], v[4:5], off
	s_mul_i32 s11, s2, 40
	v_mov_b32_e32 v4, s11
	ds_read_b64 v[12:13], v4
	s_ashr_i32 s13, s2, 31
	s_mov_b32 s12, s2
	s_lshl_b64 s[12:13], s[12:13], 3
	v_mov_b32_e32 v5, s13
	v_add_co_u32_e32 v4, vcc, s12, v0
	v_addc_co_u32_e32 v5, vcc, v1, v5, vcc
	s_waitcnt lgkmcnt(0)
	v_mul_f64 v[6:7], v[6:7], v[12:13]
	v_pk_mov_b32 v[8:9], v[2:3], v[2:3] op_sel:[0,1]
	s_mov_b32 s4, s6
	s_cmp_lt_i32 s18, s2
	global_store_dwordx2 v[4:5], v[6:7], off
	s_mov_b32 s5, s16
	s_waitcnt vmcnt(1)
	v_mul_f64 v[6:7], v[10:11], s[0:1]
	s_cbranch_scc1 .LBB70_27
.LBB70_26:                              ;   Parent Loop BB70_23 Depth=1
                                        ; =>  This Inner Loop Header: Depth=2
	global_load_dwordx2 v[10:11], v[8:9], off
	v_mov_b32_e32 v12, s4
	ds_read_b64 v[12:13], v12
	s_add_i32 s5, s5, -1
	s_add_i32 s4, s4, -8
	v_add_co_u32_e32 v8, vcc, -8, v8
	v_addc_co_u32_e32 v9, vcc, -1, v9, vcc
	s_cmp_gt_i32 s5, s2
	s_waitcnt vmcnt(0) lgkmcnt(0)
	v_fma_f64 v[6:7], -v[10:11], v[12:13], v[6:7]
	s_cbranch_scc1 .LBB70_26
.LBB70_27:                              ;   in Loop: Header=BB70_23 Depth=1
	s_add_i32 s4, s2, -2
	s_mov_b32 s5, s3
	s_lshl_b64 s[12:13], s[4:5], 3
	v_mov_b32_e32 v9, s13
	v_add_co_u32_e32 v8, vcc, s12, v0
	v_addc_co_u32_e32 v9, vcc, v1, v9, vcc
	global_load_dwordx2 v[10:11], v[8:9], off
	s_sub_i32 s11, s11, 40
	v_mov_b32_e32 v8, s11
	ds_read_b64 v[12:13], v8
	v_pk_mov_b32 v[8:9], v[2:3], v[2:3] op_sel:[0,1]
	s_mov_b32 s5, s7
	s_cmp_le_i32 s18, s4
	s_mov_b32 s12, s18
	s_waitcnt lgkmcnt(0)
	v_mul_f64 v[6:7], v[6:7], v[12:13]
	global_store_dwordx2 v[4:5], v[6:7], off offset:-8
	s_waitcnt vmcnt(1)
	v_mul_f64 v[6:7], v[10:11], s[0:1]
	s_cbranch_scc1 .LBB70_29
.LBB70_28:                              ;   Parent Loop BB70_23 Depth=1
                                        ; =>  This Inner Loop Header: Depth=2
	global_load_dwordx2 v[10:11], v[8:9], off
	v_mov_b32_e32 v12, s5
	ds_read_b64 v[12:13], v12
	s_add_i32 s12, s12, -1
	s_add_i32 s5, s5, -8
	v_add_co_u32_e32 v8, vcc, -8, v8
	v_addc_co_u32_e32 v9, vcc, -1, v9, vcc
	s_cmp_gt_i32 s12, s4
	s_waitcnt vmcnt(0) lgkmcnt(0)
	v_fma_f64 v[6:7], -v[10:11], v[12:13], v[6:7]
	s_cbranch_scc1 .LBB70_28
.LBB70_29:                              ;   in Loop: Header=BB70_23 Depth=1
	s_add_i32 s4, s2, -3
	s_mov_b32 s5, s3
	s_lshl_b64 s[12:13], s[4:5], 3
	v_mov_b32_e32 v9, s13
	v_add_co_u32_e32 v8, vcc, s12, v0
	v_addc_co_u32_e32 v9, vcc, v1, v9, vcc
	global_load_dwordx2 v[10:11], v[8:9], off
	s_sub_i32 s5, s11, 40
	v_mov_b32_e32 v8, s5
	ds_read_b64 v[12:13], v8
	v_pk_mov_b32 v[8:9], v[2:3], v[2:3] op_sel:[0,1]
	s_mov_b32 s11, s9
	s_cmp_le_i32 s18, s4
	s_mov_b32 s12, s18
	s_waitcnt lgkmcnt(0)
	v_mul_f64 v[6:7], v[6:7], v[12:13]
	global_store_dwordx2 v[4:5], v[6:7], off offset:-16
	s_waitcnt vmcnt(1)
	v_mul_f64 v[6:7], v[10:11], s[0:1]
	s_cbranch_scc1 .LBB70_22
.LBB70_30:                              ;   Parent Loop BB70_23 Depth=1
                                        ; =>  This Inner Loop Header: Depth=2
	global_load_dwordx2 v[10:11], v[8:9], off
	v_mov_b32_e32 v12, s11
	ds_read_b64 v[12:13], v12
	s_add_i32 s12, s12, -1
	s_add_i32 s11, s11, -8
	v_add_co_u32_e32 v8, vcc, -8, v8
	v_addc_co_u32_e32 v9, vcc, -1, v9, vcc
	s_cmp_gt_i32 s12, s4
	s_waitcnt vmcnt(0) lgkmcnt(0)
	v_fma_f64 v[6:7], -v[10:11], v[12:13], v[6:7]
	s_cbranch_scc1 .LBB70_30
	s_branch .LBB70_22
.LBB70_31:
	s_mov_b64 s[2:3], 0
.LBB70_32:
	s_and_b64 vcc, exec, s[2:3]
	s_cbranch_vccz .LBB70_41
; %bb.33:
	s_cmp_gt_i32 s10, 3
	s_cbranch_scc0 .LBB70_35
; %bb.34:
	global_load_dwordx4 v[2:5], v[0:1], off
	global_load_dwordx4 v[6:9], v[0:1], off offset:16
	v_mov_b32_e32 v26, 0
	ds_read_b128 v[10:13], v26
	ds_read_b128 v[14:17], v26 offset:16
	ds_read2_b64 v[18:21], v26 offset0:7 offset1:15
	ds_read2_b64 v[22:25], v26 offset0:5 offset1:6
	ds_read_b128 v[26:29], v26 offset:80
	s_mov_b32 s2, 4
	s_waitcnt vmcnt(1)
	v_mul_f64 v[2:3], v[2:3], s[0:1]
	s_waitcnt lgkmcnt(4)
	v_mul_f64 v[2:3], v[2:3], v[10:11]
	v_mul_f64 v[10:11], v[2:3], v[12:13]
	s_waitcnt lgkmcnt(3)
	v_mul_f64 v[12:13], v[2:3], v[14:15]
	v_fma_f64 v[4:5], v[4:5], s[0:1], -v[10:11]
	v_mul_f64 v[14:15], v[2:3], v[16:17]
	s_waitcnt vmcnt(0)
	v_fma_f64 v[6:7], v[6:7], s[0:1], -v[12:13]
	s_waitcnt lgkmcnt(1)
	v_mul_f64 v[4:5], v[4:5], v[22:23]
	v_fma_f64 v[8:9], v[8:9], s[0:1], -v[14:15]
	global_store_dwordx4 v[0:1], v[2:5], off
	s_nop 0
	v_fma_f64 v[2:3], -v[4:5], v[24:25], v[6:7]
	v_fma_f64 v[4:5], -v[4:5], v[18:19], v[8:9]
	s_waitcnt lgkmcnt(0)
	v_mul_f64 v[2:3], v[2:3], v[26:27]
	v_fma_f64 v[4:5], -v[2:3], v[28:29], v[4:5]
	v_mul_f64 v[4:5], v[4:5], v[20:21]
	global_store_dwordx4 v[0:1], v[2:5], off offset:16
	s_cmp_ge_i32 s2, s16
	s_cbranch_scc0 .LBB70_36
	s_branch .LBB70_41
.LBB70_35:
	s_mov_b32 s2, 0
	s_cmp_ge_i32 s2, s16
	s_cbranch_scc1 .LBB70_41
.LBB70_36:
	s_lshl_b32 s4, s2, 3
	s_mov_b32 s3, 0
	s_branch .LBB70_38
.LBB70_37:                              ;   in Loop: Header=BB70_38 Depth=1
	s_mul_i32 s5, s2, 40
	v_mov_b32_e32 v6, s5
	ds_read_b64 v[6:7], v6
	s_add_i32 s2, s2, 1
	s_add_i32 s4, s4, 8
	s_cmp_ge_i32 s2, s16
	s_waitcnt lgkmcnt(0)
	v_mul_f64 v[4:5], v[4:5], v[6:7]
	global_store_dwordx2 v[2:3], v[4:5], off
	s_cbranch_scc1 .LBB70_41
.LBB70_38:                              ; =>This Loop Header: Depth=1
                                        ;     Child Loop BB70_40 Depth 2
	s_lshl_b64 s[6:7], s[2:3], 3
	v_mov_b32_e32 v3, s7
	v_add_co_u32_e32 v2, vcc, s6, v0
	v_addc_co_u32_e32 v3, vcc, v1, v3, vcc
	global_load_dwordx2 v[4:5], v[2:3], off
	s_cmp_eq_u32 s2, 0
	s_waitcnt vmcnt(0)
	v_mul_f64 v[4:5], v[4:5], s[0:1]
	s_cbranch_scc1 .LBB70_37
; %bb.39:                               ;   in Loop: Header=BB70_38 Depth=1
	s_mov_b32 s5, 0
	v_pk_mov_b32 v[6:7], v[0:1], v[0:1] op_sel:[0,1]
	s_mov_b32 s6, s4
.LBB70_40:                              ;   Parent Loop BB70_38 Depth=1
                                        ; =>  This Inner Loop Header: Depth=2
	global_load_dwordx2 v[8:9], v[6:7], off
	v_mov_b32_e32 v10, s6
	ds_read_b64 v[10:11], v10
	s_add_i32 s5, s5, 1
	s_add_i32 s6, s6, 32
	v_add_co_u32_e32 v6, vcc, 8, v6
	v_addc_co_u32_e32 v7, vcc, 0, v7, vcc
	s_cmp_lt_u32 s5, s2
	s_waitcnt vmcnt(0) lgkmcnt(0)
	v_fma_f64 v[4:5], -v[8:9], v[10:11], v[4:5]
	s_cbranch_scc1 .LBB70_40
	s_branch .LBB70_37
.LBB70_41:
	s_endpgm
	.section	.rodata,"a",@progbits
	.p2align	6, 0x0
	.amdhsa_kernel _ZL30rocblas_trsm_small_left_deviceILi4ELi4ELb1EddPKdPdEv13rocblas_fill_18rocblas_operation_17rocblas_diagonal_iiT3_T4_lilT5_lili
		.amdhsa_group_segment_fixed_size 128
		.amdhsa_private_segment_fixed_size 0
		.amdhsa_kernarg_size 360
		.amdhsa_user_sgpr_count 6
		.amdhsa_user_sgpr_private_segment_buffer 1
		.amdhsa_user_sgpr_dispatch_ptr 0
		.amdhsa_user_sgpr_queue_ptr 0
		.amdhsa_user_sgpr_kernarg_segment_ptr 1
		.amdhsa_user_sgpr_dispatch_id 0
		.amdhsa_user_sgpr_flat_scratch_init 0
		.amdhsa_user_sgpr_kernarg_preload_length 0
		.amdhsa_user_sgpr_kernarg_preload_offset 0
		.amdhsa_user_sgpr_private_segment_size 0
		.amdhsa_uses_dynamic_stack 0
		.amdhsa_system_sgpr_private_segment_wavefront_offset 0
		.amdhsa_system_sgpr_workgroup_id_x 1
		.amdhsa_system_sgpr_workgroup_id_y 0
		.amdhsa_system_sgpr_workgroup_id_z 1
		.amdhsa_system_sgpr_workgroup_info 0
		.amdhsa_system_vgpr_workitem_id 0
		.amdhsa_next_free_vgpr 36
		.amdhsa_next_free_sgpr 37
		.amdhsa_accum_offset 36
		.amdhsa_reserve_vcc 1
		.amdhsa_reserve_flat_scratch 0
		.amdhsa_float_round_mode_32 0
		.amdhsa_float_round_mode_16_64 0
		.amdhsa_float_denorm_mode_32 3
		.amdhsa_float_denorm_mode_16_64 3
		.amdhsa_dx10_clamp 1
		.amdhsa_ieee_mode 1
		.amdhsa_fp16_overflow 0
		.amdhsa_tg_split 0
		.amdhsa_exception_fp_ieee_invalid_op 0
		.amdhsa_exception_fp_denorm_src 0
		.amdhsa_exception_fp_ieee_div_zero 0
		.amdhsa_exception_fp_ieee_overflow 0
		.amdhsa_exception_fp_ieee_underflow 0
		.amdhsa_exception_fp_ieee_inexact 0
		.amdhsa_exception_int_div_zero 0
	.end_amdhsa_kernel
	.section	.text._ZL30rocblas_trsm_small_left_deviceILi4ELi4ELb1EddPKdPdEv13rocblas_fill_18rocblas_operation_17rocblas_diagonal_iiT3_T4_lilT5_lili,"axG",@progbits,_ZL30rocblas_trsm_small_left_deviceILi4ELi4ELb1EddPKdPdEv13rocblas_fill_18rocblas_operation_17rocblas_diagonal_iiT3_T4_lilT5_lili,comdat
.Lfunc_end70:
	.size	_ZL30rocblas_trsm_small_left_deviceILi4ELi4ELb1EddPKdPdEv13rocblas_fill_18rocblas_operation_17rocblas_diagonal_iiT3_T4_lilT5_lili, .Lfunc_end70-_ZL30rocblas_trsm_small_left_deviceILi4ELi4ELb1EddPKdPdEv13rocblas_fill_18rocblas_operation_17rocblas_diagonal_iiT3_T4_lilT5_lili
                                        ; -- End function
	.section	.AMDGPU.csdata,"",@progbits
; Kernel info:
; codeLenInByte = 2664
; NumSgprs: 41
; NumVgprs: 36
; NumAgprs: 0
; TotalNumVgprs: 36
; ScratchSize: 0
; MemoryBound: 0
; FloatMode: 240
; IeeeMode: 1
; LDSByteSize: 128 bytes/workgroup (compile time only)
; SGPRBlocks: 5
; VGPRBlocks: 4
; NumSGPRsForWavesPerEU: 41
; NumVGPRsForWavesPerEU: 36
; AccumOffset: 36
; Occupancy: 8
; WaveLimiterHint : 0
; COMPUTE_PGM_RSRC2:SCRATCH_EN: 0
; COMPUTE_PGM_RSRC2:USER_SGPR: 6
; COMPUTE_PGM_RSRC2:TRAP_HANDLER: 0
; COMPUTE_PGM_RSRC2:TGID_X_EN: 1
; COMPUTE_PGM_RSRC2:TGID_Y_EN: 0
; COMPUTE_PGM_RSRC2:TGID_Z_EN: 1
; COMPUTE_PGM_RSRC2:TIDIG_COMP_CNT: 0
; COMPUTE_PGM_RSRC3_GFX90A:ACCUM_OFFSET: 8
; COMPUTE_PGM_RSRC3_GFX90A:TG_SPLIT: 0
	.section	.text._ZL31rocblas_trsm_small_right_deviceIddPKdPdLi4EEv13rocblas_fill_18rocblas_operation_17rocblas_diagonal_iiT0_T1_lilT2_lili,"axG",@progbits,_ZL31rocblas_trsm_small_right_deviceIddPKdPdLi4EEv13rocblas_fill_18rocblas_operation_17rocblas_diagonal_iiT0_T1_lilT2_lili,comdat
	.globl	_ZL31rocblas_trsm_small_right_deviceIddPKdPdLi4EEv13rocblas_fill_18rocblas_operation_17rocblas_diagonal_iiT0_T1_lilT2_lili ; -- Begin function _ZL31rocblas_trsm_small_right_deviceIddPKdPdLi4EEv13rocblas_fill_18rocblas_operation_17rocblas_diagonal_iiT0_T1_lilT2_lili
	.p2align	8
	.type	_ZL31rocblas_trsm_small_right_deviceIddPKdPdLi4EEv13rocblas_fill_18rocblas_operation_17rocblas_diagonal_iiT0_T1_lilT2_lili,@function
_ZL31rocblas_trsm_small_right_deviceIddPKdPdLi4EEv13rocblas_fill_18rocblas_operation_17rocblas_diagonal_iiT0_T1_lilT2_lili: ; @_ZL31rocblas_trsm_small_right_deviceIddPKdPdLi4EEv13rocblas_fill_18rocblas_operation_17rocblas_diagonal_iiT0_T1_lilT2_lili
; %bb.0:
	s_load_dwordx4 s[8:11], s[4:5], 0x0
	s_load_dword s30, s[4:5], 0x10
	s_load_dwordx4 s[12:15], s[4:5], 0x18
	s_load_dwordx2 s[20:21], s[4:5], 0x28
	s_load_dwordx4 s[0:3], s[4:5], 0x38
	s_load_dwordx2 s[16:17], s[4:5], 0x48
	s_waitcnt lgkmcnt(0)
	s_min_i32 s31, s30, 4
	s_mov_b32 s34, 0
	s_add_i32 s33, s31, -1
	v_cmp_gt_i32_e32 vcc, s31, v0
	s_and_saveexec_b64 s[18:19], vcc
	s_cbranch_execz .LBB71_9
; %bb.1:
	s_load_dword s22, s[4:5], 0x30
	s_mul_i32 s1, s7, s1
	s_mul_hi_u32 s24, s7, s0
	s_add_i32 s1, s24, s1
	s_mul_i32 s0, s7, s0
	s_waitcnt lgkmcnt(0)
	s_ashr_i32 s23, s22, 31
	s_cmp_lt_u32 s33, 3
	s_cbranch_scc1 .LBB71_4
; %bb.2:
	s_lshl_b64 s[24:25], s[0:1], 3
	s_add_u32 s26, s14, s24
	s_addc_u32 s27, s15, s25
	s_lshl_b64 s[24:25], s[20:21], 3
	s_add_u32 s24, s26, s24
	s_addc_u32 s25, s27, s25
	v_lshlrev_b32_e32 v1, 3, v0
	v_mov_b32_e32 v3, s25
	v_add_co_u32_e32 v2, vcc, s24, v1
	s_mul_hi_i32 s37, s22, 24
	s_lshl_b64 s[24:25], s[22:23], 5
	s_lshl_b64 s[26:27], s[22:23], 4
	;; [unrolled: 1-line block ×3, first 2 shown]
	v_addc_co_u32_e32 v3, vcc, 0, v3, vcc
	s_and_b32 s34, s31, -4
	s_mul_i32 s35, s22, 24
	s_mov_b32 s36, 0
	v_mov_b32_e32 v4, s29
	v_mov_b32_e32 v5, s27
	;; [unrolled: 1-line block ×4, first 2 shown]
.LBB71_3:                               ; =>This Inner Loop Header: Depth=1
	v_add_co_u32_e32 v10, vcc, s28, v2
	v_addc_co_u32_e32 v11, vcc, v3, v4, vcc
	v_add_co_u32_e32 v12, vcc, s26, v2
	v_addc_co_u32_e32 v13, vcc, v3, v5, vcc
	v_add_co_u32_e32 v14, vcc, s35, v2
	global_load_dwordx2 v[8:9], v[2:3], off
	v_addc_co_u32_e32 v15, vcc, v3, v6, vcc
	global_load_dwordx2 v[16:17], v[10:11], off
	global_load_dwordx2 v[18:19], v[12:13], off
	;; [unrolled: 1-line block ×3, first 2 shown]
	s_add_i32 s36, s36, 4
	v_add_co_u32_e32 v2, vcc, s24, v2
	v_addc_co_u32_e32 v3, vcc, v3, v7, vcc
	s_cmp_eq_u32 s34, s36
	s_waitcnt vmcnt(2)
	ds_write2_b64 v1, v[8:9], v[16:17] offset1:4
	s_waitcnt vmcnt(0)
	ds_write2_b64 v1, v[18:19], v[20:21] offset0:8 offset1:12
	v_add_u32_e32 v1, 0x80, v1
	s_cbranch_scc0 .LBB71_3
.LBB71_4:
	s_and_b32 s24, s31, 3
	s_cmp_eq_u32 s24, 0
	s_cbranch_scc1 .LBB71_7
; %bb.5:
	s_mul_i32 s25, s23, s34
	s_mul_hi_u32 s26, s22, s34
	s_add_i32 s27, s26, s25
	s_mul_i32 s26, s22, s34
	s_lshl_b64 s[0:1], s[0:1], 3
	s_lshl_b64 s[26:27], s[26:27], 3
	s_add_u32 s25, s0, s26
	s_addc_u32 s26, s1, s27
	s_lshl_b64 s[0:1], s[20:21], 3
	s_add_u32 s0, s25, s0
	s_addc_u32 s1, s26, s1
	s_add_u32 s0, s14, s0
	v_lshlrev_b32_e32 v2, 3, v0
	s_addc_u32 s1, s15, s1
	v_lshl_or_b32 v1, s34, 5, v2
	v_mov_b32_e32 v3, s1
	v_add_co_u32_e32 v2, vcc, s0, v2
	s_lshl_b64 s[0:1], s[22:23], 3
	v_addc_co_u32_e32 v3, vcc, 0, v3, vcc
	v_mov_b32_e32 v4, s1
.LBB71_6:                               ; =>This Inner Loop Header: Depth=1
	global_load_dwordx2 v[6:7], v[2:3], off
	v_add_co_u32_e32 v2, vcc, s0, v2
	s_add_i32 s24, s24, -1
	v_addc_co_u32_e32 v3, vcc, v3, v4, vcc
	s_cmp_lg_u32 s24, 0
	s_waitcnt vmcnt(0)
	ds_write_b64 v1, v[6:7]
	v_add_u32_e32 v1, 32, v1
	s_cbranch_scc1 .LBB71_6
.LBB71_7:
	s_cmpk_eq_i32 s10, 0x84
	s_cbranch_scc0 .LBB71_9
; %bb.8:
	v_mul_u32_u24_e32 v1, 5, v0
	v_lshlrev_b32_e32 v1, 3, v1
	v_mov_b32_e32 v2, 0
	v_mov_b32_e32 v3, 0x3ff00000
	ds_write_b64 v1, v[2:3]
.LBB71_9:
	s_or_b64 exec, exec, s[18:19]
	s_load_dword s1, s[4:5], 0x68
	s_load_dwordx2 s[14:15], s[4:5], 0x58
	s_load_dword s0, s[4:5], 0x50
	s_mov_b32 s26, 0
	s_waitcnt lgkmcnt(0)
	s_mul_i32 s5, s7, s15
	s_mul_hi_u32 s10, s7, s14
	s_mul_i32 s4, s7, s14
	s_add_i32 s5, s10, s5
	s_lshl_b64 s[14:15], s[4:5], 3
	s_add_u32 s7, s2, s14
	s_addc_u32 s10, s3, s15
	s_lshl_b64 s[4:5], s[16:17], 3
	s_add_u32 s16, s7, s4
	s_addc_u32 s10, s10, s5
	s_lshl_b32 s7, s6, 2
	s_add_i32 s1, s1, -1
	s_sub_i32 s7, s11, s7
	s_cmp_ge_u32 s6, s1
	s_cselect_b32 s1, s7, 4
	s_ashr_i32 s7, s6, 31
	s_lshl_b64 s[6:7], s[6:7], 5
	s_add_u32 s24, s16, s6
	s_addc_u32 s25, s10, s7
	s_cmp_gt_i32 s30, 0
	v_cmp_gt_i32_e32 vcc, s1, v0
	s_cselect_b64 s[10:11], -1, 0
	s_and_b64 s[10:11], vcc, s[10:11]
	s_and_saveexec_b64 s[16:17], s[10:11]
	s_cbranch_execz .LBB71_16
; %bb.10:
	s_ashr_i32 s1, s0, 31
	s_cmp_lt_u32 s30, 4
	s_cbranch_scc1 .LBB71_13
; %bb.11:
	v_lshlrev_b32_e32 v1, 3, v0
	v_mov_b32_e32 v3, s25
	v_add_co_u32_e32 v2, vcc, s24, v1
	s_mul_hi_i32 s29, s0, 24
	s_lshl_b64 s[18:19], s[0:1], 5
	v_mov_b32_e32 v1, 0x80
	s_lshl_b64 s[20:21], s[0:1], 4
	s_lshl_b64 s[22:23], s[0:1], 3
	v_addc_co_u32_e32 v3, vcc, 0, v3, vcc
	s_and_b32 s26, s30, 0x7ffffffc
	s_mul_i32 s27, s0, 24
	v_lshl_or_b32 v1, v0, 3, v1
	s_mov_b32 s28, 0
	v_mov_b32_e32 v4, s23
	v_mov_b32_e32 v5, s21
	;; [unrolled: 1-line block ×4, first 2 shown]
.LBB71_12:                              ; =>This Inner Loop Header: Depth=1
	v_add_co_u32_e32 v10, vcc, s22, v2
	v_addc_co_u32_e32 v11, vcc, v3, v4, vcc
	v_add_co_u32_e32 v12, vcc, s20, v2
	v_addc_co_u32_e32 v13, vcc, v3, v5, vcc
	global_load_dwordx2 v[8:9], v[2:3], off
	v_add_co_u32_e32 v14, vcc, s27, v2
	v_addc_co_u32_e32 v15, vcc, v3, v6, vcc
	global_load_dwordx2 v[16:17], v[10:11], off
	global_load_dwordx2 v[18:19], v[12:13], off
	;; [unrolled: 1-line block ×3, first 2 shown]
	s_add_i32 s28, s28, 4
	v_add_co_u32_e32 v2, vcc, s18, v2
	v_addc_co_u32_e32 v3, vcc, v3, v7, vcc
	s_cmp_lg_u32 s26, s28
	s_waitcnt vmcnt(3)
	v_mul_f64 v[8:9], v[8:9], s[12:13]
	s_waitcnt vmcnt(2)
	v_mul_f64 v[10:11], v[16:17], s[12:13]
	;; [unrolled: 2-line block ×4, first 2 shown]
	ds_write2_b64 v1, v[8:9], v[10:11] offset1:4
	ds_write2_b64 v1, v[12:13], v[14:15] offset0:8 offset1:12
	v_add_u32_e32 v1, 0x80, v1
	s_cbranch_scc1 .LBB71_12
.LBB71_13:
	s_and_b32 s20, s30, 3
	s_cmp_eq_u32 s20, 0
	s_cbranch_scc1 .LBB71_16
; %bb.14:
	s_mul_hi_i32 s19, s0, s26
	s_mul_i32 s18, s0, s26
	s_lshl_b64 s[18:19], s[18:19], 3
	s_add_u32 s18, s14, s18
	s_addc_u32 s19, s15, s19
	s_add_u32 s18, s18, s6
	s_addc_u32 s19, s19, s7
	;; [unrolled: 2-line block ×3, first 2 shown]
	s_add_u32 s18, s2, s18
	v_lshlrev_b32_e32 v2, 3, v0
	s_addc_u32 s19, s3, s19
	v_lshl_or_b32 v1, s26, 5, v2
	v_mov_b32_e32 v3, s19
	v_add_co_u32_e32 v2, vcc, s18, v2
	s_lshl_b64 s[18:19], s[0:1], 3
	v_add_u32_e32 v1, 0x80, v1
	v_addc_co_u32_e32 v3, vcc, 0, v3, vcc
	v_mov_b32_e32 v4, s19
.LBB71_15:                              ; =>This Inner Loop Header: Depth=1
	global_load_dwordx2 v[6:7], v[2:3], off
	v_add_co_u32_e32 v2, vcc, s18, v2
	s_add_i32 s20, s20, -1
	v_addc_co_u32_e32 v3, vcc, v3, v4, vcc
	s_cmp_lg_u32 s20, 0
	s_waitcnt vmcnt(0)
	v_mul_f64 v[6:7], v[6:7], s[12:13]
	ds_write_b64 v1, v[6:7]
	v_add_u32_e32 v1, 32, v1
	s_cbranch_scc1 .LBB71_15
.LBB71_16:
	s_or_b64 exec, exec, s[16:17]
	s_cmpk_eq_i32 s9, 0x6f
	s_cselect_b64 s[16:17], -1, 0
	s_cmpk_eq_i32 s8, 0x79
	s_cselect_b64 s[18:19], -1, 0
	s_cmpk_lg_i32 s8, 0x79
	s_cselect_b64 s[12:13], -1, 0
	s_and_b64 s[18:19], s[18:19], s[16:17]
	s_andn2_b64 vcc, exec, s[18:19]
	s_mov_b64 s[18:19], -1
	s_waitcnt lgkmcnt(0)
	; wave barrier
	s_waitcnt lgkmcnt(0)
	s_cbranch_vccz .LBB71_62
; %bb.17:
	s_cmpk_lg_i32 s8, 0x7a
	s_cselect_b64 s[8:9], -1, 0
	s_xor_b64 s[16:17], s[16:17], -1
	s_or_b64 s[16:17], s[8:9], s[16:17]
	s_cmp_gt_i32 s30, 3
	s_cselect_b64 s[8:9], -1, 0
	s_and_b64 vcc, exec, s[16:17]
	s_cbranch_vccz .LBB71_45
; %bb.18:
	s_andn2_b64 vcc, exec, s[12:13]
	s_mov_b64 s[12:13], -1
	s_cbranch_vccnz .LBB71_28
; %bb.19:
	s_mov_b32 s1, 0
	s_and_b64 vcc, exec, s[8:9]
	s_cbranch_vccz .LBB71_21
; %bb.20:
	v_lshlrev_b32_e32 v30, 3, v0
	v_mov_b32_e32 v1, 0
	ds_read2_b64 v[2:5], v30 offset0:16 offset1:20
	ds_read_b128 v[6:9], v1
	ds_read_b128 v[10:13], v1 offset:16
	s_mov_b32 s1, 4
	s_waitcnt lgkmcnt(1)
	v_div_scale_f64 v[14:15], s[12:13], v[6:7], v[6:7], v[2:3]
	v_rcp_f64_e32 v[16:17], v[14:15]
	v_div_scale_f64 v[18:19], vcc, v[2:3], v[6:7], v[2:3]
	v_fma_f64 v[20:21], -v[14:15], v[16:17], 1.0
	v_fmac_f64_e32 v[16:17], v[16:17], v[20:21]
	v_fma_f64 v[20:21], -v[14:15], v[16:17], 1.0
	v_fmac_f64_e32 v[16:17], v[16:17], v[20:21]
	v_mul_f64 v[20:21], v[18:19], v[16:17]
	v_fma_f64 v[14:15], -v[14:15], v[20:21], v[18:19]
	v_div_fmas_f64 v[18:19], v[14:15], v[16:17], v[20:21]
	ds_read2_b64 v[14:17], v1 offset0:5 offset1:6
	v_div_fixup_f64 v[18:19], v[18:19], v[6:7], v[2:3]
	v_fma_f64 v[20:21], -v[18:19], v[8:9], v[4:5]
	ds_read_b128 v[2:5], v1 offset:80
	ds_read2_b64 v[6:9], v30 offset0:24 offset1:28
	s_waitcnt lgkmcnt(2)
	v_div_scale_f64 v[22:23], s[12:13], v[14:15], v[14:15], v[20:21]
	v_rcp_f64_e32 v[24:25], v[22:23]
	s_waitcnt lgkmcnt(0)
	v_fma_f64 v[6:7], -v[18:19], v[10:11], v[6:7]
	v_fma_f64 v[26:27], -v[22:23], v[24:25], 1.0
	v_fmac_f64_e32 v[24:25], v[24:25], v[26:27]
	v_fma_f64 v[26:27], -v[22:23], v[24:25], 1.0
	v_fmac_f64_e32 v[24:25], v[24:25], v[26:27]
	v_div_scale_f64 v[26:27], vcc, v[20:21], v[14:15], v[20:21]
	v_mul_f64 v[28:29], v[26:27], v[24:25]
	v_fma_f64 v[22:23], -v[22:23], v[28:29], v[26:27]
	s_nop 1
	v_div_fmas_f64 v[22:23], v[22:23], v[24:25], v[28:29]
	v_div_fixup_f64 v[20:21], v[22:23], v[14:15], v[20:21]
	v_fma_f64 v[6:7], -v[20:21], v[16:17], v[6:7]
	v_div_scale_f64 v[10:11], s[12:13], v[2:3], v[2:3], v[6:7]
	v_rcp_f64_e32 v[22:23], v[10:11]
	ds_read2_b64 v[14:17], v1 offset0:7 offset1:15
	ds_write2_b64 v30, v[18:19], v[20:21] offset0:16 offset1:20
	v_fma_f64 v[24:25], -v[10:11], v[22:23], 1.0
	v_fmac_f64_e32 v[22:23], v[22:23], v[24:25]
	v_fma_f64 v[24:25], -v[10:11], v[22:23], 1.0
	v_fmac_f64_e32 v[22:23], v[22:23], v[24:25]
	v_div_scale_f64 v[24:25], vcc, v[6:7], v[2:3], v[6:7]
	v_mul_f64 v[26:27], v[24:25], v[22:23]
	v_fma_f64 v[10:11], -v[10:11], v[26:27], v[24:25]
	s_nop 1
	v_div_fmas_f64 v[10:11], v[10:11], v[22:23], v[26:27]
	v_div_fixup_f64 v[2:3], v[10:11], v[2:3], v[6:7]
	v_fma_f64 v[6:7], -v[18:19], v[12:13], v[8:9]
	s_waitcnt lgkmcnt(1)
	v_fma_f64 v[6:7], -v[20:21], v[14:15], v[6:7]
	v_fma_f64 v[4:5], -v[2:3], v[4:5], v[6:7]
	v_div_scale_f64 v[6:7], s[12:13], v[16:17], v[16:17], v[4:5]
	v_rcp_f64_e32 v[8:9], v[6:7]
	v_fma_f64 v[10:11], -v[6:7], v[8:9], 1.0
	v_fmac_f64_e32 v[8:9], v[8:9], v[10:11]
	v_fma_f64 v[10:11], -v[6:7], v[8:9], 1.0
	v_fmac_f64_e32 v[8:9], v[8:9], v[10:11]
	v_div_scale_f64 v[10:11], vcc, v[4:5], v[16:17], v[4:5]
	v_mul_f64 v[12:13], v[10:11], v[8:9]
	v_fma_f64 v[6:7], -v[6:7], v[12:13], v[10:11]
	s_nop 1
	v_div_fmas_f64 v[6:7], v[6:7], v[8:9], v[12:13]
	v_div_fixup_f64 v[4:5], v[6:7], v[16:17], v[4:5]
	ds_write2_b64 v30, v[2:3], v[4:5] offset0:24 offset1:28
.LBB71_21:
	s_cmp_ge_i32 s1, s31
	s_cbranch_scc1 .LBB71_27
; %bb.22:
	v_mov_b32_e32 v1, 0x80
	v_lshl_or_b32 v1, v0, 3, v1
	s_lshl_b32 s12, s1, 3
	v_lshlrev_b32_e32 v4, 3, v0
	s_branch .LBB71_24
.LBB71_23:                              ;   in Loop: Header=BB71_24 Depth=1
	s_mul_i32 s13, s1, 40
	v_mov_b32_e32 v6, s13
	ds_read_b64 v[6:7], v6
	s_add_i32 s1, s1, 1
	s_add_i32 s12, s12, 8
	v_add_u32_e32 v5, 0x80, v5
	s_cmp_ge_i32 s1, s31
	s_waitcnt lgkmcnt(0)
	v_div_scale_f64 v[8:9], s[16:17], v[6:7], v[6:7], v[2:3]
	v_rcp_f64_e32 v[10:11], v[8:9]
	v_div_scale_f64 v[12:13], vcc, v[2:3], v[6:7], v[2:3]
	v_fma_f64 v[14:15], -v[8:9], v[10:11], 1.0
	v_fmac_f64_e32 v[10:11], v[10:11], v[14:15]
	v_fma_f64 v[14:15], -v[8:9], v[10:11], 1.0
	v_fmac_f64_e32 v[10:11], v[10:11], v[14:15]
	v_mul_f64 v[14:15], v[12:13], v[10:11]
	v_fma_f64 v[8:9], -v[8:9], v[14:15], v[12:13]
	v_div_fmas_f64 v[8:9], v[8:9], v[10:11], v[14:15]
	v_div_fixup_f64 v[2:3], v[8:9], v[6:7], v[2:3]
	ds_write_b64 v5, v[2:3]
	s_cbranch_scc1 .LBB71_27
.LBB71_24:                              ; =>This Loop Header: Depth=1
                                        ;     Child Loop BB71_26 Depth 2
	v_lshl_or_b32 v5, s1, 5, v4
	ds_read_b64 v[2:3], v5 offset:128
	s_cmp_eq_u32 s1, 0
	s_cbranch_scc1 .LBB71_23
; %bb.25:                               ;   in Loop: Header=BB71_24 Depth=1
	s_mov_b32 s13, 0
	s_mov_b32 s16, s12
	v_mov_b32_e32 v6, v1
.LBB71_26:                              ;   Parent Loop BB71_24 Depth=1
                                        ; =>  This Inner Loop Header: Depth=2
	v_mov_b32_e32 v7, s16
	ds_read_b64 v[8:9], v6
	ds_read_b64 v[10:11], v7
	s_add_i32 s13, s13, 1
	s_add_i32 s16, s16, 32
	v_add_u32_e32 v6, 32, v6
	s_cmp_ge_u32 s13, s1
	s_waitcnt lgkmcnt(0)
	v_fma_f64 v[2:3], -v[8:9], v[10:11], v[2:3]
	s_cbranch_scc0 .LBB71_26
	s_branch .LBB71_23
.LBB71_27:
	s_mov_b64 s[12:13], 0
.LBB71_28:
	s_and_b64 vcc, exec, s[12:13]
	s_cbranch_vccz .LBB71_44
; %bb.29:
	s_and_b64 vcc, exec, s[8:9]
	s_mov_b32 s12, s33
	s_cbranch_vccz .LBB71_31
; %bb.30:
	s_add_i32 s12, s31, -2
	s_lshl_b32 s16, s12, 2
	s_lshl_b32 s13, s31, 2
	;; [unrolled: 1-line block ×3, first 2 shown]
	v_or_b32_e32 v2, s16, v0
	s_add_i32 s17, s13, -12
	v_lshlrev_b32_e32 v28, 3, v2
	v_or_b32_e32 v2, s17, v0
	s_add_i32 s12, s1, s12
	v_or_b32_e32 v1, s1, v0
	v_lshlrev_b32_e32 v29, 3, v2
	s_add_i32 s18, s31, -4
	v_lshlrev_b32_e32 v2, 3, v0
	s_lshl_b32 s12, s12, 3
	v_lshlrev_b32_e32 v1, 3, v1
	v_lshl_or_b32 v30, s18, 5, v2
	v_mov_b32_e32 v2, s12
	ds_read_b64 v[6:7], v1 offset:128
	ds_read_b64 v[8:9], v28 offset:128
	;; [unrolled: 1-line block ×4, first 2 shown]
	ds_read2_b64 v[2:5], v2 offset1:1
	s_mul_i32 s19, s33, 40
	s_sub_i32 s12, s19, 40
	v_mov_b32_e32 v14, s12
	ds_read_b64 v[14:15], v14
	s_waitcnt lgkmcnt(1)
	v_div_scale_f64 v[16:17], s[12:13], v[4:5], v[4:5], v[6:7]
	v_rcp_f64_e32 v[18:19], v[16:17]
	s_add_i32 s1, s1, s18
	s_lshl_b32 s1, s1, 3
	s_add_i32 s16, s16, s18
	v_fma_f64 v[20:21], -v[16:17], v[18:19], 1.0
	v_fmac_f64_e32 v[18:19], v[18:19], v[20:21]
	v_fma_f64 v[20:21], -v[16:17], v[18:19], 1.0
	v_fmac_f64_e32 v[18:19], v[18:19], v[20:21]
	v_div_scale_f64 v[20:21], vcc, v[6:7], v[4:5], v[6:7]
	v_mul_f64 v[22:23], v[20:21], v[18:19]
	v_fma_f64 v[16:17], -v[16:17], v[22:23], v[20:21]
	s_add_i32 s17, s17, s18
	s_nop 0
	v_div_fmas_f64 v[16:17], v[16:17], v[18:19], v[22:23]
	v_div_fixup_f64 v[16:17], v[16:17], v[4:5], v[6:7]
	v_fma_f64 v[18:19], -v[16:17], v[2:3], v[8:9]
	s_waitcnt lgkmcnt(0)
	v_div_scale_f64 v[2:3], s[12:13], v[14:15], v[14:15], v[18:19]
	v_rcp_f64_e32 v[20:21], v[2:3]
	v_fma_f64 v[4:5], -v[2:3], v[20:21], 1.0
	v_fmac_f64_e32 v[20:21], v[20:21], v[4:5]
	v_fma_f64 v[4:5], -v[2:3], v[20:21], 1.0
	v_fmac_f64_e32 v[20:21], v[20:21], v[4:5]
	v_div_scale_f64 v[4:5], vcc, v[18:19], v[14:15], v[18:19]
	v_mul_f64 v[22:23], v[4:5], v[20:21]
	v_fma_f64 v[24:25], -v[2:3], v[22:23], v[4:5]
	v_mov_b32_e32 v2, s1
	s_lshl_b32 s1, s16, 3
	v_mov_b32_e32 v6, s1
	ds_read2_b64 v[2:5], v2 offset1:1
	ds_read2_b64 v[6:9], v6 offset1:1
	v_div_fmas_f64 v[20:21], v[24:25], v[20:21], v[22:23]
	v_div_fixup_f64 v[14:15], v[20:21], v[14:15], v[18:19]
	s_lshl_b32 s1, s17, 3
	s_waitcnt lgkmcnt(1)
	v_fma_f64 v[4:5], -v[16:17], v[4:5], v[10:11]
	s_waitcnt lgkmcnt(0)
	v_fma_f64 v[4:5], -v[14:15], v[8:9], v[4:5]
	v_mov_b32_e32 v8, s1
	ds_read2_b64 v[8:11], v8 offset1:1
	s_add_i32 s1, s19, 0xffffff88
	v_mov_b32_e32 v18, s1
	ds_read_b64 v[18:19], v18
	v_fma_f64 v[2:3], -v[16:17], v[2:3], v[12:13]
	s_waitcnt lgkmcnt(1)
	v_div_scale_f64 v[20:21], s[12:13], v[10:11], v[10:11], v[4:5]
	v_rcp_f64_e32 v[22:23], v[20:21]
	v_fma_f64 v[2:3], -v[14:15], v[6:7], v[2:3]
	v_fma_f64 v[24:25], -v[20:21], v[22:23], 1.0
	v_fmac_f64_e32 v[22:23], v[22:23], v[24:25]
	v_fma_f64 v[24:25], -v[20:21], v[22:23], 1.0
	v_fmac_f64_e32 v[22:23], v[22:23], v[24:25]
	v_div_scale_f64 v[24:25], vcc, v[4:5], v[10:11], v[4:5]
	v_mul_f64 v[26:27], v[24:25], v[22:23]
	v_fma_f64 v[20:21], -v[20:21], v[26:27], v[24:25]
	s_nop 1
	v_div_fmas_f64 v[20:21], v[20:21], v[22:23], v[26:27]
	v_div_fixup_f64 v[4:5], v[20:21], v[10:11], v[4:5]
	v_fma_f64 v[2:3], -v[4:5], v[8:9], v[2:3]
	s_waitcnt lgkmcnt(0)
	v_div_scale_f64 v[6:7], s[12:13], v[18:19], v[18:19], v[2:3]
	v_rcp_f64_e32 v[8:9], v[6:7]
	ds_write_b64 v1, v[16:17] offset:128
	ds_write_b64 v28, v[14:15] offset:128
	;; [unrolled: 1-line block ×3, first 2 shown]
	s_add_i32 s12, s31, -5
	v_fma_f64 v[4:5], -v[6:7], v[8:9], 1.0
	v_fmac_f64_e32 v[8:9], v[8:9], v[4:5]
	v_fma_f64 v[4:5], -v[6:7], v[8:9], 1.0
	v_fmac_f64_e32 v[8:9], v[8:9], v[4:5]
	v_div_scale_f64 v[4:5], vcc, v[2:3], v[18:19], v[2:3]
	v_mul_f64 v[10:11], v[4:5], v[8:9]
	v_fma_f64 v[4:5], -v[6:7], v[10:11], v[4:5]
	s_nop 1
	v_div_fmas_f64 v[4:5], v[4:5], v[8:9], v[10:11]
	v_div_fixup_f64 v[2:3], v[4:5], v[18:19], v[2:3]
	ds_write_b64 v30, v[2:3] offset:128
.LBB71_31:
	s_cmp_lt_i32 s12, 0
	s_cbranch_scc1 .LBB71_44
; %bb.32:
	s_bitcmp1_b32 s12, 0
	s_cselect_b64 s[16:17], -1, 0
	s_and_b64 vcc, exec, s[16:17]
	s_mov_b32 s1, s12
	s_cbranch_vccnz .LBB71_37
; %bb.33:
	v_lshlrev_b32_e32 v1, 3, v0
	v_lshl_or_b32 v1, s12, 5, v1
	ds_read_b64 v[2:3], v1 offset:128
	s_cmp_le_i32 s33, s12
	s_cbranch_scc1 .LBB71_36
; %bb.34:
	s_lshl_b32 s13, s31, 5
	s_lshl_b32 s1, s12, 3
	s_add_i32 s1, s13, s1
	v_lshl_or_b32 v4, v0, 3, s13
	s_sub_i32 s1, s1, 32
	v_add_u32_e32 v4, 0x60, v4
	s_mov_b32 s13, s33
.LBB71_35:                              ; =>This Inner Loop Header: Depth=1
	v_mov_b32_e32 v5, s1
	ds_read_b64 v[6:7], v4
	ds_read_b64 v[8:9], v5
	s_add_i32 s13, s13, -1
	s_sub_i32 s1, s1, 32
	v_subrev_u32_e32 v4, 32, v4
	s_cmp_gt_i32 s13, s12
	s_waitcnt lgkmcnt(0)
	v_fma_f64 v[2:3], -v[6:7], v[8:9], v[2:3]
	s_cbranch_scc1 .LBB71_35
.LBB71_36:
	s_mul_i32 s1, s12, 40
	v_mov_b32_e32 v4, s1
	ds_read_b64 v[4:5], v4
	v_add_u32_e32 v1, 0x80, v1
	s_add_i32 s1, s12, -1
	s_waitcnt lgkmcnt(0)
	v_div_scale_f64 v[6:7], s[16:17], v[4:5], v[4:5], v[2:3]
	v_rcp_f64_e32 v[8:9], v[6:7]
	v_div_scale_f64 v[10:11], vcc, v[2:3], v[4:5], v[2:3]
	v_fma_f64 v[12:13], -v[6:7], v[8:9], 1.0
	v_fmac_f64_e32 v[8:9], v[8:9], v[12:13]
	v_fma_f64 v[12:13], -v[6:7], v[8:9], 1.0
	v_fmac_f64_e32 v[8:9], v[8:9], v[12:13]
	v_mul_f64 v[12:13], v[10:11], v[8:9]
	v_fma_f64 v[6:7], -v[6:7], v[12:13], v[10:11]
	v_div_fmas_f64 v[6:7], v[6:7], v[8:9], v[12:13]
	v_div_fixup_f64 v[2:3], v[6:7], v[4:5], v[2:3]
	ds_write_b64 v1, v[2:3]
.LBB71_37:
	s_cmp_eq_u32 s12, 0
	s_cbranch_scc1 .LBB71_44
; %bb.38:
	s_lshl_b32 s12, s31, 5
	s_lshl_b32 s13, s1, 3
	v_lshl_or_b32 v1, v0, 3, s12
	s_add_i32 s13, s12, s13
	v_add_u32_e32 v1, 0x60, v1
	s_sub_i32 s12, s13, 32
	s_sub_i32 s13, s13, 40
	v_lshlrev_b32_e32 v6, 3, v0
	s_branch .LBB71_40
.LBB71_39:                              ;   in Loop: Header=BB71_40 Depth=1
	s_sub_i32 s16, s16, 40
	v_mov_b32_e32 v5, s16
	ds_read_b64 v[8:9], v5
	s_add_i32 s18, s1, -2
	s_add_i32 s12, s12, -16
	s_add_i32 s13, s13, -16
	v_add_u32_e32 v4, 0x80, v7
	s_waitcnt lgkmcnt(0)
	v_div_scale_f64 v[10:11], s[16:17], v[8:9], v[8:9], v[2:3]
	v_rcp_f64_e32 v[12:13], v[10:11]
	v_div_scale_f64 v[14:15], vcc, v[2:3], v[8:9], v[2:3]
	s_cmp_lt_i32 s1, 2
	v_fma_f64 v[16:17], -v[10:11], v[12:13], 1.0
	v_fmac_f64_e32 v[12:13], v[12:13], v[16:17]
	v_fma_f64 v[16:17], -v[10:11], v[12:13], 1.0
	v_fmac_f64_e32 v[12:13], v[12:13], v[16:17]
	v_mul_f64 v[16:17], v[14:15], v[12:13]
	v_fma_f64 v[10:11], -v[10:11], v[16:17], v[14:15]
	v_div_fmas_f64 v[10:11], v[10:11], v[12:13], v[16:17]
	v_div_fixup_f64 v[2:3], v[10:11], v[8:9], v[2:3]
	s_mov_b32 s1, s18
	ds_write_b64 v4, v[2:3]
	s_cbranch_scc1 .LBB71_44
.LBB71_40:                              ; =>This Loop Header: Depth=1
                                        ;     Child Loop BB71_41 Depth 2
                                        ;     Child Loop BB71_43 Depth 2
	v_lshl_or_b32 v2, s1, 5, v6
	ds_read_b64 v[4:5], v2 offset:128
	s_cmp_le_i32 s33, s1
	s_mov_b32 s16, s12
	v_mov_b32_e32 v3, v1
	s_mov_b32 s17, s33
	s_cbranch_scc1 .LBB71_42
.LBB71_41:                              ;   Parent Loop BB71_40 Depth=1
                                        ; =>  This Inner Loop Header: Depth=2
	v_mov_b32_e32 v7, s16
	ds_read_b64 v[8:9], v3
	ds_read_b64 v[10:11], v7
	s_add_i32 s17, s17, -1
	s_sub_i32 s16, s16, 32
	v_subrev_u32_e32 v3, 32, v3
	s_cmp_le_i32 s17, s1
	s_waitcnt lgkmcnt(0)
	v_fma_f64 v[4:5], -v[8:9], v[10:11], v[4:5]
	s_cbranch_scc0 .LBB71_41
.LBB71_42:                              ;   in Loop: Header=BB71_40 Depth=1
	s_mul_i32 s16, s1, 40
	v_add_u32_e32 v8, 0x80, v2
	v_mov_b32_e32 v2, s16
	ds_read_b64 v[10:11], v2
	s_lshl_b32 s17, s1, 5
	s_sub_i32 s17, s17, 32
	v_lshl_or_b32 v7, v0, 3, s17
	ds_read_b64 v[2:3], v7 offset:128
	s_waitcnt lgkmcnt(1)
	v_div_scale_f64 v[12:13], s[18:19], v[10:11], v[10:11], v[4:5]
	v_rcp_f64_e32 v[14:15], v[12:13]
	v_div_scale_f64 v[16:17], vcc, v[4:5], v[10:11], v[4:5]
	s_cmp_lt_i32 s33, s1
	v_fma_f64 v[18:19], -v[12:13], v[14:15], 1.0
	v_fmac_f64_e32 v[14:15], v[14:15], v[18:19]
	v_fma_f64 v[18:19], -v[12:13], v[14:15], 1.0
	v_fmac_f64_e32 v[14:15], v[14:15], v[18:19]
	v_mul_f64 v[18:19], v[16:17], v[14:15]
	v_fma_f64 v[12:13], -v[12:13], v[18:19], v[16:17]
	v_div_fmas_f64 v[12:13], v[12:13], v[14:15], v[18:19]
	v_div_fixup_f64 v[4:5], v[12:13], v[10:11], v[4:5]
	ds_write_b64 v8, v[4:5]
	v_mov_b32_e32 v4, v1
	s_mov_b32 s17, s13
	s_mov_b32 s18, s31
	s_cbranch_scc1 .LBB71_39
.LBB71_43:                              ;   Parent Loop BB71_40 Depth=1
                                        ; =>  This Inner Loop Header: Depth=2
	v_mov_b32_e32 v5, s17
	ds_read_b64 v[8:9], v4
	ds_read_b64 v[10:11], v5
	s_add_i32 s18, s18, -1
	s_sub_i32 s17, s17, 32
	v_subrev_u32_e32 v4, 32, v4
	s_cmp_gt_i32 s18, s1
	s_waitcnt lgkmcnt(0)
	v_fma_f64 v[2:3], -v[8:9], v[10:11], v[2:3]
	s_cbranch_scc1 .LBB71_43
	s_branch .LBB71_39
.LBB71_44:
	s_mov_b64 s[18:19], 0
.LBB71_45:
	s_andn2_b64 vcc, exec, s[18:19]
	s_cbranch_vccnz .LBB71_61
; %bb.46:
	s_and_b64 vcc, exec, s[8:9]
	s_mov_b32 s8, s33
	s_cbranch_vccz .LBB71_48
; %bb.47:
	s_lshl_b32 s8, s31, 2
	s_add_i32 s12, s8, -12
	v_or_b32_e32 v2, s12, v0
	s_add_i32 s13, s8, -16
	v_lshlrev_b32_e32 v1, 3, v0
	v_lshlrev_b32_e32 v27, 3, v2
	v_or_b32_e32 v2, s13, v0
	s_mul_i32 s16, s33, 40
	v_lshl_or_b32 v26, s33, 5, v1
	s_add_i32 s1, s31, -2
	v_lshlrev_b32_e32 v28, 3, v2
	v_mov_b32_e32 v2, s16
	v_lshl_or_b32 v1, s1, 5, v1
	ds_read_b64 v[6:7], v26 offset:128
	ds_read_b64 v[8:9], v1 offset:128
	;; [unrolled: 1-line block ×4, first 2 shown]
	ds_read_b64 v[12:13], v2
	s_sub_i32 s8, s16, 40
	v_mov_b32_e32 v2, s8
	ds_read2_b64 v[2:5], v2 offset1:1
	s_add_i32 s12, s12, s33
	s_waitcnt lgkmcnt(1)
	v_div_scale_f64 v[16:17], s[8:9], v[12:13], v[12:13], v[6:7]
	v_rcp_f64_e32 v[18:19], v[16:17]
	s_add_i32 s13, s13, s1
	s_lshl_b32 s1, s13, 3
	v_fma_f64 v[20:21], -v[16:17], v[18:19], 1.0
	v_fmac_f64_e32 v[18:19], v[18:19], v[20:21]
	v_fma_f64 v[20:21], -v[16:17], v[18:19], 1.0
	v_fmac_f64_e32 v[18:19], v[18:19], v[20:21]
	v_div_scale_f64 v[20:21], vcc, v[6:7], v[12:13], v[6:7]
	v_mul_f64 v[22:23], v[20:21], v[18:19]
	v_fma_f64 v[16:17], -v[16:17], v[22:23], v[20:21]
	s_nop 1
	v_div_fmas_f64 v[16:17], v[16:17], v[18:19], v[22:23]
	v_div_fixup_f64 v[16:17], v[16:17], v[12:13], v[6:7]
	s_waitcnt lgkmcnt(0)
	v_fma_f64 v[8:9], -v[16:17], v[4:5], v[8:9]
	v_div_scale_f64 v[4:5], s[8:9], v[2:3], v[2:3], v[8:9]
	v_rcp_f64_e32 v[12:13], v[4:5]
	s_lshl_b32 s8, s12, 3
	v_fma_f64 v[6:7], -v[4:5], v[12:13], 1.0
	v_fmac_f64_e32 v[12:13], v[12:13], v[6:7]
	v_fma_f64 v[6:7], -v[4:5], v[12:13], 1.0
	v_fmac_f64_e32 v[12:13], v[12:13], v[6:7]
	v_div_scale_f64 v[6:7], vcc, v[8:9], v[2:3], v[8:9]
	v_mul_f64 v[18:19], v[6:7], v[12:13]
	v_fma_f64 v[20:21], -v[4:5], v[18:19], v[6:7]
	v_mov_b32_e32 v4, s8
	s_add_i32 s8, s16, 0xffffffb0
	v_mov_b32_e32 v5, s8
	ds_read_b64 v[22:23], v4
	ds_read2_b64 v[4:7], v5 offset1:1
	v_div_fmas_f64 v[12:13], v[20:21], v[12:13], v[18:19]
	v_div_fixup_f64 v[2:3], v[12:13], v[2:3], v[8:9]
	s_waitcnt lgkmcnt(1)
	v_fma_f64 v[8:9], -v[16:17], v[22:23], v[10:11]
	s_waitcnt lgkmcnt(0)
	v_fma_f64 v[18:19], -v[2:3], v[6:7], v[8:9]
	v_div_scale_f64 v[6:7], s[8:9], v[4:5], v[4:5], v[18:19]
	v_rcp_f64_e32 v[20:21], v[6:7]
	v_fma_f64 v[8:9], -v[6:7], v[20:21], 1.0
	v_fmac_f64_e32 v[20:21], v[20:21], v[8:9]
	v_fma_f64 v[8:9], -v[6:7], v[20:21], 1.0
	v_fmac_f64_e32 v[20:21], v[20:21], v[8:9]
	v_div_scale_f64 v[8:9], vcc, v[18:19], v[4:5], v[18:19]
	v_mul_f64 v[22:23], v[8:9], v[20:21]
	v_fma_f64 v[24:25], -v[6:7], v[22:23], v[8:9]
	v_mov_b32_e32 v6, s1
	s_add_i32 s1, s16, 0xffffff88
	v_mov_b32_e32 v10, s1
	ds_read2_b64 v[6:9], v6 offset1:1
	ds_read2_b64 v[10:13], v10 offset1:1
	v_div_fmas_f64 v[20:21], v[24:25], v[20:21], v[22:23]
	v_div_fixup_f64 v[4:5], v[20:21], v[4:5], v[18:19]
	ds_write_b64 v26, v[16:17] offset:128
	ds_write_b64 v1, v[2:3] offset:128
	;; [unrolled: 1-line block ×3, first 2 shown]
	s_waitcnt lgkmcnt(4)
	v_fma_f64 v[8:9], -v[16:17], v[8:9], v[14:15]
	v_fma_f64 v[6:7], -v[2:3], v[6:7], v[8:9]
	s_waitcnt lgkmcnt(3)
	v_fma_f64 v[6:7], -v[4:5], v[12:13], v[6:7]
	v_div_scale_f64 v[8:9], s[8:9], v[10:11], v[10:11], v[6:7]
	v_rcp_f64_e32 v[12:13], v[8:9]
	s_add_i32 s8, s31, -5
	v_fma_f64 v[2:3], -v[8:9], v[12:13], 1.0
	v_fmac_f64_e32 v[12:13], v[12:13], v[2:3]
	v_fma_f64 v[2:3], -v[8:9], v[12:13], 1.0
	v_fmac_f64_e32 v[12:13], v[12:13], v[2:3]
	v_div_scale_f64 v[2:3], vcc, v[6:7], v[10:11], v[6:7]
	v_mul_f64 v[4:5], v[2:3], v[12:13]
	v_fma_f64 v[2:3], -v[8:9], v[4:5], v[2:3]
	s_nop 1
	v_div_fmas_f64 v[2:3], v[2:3], v[12:13], v[4:5]
	v_div_fixup_f64 v[2:3], v[2:3], v[10:11], v[6:7]
	ds_write_b64 v28, v[2:3] offset:128
.LBB71_48:
	s_cmp_lt_i32 s8, 0
	s_cbranch_scc1 .LBB71_61
; %bb.49:
	s_bitcmp1_b32 s8, 0
	s_cselect_b64 s[12:13], -1, 0
	s_and_b64 vcc, exec, s[12:13]
	s_mov_b32 s1, s8
	s_cbranch_vccnz .LBB71_54
; %bb.50:
	v_lshlrev_b32_e32 v4, 3, v0
	v_lshl_or_b32 v1, s8, 5, v4
	ds_read_b64 v[2:3], v1 offset:128
	s_cmp_le_i32 s33, s8
	s_cbranch_scc1 .LBB71_53
; %bb.51:
	s_lshl_b32 s1, s8, 5
	s_lshl_b32 s9, s31, 3
	s_add_i32 s1, s1, s9
	v_lshl_or_b32 v4, s31, 5, v4
	s_add_i32 s1, s1, -8
	v_add_u32_e32 v4, 0x60, v4
	s_mov_b32 s9, s33
.LBB71_52:                              ; =>This Inner Loop Header: Depth=1
	v_mov_b32_e32 v5, s1
	ds_read_b64 v[6:7], v4
	ds_read_b64 v[8:9], v5
	s_add_i32 s9, s9, -1
	s_add_i32 s1, s1, -8
	v_subrev_u32_e32 v4, 32, v4
	s_cmp_gt_i32 s9, s8
	s_waitcnt lgkmcnt(0)
	v_fma_f64 v[2:3], -v[6:7], v[8:9], v[2:3]
	s_cbranch_scc1 .LBB71_52
.LBB71_53:
	s_mul_i32 s1, s8, 40
	v_mov_b32_e32 v4, s1
	ds_read_b64 v[4:5], v4
	v_add_u32_e32 v1, 0x80, v1
	s_add_i32 s1, s8, -1
	s_waitcnt lgkmcnt(0)
	v_div_scale_f64 v[6:7], s[12:13], v[4:5], v[4:5], v[2:3]
	v_rcp_f64_e32 v[8:9], v[6:7]
	v_div_scale_f64 v[10:11], vcc, v[2:3], v[4:5], v[2:3]
	v_fma_f64 v[12:13], -v[6:7], v[8:9], 1.0
	v_fmac_f64_e32 v[8:9], v[8:9], v[12:13]
	v_fma_f64 v[12:13], -v[6:7], v[8:9], 1.0
	v_fmac_f64_e32 v[8:9], v[8:9], v[12:13]
	v_mul_f64 v[12:13], v[10:11], v[8:9]
	v_fma_f64 v[6:7], -v[6:7], v[12:13], v[10:11]
	v_div_fmas_f64 v[6:7], v[6:7], v[8:9], v[12:13]
	v_div_fixup_f64 v[2:3], v[6:7], v[4:5], v[2:3]
	ds_write_b64 v1, v[2:3]
.LBB71_54:
	s_cmp_eq_u32 s8, 0
	s_cbranch_scc1 .LBB71_61
; %bb.55:
	v_lshlrev_b32_e32 v1, 3, v0
	s_lshl_b32 s8, s1, 5
	s_lshl_b32 s9, s31, 3
	v_lshl_or_b32 v2, s31, 5, v1
	s_add_i32 s9, s8, s9
	v_add_u32_e32 v6, 0x60, v2
	s_add_i32 s8, s9, -8
	s_sub_i32 s9, s9, 40
	s_branch .LBB71_57
.LBB71_56:                              ;   in Loop: Header=BB71_57 Depth=1
	s_sub_i32 s12, s12, 40
	v_mov_b32_e32 v5, s12
	ds_read_b64 v[8:9], v5
	s_add_i32 s16, s1, -2
	s_sub_i32 s8, s8, 64
	s_sub_i32 s9, s9, 64
	v_add_u32_e32 v4, 0x80, v7
	s_waitcnt lgkmcnt(0)
	v_div_scale_f64 v[10:11], s[12:13], v[8:9], v[8:9], v[2:3]
	v_rcp_f64_e32 v[12:13], v[10:11]
	v_div_scale_f64 v[14:15], vcc, v[2:3], v[8:9], v[2:3]
	s_cmp_lt_i32 s1, 2
	v_fma_f64 v[16:17], -v[10:11], v[12:13], 1.0
	v_fmac_f64_e32 v[12:13], v[12:13], v[16:17]
	v_fma_f64 v[16:17], -v[10:11], v[12:13], 1.0
	v_fmac_f64_e32 v[12:13], v[12:13], v[16:17]
	v_mul_f64 v[16:17], v[14:15], v[12:13]
	v_fma_f64 v[10:11], -v[10:11], v[16:17], v[14:15]
	v_div_fmas_f64 v[10:11], v[10:11], v[12:13], v[16:17]
	v_div_fixup_f64 v[2:3], v[10:11], v[8:9], v[2:3]
	s_mov_b32 s1, s16
	ds_write_b64 v4, v[2:3]
	s_cbranch_scc1 .LBB71_61
.LBB71_57:                              ; =>This Loop Header: Depth=1
                                        ;     Child Loop BB71_58 Depth 2
                                        ;     Child Loop BB71_60 Depth 2
	v_lshl_or_b32 v2, s1, 5, v1
	ds_read_b64 v[4:5], v2 offset:128
	s_cmp_le_i32 s33, s1
	s_mov_b32 s12, s8
	v_mov_b32_e32 v3, v6
	s_mov_b32 s13, s33
	s_cbranch_scc1 .LBB71_59
.LBB71_58:                              ;   Parent Loop BB71_57 Depth=1
                                        ; =>  This Inner Loop Header: Depth=2
	v_mov_b32_e32 v7, s12
	ds_read_b64 v[8:9], v3
	ds_read_b64 v[10:11], v7
	s_add_i32 s13, s13, -1
	s_add_i32 s12, s12, -8
	v_subrev_u32_e32 v3, 32, v3
	s_cmp_le_i32 s13, s1
	s_waitcnt lgkmcnt(0)
	v_fma_f64 v[4:5], -v[8:9], v[10:11], v[4:5]
	s_cbranch_scc0 .LBB71_58
.LBB71_59:                              ;   in Loop: Header=BB71_57 Depth=1
	s_mul_i32 s12, s1, 40
	v_add_u32_e32 v8, 0x80, v2
	v_mov_b32_e32 v2, s12
	ds_read_b64 v[10:11], v2
	s_lshl_b32 s13, s1, 5
	s_sub_i32 s13, s13, 32
	v_lshl_or_b32 v7, v0, 3, s13
	ds_read_b64 v[2:3], v7 offset:128
	s_waitcnt lgkmcnt(1)
	v_div_scale_f64 v[12:13], s[16:17], v[10:11], v[10:11], v[4:5]
	v_rcp_f64_e32 v[14:15], v[12:13]
	v_div_scale_f64 v[16:17], vcc, v[4:5], v[10:11], v[4:5]
	s_cmp_lt_i32 s33, s1
	v_fma_f64 v[18:19], -v[12:13], v[14:15], 1.0
	v_fmac_f64_e32 v[14:15], v[14:15], v[18:19]
	v_fma_f64 v[18:19], -v[12:13], v[14:15], 1.0
	v_fmac_f64_e32 v[14:15], v[14:15], v[18:19]
	v_mul_f64 v[18:19], v[16:17], v[14:15]
	v_fma_f64 v[12:13], -v[12:13], v[18:19], v[16:17]
	v_div_fmas_f64 v[12:13], v[12:13], v[14:15], v[18:19]
	v_div_fixup_f64 v[4:5], v[12:13], v[10:11], v[4:5]
	ds_write_b64 v8, v[4:5]
	v_mov_b32_e32 v4, v6
	s_mov_b32 s13, s9
	s_mov_b32 s16, s31
	s_cbranch_scc1 .LBB71_56
.LBB71_60:                              ;   Parent Loop BB71_57 Depth=1
                                        ; =>  This Inner Loop Header: Depth=2
	v_mov_b32_e32 v5, s13
	ds_read_b64 v[8:9], v4
	ds_read_b64 v[10:11], v5
	s_add_i32 s16, s16, -1
	s_add_i32 s13, s13, -8
	v_subrev_u32_e32 v4, 32, v4
	s_cmp_gt_i32 s16, s1
	s_waitcnt lgkmcnt(0)
	v_fma_f64 v[2:3], -v[8:9], v[10:11], v[2:3]
	s_cbranch_scc1 .LBB71_60
	s_branch .LBB71_56
.LBB71_61:
	s_mov_b64 s[18:19], 0
.LBB71_62:
	s_andn2_b64 vcc, exec, s[18:19]
	s_cbranch_vccnz .LBB71_71
; %bb.63:
	s_cmp_gt_i32 s30, 3
	s_mov_b32 s1, 0
	s_cbranch_scc0 .LBB71_65
; %bb.64:
	v_mov_b32_e32 v1, 0
	v_lshlrev_b32_e32 v26, 3, v0
	ds_read2_b64 v[2:5], v1 offset1:10
	ds_read2_b64 v[6:9], v26 offset0:16 offset1:20
	ds_read_b128 v[10:13], v1 offset:32
	s_mov_b32 s1, 4
	s_waitcnt lgkmcnt(1)
	v_div_scale_f64 v[14:15], s[8:9], v[2:3], v[2:3], v[6:7]
	v_rcp_f64_e32 v[16:17], v[14:15]
	v_div_scale_f64 v[18:19], vcc, v[6:7], v[2:3], v[6:7]
	v_fma_f64 v[20:21], -v[14:15], v[16:17], 1.0
	v_fmac_f64_e32 v[16:17], v[16:17], v[20:21]
	v_fma_f64 v[20:21], -v[14:15], v[16:17], 1.0
	v_fmac_f64_e32 v[16:17], v[16:17], v[20:21]
	v_mul_f64 v[20:21], v[18:19], v[16:17]
	v_fma_f64 v[14:15], -v[14:15], v[20:21], v[18:19]
	v_div_fmas_f64 v[14:15], v[14:15], v[16:17], v[20:21]
	v_div_fixup_f64 v[2:3], v[14:15], v[2:3], v[6:7]
	s_waitcnt lgkmcnt(0)
	v_fma_f64 v[10:11], -v[2:3], v[10:11], v[8:9]
	v_div_scale_f64 v[18:19], s[8:9], v[12:13], v[12:13], v[10:11]
	v_rcp_f64_e32 v[20:21], v[18:19]
	ds_read_b128 v[6:9], v1 offset:64
	ds_read2_b64 v[14:17], v26 offset0:24 offset1:28
	v_fma_f64 v[22:23], -v[18:19], v[20:21], 1.0
	v_fmac_f64_e32 v[20:21], v[20:21], v[22:23]
	v_fma_f64 v[22:23], -v[18:19], v[20:21], 1.0
	v_fmac_f64_e32 v[20:21], v[20:21], v[22:23]
	v_div_scale_f64 v[22:23], vcc, v[10:11], v[12:13], v[10:11]
	v_mul_f64 v[24:25], v[22:23], v[20:21]
	v_fma_f64 v[18:19], -v[18:19], v[24:25], v[22:23]
	s_waitcnt lgkmcnt(0)
	v_fma_f64 v[6:7], -v[2:3], v[6:7], v[14:15]
	v_div_fmas_f64 v[18:19], v[18:19], v[20:21], v[24:25]
	v_div_fixup_f64 v[18:19], v[18:19], v[12:13], v[10:11]
	v_fma_f64 v[14:15], -v[18:19], v[8:9], v[6:7]
	v_div_scale_f64 v[6:7], s[8:9], v[4:5], v[4:5], v[14:15]
	v_rcp_f64_e32 v[20:21], v[6:7]
	v_fma_f64 v[8:9], -v[6:7], v[20:21], 1.0
	v_fmac_f64_e32 v[20:21], v[20:21], v[8:9]
	v_fma_f64 v[8:9], -v[6:7], v[20:21], 1.0
	v_fmac_f64_e32 v[20:21], v[20:21], v[8:9]
	v_div_scale_f64 v[8:9], vcc, v[14:15], v[4:5], v[14:15]
	v_mul_f64 v[22:23], v[8:9], v[20:21]
	v_fma_f64 v[24:25], -v[6:7], v[22:23], v[8:9]
	ds_read_b128 v[6:9], v1 offset:96
	ds_read_b128 v[10:13], v1 offset:112
	v_div_fmas_f64 v[20:21], v[24:25], v[20:21], v[22:23]
	v_div_fixup_f64 v[4:5], v[20:21], v[4:5], v[14:15]
	ds_write2_b64 v26, v[2:3], v[18:19] offset0:16 offset1:20
	s_waitcnt lgkmcnt(2)
	v_fma_f64 v[6:7], -v[2:3], v[6:7], v[16:17]
	v_fma_f64 v[6:7], -v[18:19], v[8:9], v[6:7]
	s_waitcnt lgkmcnt(1)
	v_fma_f64 v[6:7], -v[4:5], v[10:11], v[6:7]
	v_div_scale_f64 v[8:9], s[8:9], v[12:13], v[12:13], v[6:7]
	v_rcp_f64_e32 v[10:11], v[8:9]
	v_fma_f64 v[2:3], -v[8:9], v[10:11], 1.0
	v_fmac_f64_e32 v[10:11], v[10:11], v[2:3]
	v_fma_f64 v[2:3], -v[8:9], v[10:11], 1.0
	v_fmac_f64_e32 v[10:11], v[10:11], v[2:3]
	v_div_scale_f64 v[2:3], vcc, v[6:7], v[12:13], v[6:7]
	v_mul_f64 v[14:15], v[2:3], v[10:11]
	v_fma_f64 v[2:3], -v[8:9], v[14:15], v[2:3]
	s_nop 1
	v_div_fmas_f64 v[2:3], v[2:3], v[10:11], v[14:15]
	v_div_fixup_f64 v[2:3], v[2:3], v[12:13], v[6:7]
	ds_write2_b64 v26, v[4:5], v[2:3] offset0:24 offset1:28
.LBB71_65:
	s_cmp_ge_i32 s1, s31
	s_cbranch_scc1 .LBB71_71
; %bb.66:
	v_mov_b32_e32 v1, 0x80
	v_lshl_or_b32 v1, v0, 3, v1
	s_lshl_b32 s8, s1, 5
	v_lshlrev_b32_e32 v4, 3, v0
	s_branch .LBB71_68
.LBB71_67:                              ;   in Loop: Header=BB71_68 Depth=1
	s_mul_i32 s9, s1, 40
	v_mov_b32_e32 v6, s9
	ds_read_b64 v[6:7], v6
	s_add_i32 s1, s1, 1
	s_add_i32 s8, s8, 32
	v_add_u32_e32 v5, 0x80, v5
	s_cmp_ge_i32 s1, s31
	s_waitcnt lgkmcnt(0)
	v_div_scale_f64 v[8:9], s[12:13], v[6:7], v[6:7], v[2:3]
	v_rcp_f64_e32 v[10:11], v[8:9]
	v_div_scale_f64 v[12:13], vcc, v[2:3], v[6:7], v[2:3]
	v_fma_f64 v[14:15], -v[8:9], v[10:11], 1.0
	v_fmac_f64_e32 v[10:11], v[10:11], v[14:15]
	v_fma_f64 v[14:15], -v[8:9], v[10:11], 1.0
	v_fmac_f64_e32 v[10:11], v[10:11], v[14:15]
	v_mul_f64 v[14:15], v[12:13], v[10:11]
	v_fma_f64 v[8:9], -v[8:9], v[14:15], v[12:13]
	v_div_fmas_f64 v[8:9], v[8:9], v[10:11], v[14:15]
	v_div_fixup_f64 v[2:3], v[8:9], v[6:7], v[2:3]
	ds_write_b64 v5, v[2:3]
	s_cbranch_scc1 .LBB71_71
.LBB71_68:                              ; =>This Loop Header: Depth=1
                                        ;     Child Loop BB71_70 Depth 2
	v_lshl_or_b32 v5, s1, 5, v4
	ds_read_b64 v[2:3], v5 offset:128
	s_cmp_eq_u32 s1, 0
	s_cbranch_scc1 .LBB71_67
; %bb.69:                               ;   in Loop: Header=BB71_68 Depth=1
	s_mov_b32 s9, 0
	s_mov_b32 s12, s8
	v_mov_b32_e32 v6, v1
.LBB71_70:                              ;   Parent Loop BB71_68 Depth=1
                                        ; =>  This Inner Loop Header: Depth=2
	v_mov_b32_e32 v7, s12
	ds_read_b64 v[8:9], v6
	ds_read_b64 v[10:11], v7
	s_add_i32 s9, s9, 1
	s_add_i32 s12, s12, 8
	v_add_u32_e32 v6, 32, v6
	s_cmp_ge_u32 s9, s1
	s_waitcnt lgkmcnt(0)
	v_fma_f64 v[2:3], -v[8:9], v[10:11], v[2:3]
	s_cbranch_scc0 .LBB71_70
	s_branch .LBB71_67
.LBB71_71:
	s_and_saveexec_b64 s[8:9], s[10:11]
	s_cbranch_execz .LBB71_78
; %bb.72:
	s_ashr_i32 s1, s0, 31
	s_mov_b32 s16, 0
	s_cmp_lt_u32 s30, 4
	v_lshlrev_b32_e32 v4, 3, v0
	s_cbranch_scc1 .LBB71_75
; %bb.73:
	v_mov_b32_e32 v1, s25
	v_add_co_u32_e32 v2, vcc, s24, v4
	v_addc_co_u32_e32 v3, vcc, 0, v1, vcc
	v_mov_b32_e32 v1, 0x80
	s_mul_hi_i32 s19, s0, 24
	s_lshl_b64 s[8:9], s[0:1], 5
	s_lshl_b64 s[10:11], s[0:1], 4
	;; [unrolled: 1-line block ×3, first 2 shown]
	s_and_b32 s16, s30, 0x7ffffffc
	v_lshl_or_b32 v0, v0, 3, v1
	s_mul_i32 s17, s0, 24
	s_mov_b32 s18, 0
	v_mov_b32_e32 v1, s13
	v_mov_b32_e32 v5, s11
	;; [unrolled: 1-line block ×4, first 2 shown]
.LBB71_74:                              ; =>This Inner Loop Header: Depth=1
	v_add_co_u32_e32 v16, vcc, s12, v2
	ds_read2_b64 v[8:11], v0 offset1:4
	v_addc_co_u32_e32 v17, vcc, v3, v1, vcc
	v_add_co_u32_e32 v18, vcc, s10, v2
	ds_read2_b64 v[12:15], v0 offset0:8 offset1:12
	v_addc_co_u32_e32 v19, vcc, v3, v5, vcc
	v_add_co_u32_e32 v20, vcc, s17, v2
	v_addc_co_u32_e32 v21, vcc, v3, v6, vcc
	s_add_i32 s18, s18, 4
	s_waitcnt lgkmcnt(1)
	global_store_dwordx2 v[2:3], v[8:9], off
	global_store_dwordx2 v[16:17], v[10:11], off
	s_waitcnt lgkmcnt(0)
	global_store_dwordx2 v[18:19], v[12:13], off
	global_store_dwordx2 v[20:21], v[14:15], off
	v_add_co_u32_e32 v2, vcc, s8, v2
	v_add_u32_e32 v0, 0x80, v0
	s_cmp_lg_u32 s16, s18
	v_addc_co_u32_e32 v3, vcc, v3, v7, vcc
	s_cbranch_scc1 .LBB71_74
.LBB71_75:
	s_and_b32 s8, s30, 3
	s_cmp_eq_u32 s8, 0
	s_cbranch_scc1 .LBB71_78
; %bb.76:
	s_mul_hi_i32 s11, s0, s16
	s_mul_i32 s10, s0, s16
	s_lshl_b64 s[10:11], s[10:11], 3
	s_add_u32 s9, s14, s10
	s_addc_u32 s10, s15, s11
	s_add_u32 s6, s9, s6
	s_addc_u32 s7, s10, s7
	s_add_u32 s4, s6, s4
	s_addc_u32 s5, s7, s5
	s_add_u32 s2, s2, s4
	s_addc_u32 s3, s3, s5
	v_mov_b32_e32 v1, s3
	v_add_co_u32_e32 v0, vcc, s2, v4
	s_lshl_b64 s[0:1], s[0:1], 3
	v_lshl_or_b32 v2, s16, 5, v4
	v_addc_co_u32_e32 v1, vcc, 0, v1, vcc
	v_add_u32_e32 v2, 0x80, v2
	v_mov_b32_e32 v3, s1
.LBB71_77:                              ; =>This Inner Loop Header: Depth=1
	ds_read_b64 v[4:5], v2
	s_add_i32 s8, s8, -1
	v_add_u32_e32 v2, 32, v2
	s_cmp_lg_u32 s8, 0
	s_waitcnt lgkmcnt(0)
	global_store_dwordx2 v[0:1], v[4:5], off
	v_add_co_u32_e32 v0, vcc, s0, v0
	v_addc_co_u32_e32 v1, vcc, v1, v3, vcc
	s_cbranch_scc1 .LBB71_77
.LBB71_78:
	s_endpgm
	.section	.rodata,"a",@progbits
	.p2align	6, 0x0
	.amdhsa_kernel _ZL31rocblas_trsm_small_right_deviceIddPKdPdLi4EEv13rocblas_fill_18rocblas_operation_17rocblas_diagonal_iiT0_T1_lilT2_lili
		.amdhsa_group_segment_fixed_size 256
		.amdhsa_private_segment_fixed_size 0
		.amdhsa_kernarg_size 360
		.amdhsa_user_sgpr_count 6
		.amdhsa_user_sgpr_private_segment_buffer 1
		.amdhsa_user_sgpr_dispatch_ptr 0
		.amdhsa_user_sgpr_queue_ptr 0
		.amdhsa_user_sgpr_kernarg_segment_ptr 1
		.amdhsa_user_sgpr_dispatch_id 0
		.amdhsa_user_sgpr_flat_scratch_init 0
		.amdhsa_user_sgpr_kernarg_preload_length 0
		.amdhsa_user_sgpr_kernarg_preload_offset 0
		.amdhsa_user_sgpr_private_segment_size 0
		.amdhsa_uses_dynamic_stack 0
		.amdhsa_system_sgpr_private_segment_wavefront_offset 0
		.amdhsa_system_sgpr_workgroup_id_x 1
		.amdhsa_system_sgpr_workgroup_id_y 0
		.amdhsa_system_sgpr_workgroup_id_z 1
		.amdhsa_system_sgpr_workgroup_info 0
		.amdhsa_system_vgpr_workitem_id 0
		.amdhsa_next_free_vgpr 31
		.amdhsa_next_free_sgpr 38
		.amdhsa_accum_offset 32
		.amdhsa_reserve_vcc 1
		.amdhsa_reserve_flat_scratch 0
		.amdhsa_float_round_mode_32 0
		.amdhsa_float_round_mode_16_64 0
		.amdhsa_float_denorm_mode_32 3
		.amdhsa_float_denorm_mode_16_64 3
		.amdhsa_dx10_clamp 1
		.amdhsa_ieee_mode 1
		.amdhsa_fp16_overflow 0
		.amdhsa_tg_split 0
		.amdhsa_exception_fp_ieee_invalid_op 0
		.amdhsa_exception_fp_denorm_src 0
		.amdhsa_exception_fp_ieee_div_zero 0
		.amdhsa_exception_fp_ieee_overflow 0
		.amdhsa_exception_fp_ieee_underflow 0
		.amdhsa_exception_fp_ieee_inexact 0
		.amdhsa_exception_int_div_zero 0
	.end_amdhsa_kernel
	.section	.text._ZL31rocblas_trsm_small_right_deviceIddPKdPdLi4EEv13rocblas_fill_18rocblas_operation_17rocblas_diagonal_iiT0_T1_lilT2_lili,"axG",@progbits,_ZL31rocblas_trsm_small_right_deviceIddPKdPdLi4EEv13rocblas_fill_18rocblas_operation_17rocblas_diagonal_iiT0_T1_lilT2_lili,comdat
.Lfunc_end71:
	.size	_ZL31rocblas_trsm_small_right_deviceIddPKdPdLi4EEv13rocblas_fill_18rocblas_operation_17rocblas_diagonal_iiT0_T1_lilT2_lili, .Lfunc_end71-_ZL31rocblas_trsm_small_right_deviceIddPKdPdLi4EEv13rocblas_fill_18rocblas_operation_17rocblas_diagonal_iiT0_T1_lilT2_lili
                                        ; -- End function
	.section	.AMDGPU.csdata,"",@progbits
; Kernel info:
; codeLenInByte = 5724
; NumSgprs: 42
; NumVgprs: 31
; NumAgprs: 0
; TotalNumVgprs: 31
; ScratchSize: 0
; MemoryBound: 0
; FloatMode: 240
; IeeeMode: 1
; LDSByteSize: 256 bytes/workgroup (compile time only)
; SGPRBlocks: 5
; VGPRBlocks: 3
; NumSGPRsForWavesPerEU: 42
; NumVGPRsForWavesPerEU: 31
; AccumOffset: 32
; Occupancy: 8
; WaveLimiterHint : 0
; COMPUTE_PGM_RSRC2:SCRATCH_EN: 0
; COMPUTE_PGM_RSRC2:USER_SGPR: 6
; COMPUTE_PGM_RSRC2:TRAP_HANDLER: 0
; COMPUTE_PGM_RSRC2:TGID_X_EN: 1
; COMPUTE_PGM_RSRC2:TGID_Y_EN: 0
; COMPUTE_PGM_RSRC2:TGID_Z_EN: 1
; COMPUTE_PGM_RSRC2:TIDIG_COMP_CNT: 0
; COMPUTE_PGM_RSRC3_GFX90A:ACCUM_OFFSET: 7
; COMPUTE_PGM_RSRC3_GFX90A:TG_SPLIT: 0
	.section	.text._ZL38rocblas_trsm_small_left_device_sharedBILi8ELi8ELb0EddPKdPdEv13rocblas_fill_18rocblas_operation_17rocblas_diagonal_iiT3_T4_lilT5_lili,"axG",@progbits,_ZL38rocblas_trsm_small_left_device_sharedBILi8ELi8ELb0EddPKdPdEv13rocblas_fill_18rocblas_operation_17rocblas_diagonal_iiT3_T4_lilT5_lili,comdat
	.globl	_ZL38rocblas_trsm_small_left_device_sharedBILi8ELi8ELb0EddPKdPdEv13rocblas_fill_18rocblas_operation_17rocblas_diagonal_iiT3_T4_lilT5_lili ; -- Begin function _ZL38rocblas_trsm_small_left_device_sharedBILi8ELi8ELb0EddPKdPdEv13rocblas_fill_18rocblas_operation_17rocblas_diagonal_iiT3_T4_lilT5_lili
	.p2align	8
	.type	_ZL38rocblas_trsm_small_left_device_sharedBILi8ELi8ELb0EddPKdPdEv13rocblas_fill_18rocblas_operation_17rocblas_diagonal_iiT3_T4_lilT5_lili,@function
_ZL38rocblas_trsm_small_left_device_sharedBILi8ELi8ELb0EddPKdPdEv13rocblas_fill_18rocblas_operation_17rocblas_diagonal_iiT3_T4_lilT5_lili: ; @_ZL38rocblas_trsm_small_left_device_sharedBILi8ELi8ELb0EddPKdPdEv13rocblas_fill_18rocblas_operation_17rocblas_diagonal_iiT3_T4_lilT5_lili
; %bb.0:
	s_load_dwordx4 s[0:3], s[4:5], 0x4
	s_load_dwordx4 s[8:11], s[4:5], 0x18
	s_load_dwordx2 s[20:21], s[4:5], 0x28
	s_load_dwordx4 s[12:15], s[4:5], 0x38
	s_load_dwordx2 s[16:17], s[4:5], 0x48
	s_waitcnt lgkmcnt(0)
	s_min_i32 s30, s2, 8
	s_mov_b32 s33, 0
	s_add_i32 s31, s30, -1
	v_cmp_gt_i32_e32 vcc, s30, v0
	s_and_saveexec_b64 s[18:19], vcc
	s_cbranch_execz .LBB72_10
; %bb.1:
	s_load_dword s22, s[4:5], 0x30
	s_mul_i32 s13, s7, s13
	s_mul_hi_u32 s24, s7, s12
	s_add_i32 s13, s24, s13
	s_mul_i32 s12, s7, s12
	s_waitcnt lgkmcnt(0)
	s_ashr_i32 s23, s22, 31
	s_cmp_lt_u32 s31, 3
	s_cbranch_scc1 .LBB72_4
; %bb.2:
	s_lshl_b64 s[24:25], s[12:13], 3
	s_add_u32 s26, s10, s24
	s_addc_u32 s27, s11, s25
	s_lshl_b64 s[24:25], s[20:21], 3
	s_add_u32 s24, s26, s24
	s_addc_u32 s25, s27, s25
	v_lshlrev_b32_e32 v1, 3, v0
	v_mov_b32_e32 v3, s25
	v_add_co_u32_e32 v2, vcc, s24, v1
	s_mul_hi_i32 s36, s22, 24
	s_lshl_b64 s[24:25], s[22:23], 5
	s_lshl_b64 s[26:27], s[22:23], 4
	;; [unrolled: 1-line block ×3, first 2 shown]
	v_addc_co_u32_e32 v3, vcc, 0, v3, vcc
	s_and_b32 s33, s30, -4
	s_mul_i32 s34, s22, 24
	s_mov_b32 s35, 0
	v_mov_b32_e32 v4, s29
	v_mov_b32_e32 v5, s27
	;; [unrolled: 1-line block ×4, first 2 shown]
.LBB72_3:                               ; =>This Inner Loop Header: Depth=1
	v_add_co_u32_e32 v10, vcc, s28, v2
	v_addc_co_u32_e32 v11, vcc, v3, v4, vcc
	v_add_co_u32_e32 v12, vcc, s26, v2
	v_addc_co_u32_e32 v13, vcc, v3, v5, vcc
	v_add_co_u32_e32 v14, vcc, s34, v2
	global_load_dwordx2 v[8:9], v[2:3], off
	v_addc_co_u32_e32 v15, vcc, v3, v6, vcc
	global_load_dwordx2 v[16:17], v[10:11], off
	global_load_dwordx2 v[18:19], v[12:13], off
	;; [unrolled: 1-line block ×3, first 2 shown]
	s_add_i32 s35, s35, 4
	v_add_co_u32_e32 v2, vcc, s24, v2
	v_addc_co_u32_e32 v3, vcc, v3, v7, vcc
	s_cmp_eq_u32 s33, s35
	s_waitcnt vmcnt(2)
	ds_write2_b64 v1, v[8:9], v[16:17] offset1:8
	s_waitcnt vmcnt(0)
	ds_write2_b64 v1, v[18:19], v[20:21] offset0:16 offset1:24
	v_add_u32_e32 v1, 0x100, v1
	s_cbranch_scc0 .LBB72_3
.LBB72_4:
	s_and_b32 s24, s30, 3
	s_cmp_eq_u32 s24, 0
	s_cbranch_scc1 .LBB72_7
; %bb.5:
	s_mul_i32 s25, s23, s33
	s_mul_hi_u32 s26, s22, s33
	s_add_i32 s27, s26, s25
	s_mul_i32 s26, s22, s33
	s_lshl_b64 s[12:13], s[12:13], 3
	s_lshl_b64 s[26:27], s[26:27], 3
	s_add_u32 s25, s12, s26
	s_addc_u32 s26, s13, s27
	s_lshl_b64 s[12:13], s[20:21], 3
	s_add_u32 s12, s25, s12
	s_addc_u32 s13, s26, s13
	s_add_u32 s10, s10, s12
	v_lshlrev_b32_e32 v2, 3, v0
	s_addc_u32 s11, s11, s13
	v_lshl_or_b32 v1, s33, 6, v2
	v_mov_b32_e32 v3, s11
	v_add_co_u32_e32 v2, vcc, s10, v2
	s_lshl_b64 s[10:11], s[22:23], 3
	v_addc_co_u32_e32 v3, vcc, 0, v3, vcc
	v_mov_b32_e32 v4, s11
.LBB72_6:                               ; =>This Inner Loop Header: Depth=1
	global_load_dwordx2 v[6:7], v[2:3], off
	v_add_co_u32_e32 v2, vcc, s10, v2
	s_add_i32 s24, s24, -1
	v_addc_co_u32_e32 v3, vcc, v3, v4, vcc
	s_cmp_lg_u32 s24, 0
	s_waitcnt vmcnt(0)
	ds_write_b64 v1, v[6:7]
	v_add_u32_e32 v1, 64, v1
	s_cbranch_scc1 .LBB72_6
.LBB72_7:
	v_mul_u32_u24_e32 v1, 9, v0
	v_mov_b32_e32 v2, 0
	s_cmpk_lg_i32 s1, 0x84
	v_lshlrev_b32_e32 v1, 3, v1
	v_mov_b32_e32 v3, 0x3ff00000
	s_cbranch_scc0 .LBB72_9
; %bb.8:
	ds_read_b64 v[2:3], v1
	s_waitcnt lgkmcnt(0)
	v_div_scale_f64 v[4:5], s[10:11], v[2:3], v[2:3], 1.0
	v_rcp_f64_e32 v[6:7], v[4:5]
	v_div_scale_f64 v[8:9], vcc, 1.0, v[2:3], 1.0
	v_fma_f64 v[10:11], -v[4:5], v[6:7], 1.0
	v_fmac_f64_e32 v[6:7], v[6:7], v[10:11]
	v_fma_f64 v[10:11], -v[4:5], v[6:7], 1.0
	v_fmac_f64_e32 v[6:7], v[6:7], v[10:11]
	v_mul_f64 v[10:11], v[8:9], v[6:7]
	v_fma_f64 v[4:5], -v[4:5], v[10:11], v[8:9]
	v_div_fmas_f64 v[4:5], v[4:5], v[6:7], v[10:11]
	v_div_fixup_f64 v[2:3], v[4:5], v[2:3], 1.0
.LBB72_9:
	ds_write_b64 v1, v[2:3]
.LBB72_10:
	s_or_b64 exec, exec, s[18:19]
	s_load_dword s1, s[4:5], 0x68
	s_load_dwordx2 s[12:13], s[4:5], 0x58
	s_load_dword s10, s[4:5], 0x50
	v_lshlrev_b32_e32 v10, 3, v0
	s_waitcnt lgkmcnt(0)
	s_mul_i32 s5, s7, s13
	s_mul_hi_u32 s11, s7, s12
	s_mul_i32 s4, s7, s12
	s_add_i32 s5, s11, s5
	s_lshl_b64 s[4:5], s[4:5], 3
	s_add_u32 s7, s14, s4
	s_addc_u32 s11, s15, s5
	s_lshl_b64 s[4:5], s[16:17], 3
	s_add_u32 s7, s7, s4
	s_addc_u32 s11, s11, s5
	s_lshl_b32 s4, s6, 3
	s_add_i32 s1, s1, -1
	s_sub_i32 s3, s3, s4
	s_cmp_ge_u32 s6, s1
	s_mul_hi_i32 s5, s10, s4
	s_mul_i32 s4, s10, s4
	s_cselect_b32 s1, s3, 8
	s_lshl_b64 s[4:5], s[4:5], 3
	s_add_u32 s3, s7, s4
	s_addc_u32 s11, s11, s5
	s_cmp_gt_i32 s2, 0
	v_cmp_gt_i32_e32 vcc, s1, v0
	s_cselect_b64 s[4:5], -1, 0
	s_and_b64 s[4:5], vcc, s[4:5]
	s_and_saveexec_b64 s[6:7], s[4:5]
	s_cbranch_execz .LBB72_19
; %bb.11:
	v_mad_i64_i32 v[2:3], s[12:13], s10, v0, 0
	v_lshlrev_b64 v[2:3], 3, v[2:3]
	v_mov_b32_e32 v1, s11
	v_add_co_u32_e32 v2, vcc, s3, v2
	v_addc_co_u32_e32 v3, vcc, v1, v3, vcc
	global_load_dwordx2 v[4:5], v[2:3], off
	s_cmp_eq_u32 s2, 1
	s_waitcnt vmcnt(0)
	v_mul_f64 v[4:5], v[4:5], s[8:9]
	ds_write_b64 v10, v[4:5] offset:512
	s_cbranch_scc1 .LBB72_19
; %bb.12:
	global_load_dwordx2 v[4:5], v[2:3], off offset:8
	v_or_b32_e32 v1, 0x200, v10
	s_cmp_eq_u32 s2, 2
	s_waitcnt vmcnt(0)
	v_mul_f64 v[4:5], v[4:5], s[8:9]
	ds_write_b64 v1, v[4:5] offset:64
	s_cbranch_scc1 .LBB72_19
; %bb.13:
	global_load_dwordx2 v[4:5], v[2:3], off offset:16
	s_cmp_eq_u32 s2, 3
	s_waitcnt vmcnt(0)
	v_mul_f64 v[4:5], v[4:5], s[8:9]
	ds_write_b64 v1, v[4:5] offset:128
	s_cbranch_scc1 .LBB72_19
; %bb.14:
	global_load_dwordx2 v[4:5], v[2:3], off offset:24
	;; [unrolled: 7-line block ×6, first 2 shown]
	s_waitcnt vmcnt(0)
	v_mul_f64 v[2:3], v[2:3], s[8:9]
	ds_write_b64 v1, v[2:3] offset:448
.LBB72_19:
	s_or_b64 exec, exec, s[6:7]
	s_cmpk_eq_i32 s0, 0x6f
	s_mov_b64 s[0:1], -1
	s_waitcnt lgkmcnt(0)
	; wave barrier
	s_waitcnt lgkmcnt(0)
	s_cbranch_scc1 .LBB72_42
; %bb.20:
	s_cmp_gt_i32 s2, 7
	s_cbranch_scc0 .LBB72_22
; %bb.21:
	ds_read2_b64 v[2:5], v10 offset0:64 offset1:72
	v_mov_b32_e32 v1, 0
	ds_read2_b64 v[6:9], v1 offset1:18
	ds_read2_b64 v[12:15], v10 offset0:80 offset1:88
	ds_read_b128 v[16:19], v1 offset:64
	ds_read2_b64 v[20:23], v10 offset0:96 offset1:104
	ds_read2_b64 v[24:27], v10 offset0:112 offset1:120
	ds_read_b128 v[28:31], v1 offset:128
	s_mov_b32 s0, 8
	s_waitcnt lgkmcnt(5)
	v_mul_f64 v[32:33], v[2:3], v[6:7]
	s_waitcnt lgkmcnt(3)
	v_fma_f64 v[2:3], -v[32:33], v[16:17], v[4:5]
	v_mul_f64 v[34:35], v[2:3], v[18:19]
	ds_read_b128 v[2:5], v1 offset:192
	ds_read_b128 v[16:19], v1 offset:208
	s_waitcnt lgkmcnt(2)
	v_fma_f64 v[6:7], -v[32:33], v[28:29], v[12:13]
	v_fma_f64 v[6:7], -v[34:35], v[30:31], v[6:7]
	v_mul_f64 v[28:29], v[6:7], v[8:9]
	s_waitcnt lgkmcnt(1)
	v_fma_f64 v[2:3], -v[32:33], v[2:3], v[14:15]
	v_fma_f64 v[2:3], -v[34:35], v[4:5], v[2:3]
	s_waitcnt lgkmcnt(0)
	v_fma_f64 v[6:7], -v[28:29], v[16:17], v[2:3]
	ds_read_b128 v[2:5], v1 offset:256
	v_mul_f64 v[30:31], v[6:7], v[18:19]
	ds_write2_b64 v10, v[32:33], v[34:35] offset0:64 offset1:72
	ds_write2_b64 v10, v[28:29], v[30:31] offset0:80 offset1:88
	ds_read_b128 v[6:9], v1 offset:272
	ds_read2_b64 v[12:15], v1 offset0:36 offset1:54
	s_waitcnt lgkmcnt(4)
	v_fma_f64 v[2:3], -v[32:33], v[2:3], v[20:21]
	v_fma_f64 v[16:17], -v[34:35], v[4:5], v[2:3]
	ds_read_b128 v[2:5], v1 offset:320
	s_waitcnt lgkmcnt(2)
	v_fma_f64 v[6:7], -v[28:29], v[6:7], v[16:17]
	v_fma_f64 v[16:17], -v[30:31], v[8:9], v[6:7]
	ds_read_b128 v[6:9], v1 offset:336
	s_waitcnt lgkmcnt(2)
	v_mul_f64 v[20:21], v[16:17], v[12:13]
	ds_read_b128 v[16:19], v1 offset:352
	s_waitcnt lgkmcnt(2)
	v_fma_f64 v[2:3], -v[32:33], v[2:3], v[22:23]
	v_fma_f64 v[2:3], -v[34:35], v[4:5], v[2:3]
	s_waitcnt lgkmcnt(1)
	v_fma_f64 v[2:3], -v[28:29], v[6:7], v[2:3]
	v_fma_f64 v[6:7], -v[30:31], v[8:9], v[2:3]
	ds_read_b128 v[2:5], v1 offset:384
	s_waitcnt lgkmcnt(1)
	v_fma_f64 v[6:7], -v[20:21], v[16:17], v[6:7]
	v_mul_f64 v[22:23], v[6:7], v[18:19]
	ds_read_b128 v[6:9], v1 offset:400
	ds_read_b128 v[16:19], v1 offset:416
	s_waitcnt lgkmcnt(2)
	v_fma_f64 v[2:3], -v[32:33], v[2:3], v[24:25]
	v_fma_f64 v[2:3], -v[34:35], v[4:5], v[2:3]
	ds_write2_b64 v10, v[20:21], v[22:23] offset0:96 offset1:104
	s_waitcnt lgkmcnt(2)
	v_fma_f64 v[2:3], -v[28:29], v[6:7], v[2:3]
	v_fma_f64 v[2:3], -v[30:31], v[8:9], v[2:3]
	s_waitcnt lgkmcnt(1)
	v_fma_f64 v[2:3], -v[20:21], v[16:17], v[2:3]
	v_fma_f64 v[6:7], -v[22:23], v[18:19], v[2:3]
	ds_read_b128 v[2:5], v1 offset:448
	v_mul_f64 v[24:25], v[6:7], v[14:15]
	ds_read_b128 v[6:9], v1 offset:464
	ds_read_b128 v[12:15], v1 offset:480
	;; [unrolled: 1-line block ×3, first 2 shown]
	s_waitcnt lgkmcnt(3)
	v_fma_f64 v[2:3], -v[32:33], v[2:3], v[26:27]
	v_fma_f64 v[2:3], -v[34:35], v[4:5], v[2:3]
	s_waitcnt lgkmcnt(2)
	v_fma_f64 v[2:3], -v[28:29], v[6:7], v[2:3]
	v_fma_f64 v[2:3], -v[30:31], v[8:9], v[2:3]
	;; [unrolled: 3-line block ×3, first 2 shown]
	s_waitcnt lgkmcnt(0)
	v_fma_f64 v[2:3], -v[24:25], v[16:17], v[2:3]
	v_mul_f64 v[2:3], v[2:3], v[18:19]
	ds_write2_b64 v10, v[24:25], v[2:3] offset0:112 offset1:120
	s_cmp_lt_i32 s0, s30
	s_cbranch_scc1 .LBB72_23
	s_branch .LBB72_41
.LBB72_22:
	s_mov_b32 s0, 0
	s_cmp_lt_i32 s0, s30
	s_cbranch_scc0 .LBB72_41
.LBB72_23:
	s_or_b32 s1, s0, 3
	s_cmp_ge_u32 s1, s30
	s_cbranch_scc1 .LBB72_29
; %bb.24:
	v_mov_b32_e32 v1, 0x200
	s_lshl_b32 s1, s0, 6
	v_lshl_or_b32 v1, v0, 3, v1
.LBB72_25:                              ; =>This Loop Header: Depth=1
                                        ;     Child Loop BB72_26 Depth 2
	v_lshl_or_b32 v11, s0, 6, v10
	ds_read2_b64 v[6:9], v11 offset0:64 offset1:72
	ds_read2_b64 v[2:5], v11 offset0:80 offset1:88
	s_cmp_eq_u32 s0, 0
	s_mov_b32 s6, s0
	v_mov_b32_e32 v12, v1
	s_mov_b32 s7, s1
	s_cbranch_scc1 .LBB72_27
.LBB72_26:                              ;   Parent Loop BB72_25 Depth=1
                                        ; =>  This Inner Loop Header: Depth=2
	ds_read2_b64 v[14:17], v12 offset1:8
	v_mov_b32_e32 v13, s7
	ds_read2_b64 v[18:21], v12 offset0:16 offset1:24
	ds_read_b128 v[22:25], v13
	ds_read_b128 v[26:29], v13 offset:16
	ds_read_b128 v[30:33], v13 offset:64
	;; [unrolled: 1-line block ×7, first 2 shown]
	s_add_i32 s7, s7, 32
	s_waitcnt lgkmcnt(7)
	v_fma_f64 v[6:7], -v[14:15], v[22:23], v[6:7]
	s_waitcnt lgkmcnt(5)
	v_fma_f64 v[8:9], -v[14:15], v[30:31], v[8:9]
	;; [unrolled: 2-line block ×4, first 2 shown]
	v_fma_f64 v[6:7], -v[16:17], v[24:25], v[6:7]
	v_fma_f64 v[8:9], -v[16:17], v[32:33], v[8:9]
	v_fma_f64 v[2:3], -v[16:17], v[40:41], v[2:3]
	v_fma_f64 v[4:5], -v[16:17], v[48:49], v[4:5]
	s_add_i32 s6, s6, -4
	v_fma_f64 v[6:7], -v[18:19], v[26:27], v[6:7]
	v_fma_f64 v[8:9], -v[18:19], v[34:35], v[8:9]
	;; [unrolled: 1-line block ×3, first 2 shown]
	s_waitcnt lgkmcnt(0)
	v_fma_f64 v[4:5], -v[18:19], v[50:51], v[4:5]
	v_add_u32_e32 v12, 0x100, v12
	s_cmp_lg_u32 s6, 0
	v_fma_f64 v[6:7], -v[20:21], v[28:29], v[6:7]
	v_fma_f64 v[8:9], -v[20:21], v[36:37], v[8:9]
	;; [unrolled: 1-line block ×4, first 2 shown]
	s_cbranch_scc1 .LBB72_26
.LBB72_27:                              ;   in Loop: Header=BB72_25 Depth=1
	s_mul_i32 s6, s0, 0x48
	v_mov_b32_e32 v12, s6
	ds_read2_b64 v[12:15], v12 offset1:18
	s_lshl_b32 s6, s0, 3
	s_or_b32 s7, s6, 8
	s_add_i32 s8, s7, s0
	s_lshl_b32 s8, s8, 3
	s_waitcnt lgkmcnt(0)
	v_mul_f64 v[24:25], v[6:7], v[12:13]
	v_mov_b32_e32 v6, s8
	s_or_b32 s8, s6, 16
	ds_read_b128 v[16:19], v6
	s_add_i32 s9, s8, s0
	s_lshl_b32 s9, s9, 3
	v_mov_b32_e32 v6, s9
	ds_read_b128 v[20:23], v6
	s_waitcnt lgkmcnt(1)
	v_fma_f64 v[6:7], -v[24:25], v[16:17], v[8:9]
	s_or_b32 s6, s6, 24
	v_mul_f64 v[16:17], v[6:7], v[18:19]
	v_or_b32_e32 v6, s7, v0
	s_add_i32 s7, s6, s0
	v_add_u32_e32 v11, 0x200, v11
	s_lshl_b32 s7, s7, 3
	ds_write_b64 v11, v[24:25]
	v_lshlrev_b32_e32 v6, 3, v6
	v_mov_b32_e32 v11, s7
	ds_write_b64 v6, v[16:17] offset:512
	s_waitcnt lgkmcnt(2)
	v_fma_f64 v[2:3], -v[24:25], v[20:21], v[2:3]
	ds_read_b128 v[6:9], v11
	v_fma_f64 v[2:3], -v[16:17], v[22:23], v[2:3]
	v_mul_f64 v[2:3], v[2:3], v[14:15]
	ds_read_b128 v[12:15], v11 offset:16
	v_or_b32_e32 v18, s8, v0
	s_waitcnt lgkmcnt(1)
	v_fma_f64 v[4:5], -v[24:25], v[6:7], v[4:5]
	v_lshlrev_b32_e32 v11, 3, v18
	v_fma_f64 v[4:5], -v[16:17], v[8:9], v[4:5]
	ds_write_b64 v11, v[2:3] offset:512
	s_waitcnt lgkmcnt(1)
	v_fma_f64 v[2:3], -v[2:3], v[12:13], v[4:5]
	v_or_b32_e32 v4, s6, v0
	s_add_i32 s6, s0, 4
	s_add_i32 s0, s0, 7
	s_addk_i32 s1, 0x100
	v_mul_f64 v[2:3], v[2:3], v[14:15]
	v_lshlrev_b32_e32 v4, 3, v4
	s_cmp_lt_i32 s0, s30
	ds_write_b64 v4, v[2:3] offset:512
	s_cbranch_scc0 .LBB72_30
; %bb.28:                               ;   in Loop: Header=BB72_25 Depth=1
	s_mov_b32 s0, s6
	s_branch .LBB72_25
.LBB72_29:
	s_mov_b32 s6, s0
.LBB72_30:
	s_cmp_ge_i32 s6, s30
	s_cbranch_scc1 .LBB72_41
; %bb.31:
	v_mov_b32_e32 v1, 0x200
	s_add_i32 s0, s6, -1
	v_lshl_or_b32 v1, v0, 3, v1
	s_lshl_b32 s1, s6, 6
	s_mov_b32 s7, 0
	s_mov_b32 s8, s6
	s_branch .LBB72_33
.LBB72_32:                              ;   in Loop: Header=BB72_33 Depth=1
	s_mul_i32 s9, s6, 0x48
	v_mov_b32_e32 v5, s9
	ds_read_b64 v[6:7], v5
	s_add_i32 s6, s6, 1
	s_add_i32 s7, s7, 1
	;; [unrolled: 1-line block ×3, first 2 shown]
	v_add_u16_e64 v5, s8, 1
	v_add_u32_e32 v4, 0x200, v4
	s_waitcnt lgkmcnt(0)
	v_mul_f64 v[2:3], v[2:3], v[6:7]
	s_cmp_ge_i32 s6, s30
	v_readfirstlane_b32 s8, v5
	ds_write_b64 v4, v[2:3]
	s_cbranch_scc1 .LBB72_41
.LBB72_33:                              ; =>This Loop Header: Depth=1
                                        ;     Child Loop BB72_36 Depth 2
                                        ;     Child Loop BB72_40 Depth 2
	v_lshl_or_b32 v4, s6, 6, v10
	ds_read_b64 v[2:3], v4 offset:512
	s_cmp_eq_u32 s6, 0
	s_cbranch_scc1 .LBB72_32
; %bb.34:                               ;   in Loop: Header=BB72_33 Depth=1
	s_add_i32 s9, s0, s7
	s_cmp_lt_u32 s9, 7
	s_cbranch_scc1 .LBB72_38
; %bb.35:                               ;   in Loop: Header=BB72_33 Depth=1
	s_and_b32 s9, s6, -8
	s_mov_b32 s12, 0
	s_mov_b32 s13, s1
	v_mov_b32_e32 v5, v1
.LBB72_36:                              ;   Parent Loop BB72_33 Depth=1
                                        ; =>  This Inner Loop Header: Depth=2
	ds_read2_b64 v[6:9], v5 offset1:8
	v_mov_b32_e32 v11, s13
	ds_read2_b64 v[12:15], v5 offset0:16 offset1:24
	ds_read2_b64 v[16:19], v5 offset0:32 offset1:40
	;; [unrolled: 1-line block ×3, first 2 shown]
	ds_read_b128 v[24:27], v11
	ds_read_b128 v[28:31], v11 offset:16
	ds_read_b128 v[32:35], v11 offset:32
	ds_read_b128 v[36:39], v11 offset:48
	s_add_i32 s12, s12, 8
	s_waitcnt lgkmcnt(3)
	v_fma_f64 v[2:3], -v[6:7], v[24:25], v[2:3]
	v_fma_f64 v[2:3], -v[8:9], v[26:27], v[2:3]
	s_waitcnt lgkmcnt(2)
	v_fma_f64 v[2:3], -v[12:13], v[28:29], v[2:3]
	v_fma_f64 v[2:3], -v[14:15], v[30:31], v[2:3]
	;; [unrolled: 3-line block ×3, first 2 shown]
	s_add_i32 s13, s13, 64
	s_waitcnt lgkmcnt(0)
	v_fma_f64 v[2:3], -v[20:21], v[36:37], v[2:3]
	v_add_u32_e32 v5, 0x200, v5
	s_cmp_lg_u32 s9, s12
	v_fma_f64 v[2:3], -v[22:23], v[38:39], v[2:3]
	s_cbranch_scc1 .LBB72_36
; %bb.37:                               ;   in Loop: Header=BB72_33 Depth=1
	s_and_b32 s12, s6, 7
	s_cmp_eq_u32 s12, 0
	s_cbranch_scc0 .LBB72_39
	s_branch .LBB72_32
.LBB72_38:                              ;   in Loop: Header=BB72_33 Depth=1
	s_mov_b32 s9, 0
	s_and_b32 s12, s6, 7
	s_cmp_eq_u32 s12, 0
	s_cbranch_scc1 .LBB72_32
.LBB72_39:                              ;   in Loop: Header=BB72_33 Depth=1
	s_and_b32 s12, s8, 7
	s_lshl_b32 s13, s9, 3
	v_lshl_add_u32 v5, s9, 6, v1
.LBB72_40:                              ;   Parent Loop BB72_33 Depth=1
                                        ; =>  This Inner Loop Header: Depth=2
	s_add_i32 s9, s1, s13
	v_mov_b32_e32 v8, s9
	ds_read_b64 v[6:7], v5
	ds_read_b64 v[8:9], v8
	s_add_i32 s13, s13, 8
	s_add_i32 s12, s12, -1
	v_add_u32_e32 v5, 64, v5
	s_cmp_lg_u32 s12, 0
	s_waitcnt lgkmcnt(0)
	v_fma_f64 v[2:3], -v[6:7], v[8:9], v[2:3]
	s_cbranch_scc1 .LBB72_40
	s_branch .LBB72_32
.LBB72_41:
	s_mov_b64 s[0:1], 0
.LBB72_42:
	s_and_b64 vcc, exec, s[0:1]
	s_cbranch_vccz .LBB72_66
; %bb.43:
	s_cmp_gt_i32 s2, 7
	s_cbranch_scc0 .LBB72_45
; %bb.44:
	s_lshl_b32 s1, s30, 3
	s_lshl_b32 s8, s31, 3
	s_add_i32 s0, s1, -16
	s_sub_i32 s7, s1, 24
	v_or_b32_e32 v1, s8, v0
	v_or_b32_e32 v2, s0, v0
	;; [unrolled: 1-line block ×3, first 2 shown]
	s_sub_i32 s0, s1, 32
	v_lshlrev_b32_e32 v1, 3, v1
	v_lshlrev_b32_e32 v2, 3, v2
	;; [unrolled: 1-line block ×3, first 2 shown]
	v_or_b32_e32 v3, s0, v0
	s_sub_i32 s6, s1, 40
	v_lshlrev_b32_e32 v3, 3, v3
	ds_read_b64 v[4:5], v1 offset:512
	ds_read_b64 v[12:13], v2 offset:512
	;; [unrolled: 1-line block ×4, first 2 shown]
	v_or_b32_e32 v2, s6, v0
	s_sub_i32 s0, s1, 48
	v_lshlrev_b32_e32 v38, 3, v2
	v_or_b32_e32 v2, s0, v0
	s_sub_i32 s0, s1, 56
	v_or_b32_e32 v3, s0, v0
	s_sub_i32 s1, s1, 64
	s_add_i32 s9, s30, -2
	v_lshlrev_b32_e32 v42, 3, v3
	v_or_b32_e32 v3, s1, v0
	s_add_i32 s1, s9, s8
	s_lshl_b32 s1, s1, 3
	v_lshlrev_b32_e32 v2, 3, v2
	v_lshlrev_b32_e32 v3, 3, v3
	v_mov_b32_e32 v6, s1
	s_mul_i32 s1, s31, 0x48
	ds_read_b64 v[22:23], v38 offset:512
	ds_read_b64 v[26:27], v2 offset:512
	;; [unrolled: 1-line block ×4, first 2 shown]
	ds_read2_b64 v[6:9], v6 offset1:1
	s_add_i32 s12, s1, 0xffffffb8
	v_mov_b32_e32 v14, s12
	ds_read_b64 v[14:15], v14
	s_lshl_b32 s9, s9, 3
	s_waitcnt lgkmcnt(1)
	v_mul_f64 v[4:5], v[4:5], v[8:9]
	s_add_i32 s12, s30, -4
	ds_write_b64 v1, v[4:5] offset:512
	v_fma_f64 v[6:7], -v[4:5], v[6:7], v[12:13]
	v_or_b32_e32 v1, s9, v0
	s_add_i32 s13, s12, s8
	s_waitcnt lgkmcnt(1)
	v_mul_f64 v[30:31], v[6:7], v[14:15]
	v_lshlrev_b32_e32 v1, 3, v1
	s_lshl_b32 s13, s13, 3
	ds_write_b64 v1, v[30:31] offset:512
	v_mov_b32_e32 v1, s13
	s_add_i32 s13, s12, s9
	ds_read2_b64 v[6:9], v1 offset1:1
	s_lshl_b32 s13, s13, 3
	v_mov_b32_e32 v1, s13
	ds_read2_b64 v[12:15], v1 offset1:1
	s_add_i32 s13, s12, s7
	s_lshl_b32 s13, s13, 3
	v_mov_b32_e32 v1, s13
	s_waitcnt lgkmcnt(1)
	v_fma_f64 v[8:9], -v[4:5], v[8:9], v[16:17]
	ds_read2_b64 v[16:19], v1 offset1:1
	s_add_i32 s13, s1, 0xffffff28
	v_mov_b32_e32 v1, s13
	s_waitcnt lgkmcnt(1)
	v_fma_f64 v[8:9], -v[30:31], v[14:15], v[8:9]
	ds_read_b64 v[14:15], v1
	s_add_i32 s13, s30, -6
	s_add_i32 s14, s13, s8
	v_fma_f64 v[6:7], -v[4:5], v[6:7], v[20:21]
	s_lshl_b32 s14, s14, 3
	s_waitcnt lgkmcnt(1)
	v_mul_f64 v[32:33], v[8:9], v[18:19]
	v_fma_f64 v[6:7], -v[30:31], v[12:13], v[6:7]
	v_mov_b32_e32 v1, s14
	s_add_i32 s14, s13, s9
	ds_write_b64 v11, v[32:33] offset:512
	v_fma_f64 v[6:7], -v[32:33], v[16:17], v[6:7]
	s_lshl_b32 s14, s14, 3
	s_lshl_b32 s12, s12, 3
	s_waitcnt lgkmcnt(1)
	v_mul_f64 v[34:35], v[6:7], v[14:15]
	v_mov_b32_e32 v11, s14
	ds_read2_b64 v[6:9], v1 offset1:1
	ds_read2_b64 v[12:15], v11 offset1:1
	v_or_b32_e32 v1, s12, v0
	s_add_i32 s14, s13, s7
	v_lshlrev_b32_e32 v1, 3, v1
	s_lshl_b32 s14, s14, 3
	ds_write_b64 v1, v[34:35] offset:512
	v_mov_b32_e32 v1, s14
	s_add_i32 s14, s13, s12
	s_waitcnt lgkmcnt(2)
	v_fma_f64 v[8:9], -v[4:5], v[8:9], v[22:23]
	s_lshl_b32 s14, s14, 3
	s_waitcnt lgkmcnt(1)
	v_fma_f64 v[8:9], -v[30:31], v[14:15], v[8:9]
	ds_read2_b64 v[14:17], v1 offset1:1
	v_mov_b32_e32 v1, s14
	s_add_i32 s14, s13, s6
	s_lshl_b32 s14, s14, 3
	ds_read2_b64 v[18:21], v1 offset1:1
	v_mov_b32_e32 v1, s14
	ds_read2_b64 v[22:25], v1 offset1:1
	s_add_i32 s14, s1, 0xfffffe98
	v_mov_b32_e32 v1, s14
	s_waitcnt lgkmcnt(2)
	v_fma_f64 v[8:9], -v[32:33], v[16:17], v[8:9]
	ds_read_b64 v[16:17], v1
	v_fma_f64 v[6:7], -v[4:5], v[6:7], v[26:27]
	s_add_i32 s14, s30, -8
	v_fma_f64 v[6:7], -v[30:31], v[12:13], v[6:7]
	s_add_i32 s8, s14, s8
	s_waitcnt lgkmcnt(2)
	v_fma_f64 v[8:9], -v[34:35], v[20:21], v[8:9]
	v_fma_f64 v[6:7], -v[32:33], v[14:15], v[6:7]
	s_lshl_b32 s8, s8, 3
	s_waitcnt lgkmcnt(1)
	v_mul_f64 v[36:37], v[8:9], v[24:25]
	v_fma_f64 v[6:7], -v[34:35], v[18:19], v[6:7]
	v_mov_b32_e32 v1, s8
	s_add_i32 s8, s14, s9
	ds_write_b64 v38, v[36:37] offset:512
	v_fma_f64 v[6:7], -v[36:37], v[22:23], v[6:7]
	s_lshl_b32 s8, s8, 3
	s_lshl_b32 s13, s13, 3
	s_waitcnt lgkmcnt(1)
	v_mul_f64 v[38:39], v[6:7], v[16:17]
	v_mov_b32_e32 v11, s8
	ds_read2_b64 v[6:9], v1 offset1:1
	ds_read2_b64 v[12:15], v11 offset1:1
	v_or_b32_e32 v1, s13, v0
	s_add_i32 s7, s14, s7
	v_lshlrev_b32_e32 v1, 3, v1
	s_lshl_b32 s7, s7, 3
	ds_write_b64 v1, v[38:39] offset:512
	v_mov_b32_e32 v1, s7
	s_add_i32 s7, s14, s12
	s_add_i32 s6, s14, s6
	s_waitcnt lgkmcnt(2)
	v_fma_f64 v[8:9], -v[4:5], v[8:9], v[28:29]
	s_lshl_b32 s7, s7, 3
	s_lshl_b32 s6, s6, 3
	s_waitcnt lgkmcnt(1)
	v_fma_f64 v[8:9], -v[30:31], v[14:15], v[8:9]
	v_mov_b32_e32 v11, s7
	ds_read2_b64 v[14:17], v1 offset1:1
	ds_read2_b64 v[18:21], v11 offset1:1
	v_mov_b32_e32 v1, s6
	s_add_i32 s6, s14, s13
	s_lshl_b32 s6, s6, 3
	v_mov_b32_e32 v11, s6
	s_add_i32 s6, s1, 0xfffffe50
	s_add_i32 s0, s14, s0
	ds_read2_b64 v[22:25], v1 offset1:1
	ds_read2_b64 v[26:29], v11 offset1:1
	v_mov_b32_e32 v1, s6
	s_lshl_b32 s0, s0, 3
	ds_read_b64 v[40:41], v1
	v_fma_f64 v[2:3], -v[4:5], v[6:7], v[2:3]
	v_mov_b32_e32 v1, s0
	s_add_i32 s0, s1, 0xfffffe08
	s_waitcnt lgkmcnt(4)
	v_fma_f64 v[8:9], -v[32:33], v[16:17], v[8:9]
	v_fma_f64 v[2:3], -v[30:31], v[12:13], v[2:3]
	ds_read_b64 v[4:5], v1
	v_mov_b32_e32 v1, s0
	s_waitcnt lgkmcnt(4)
	v_fma_f64 v[8:9], -v[34:35], v[20:21], v[8:9]
	v_fma_f64 v[2:3], -v[32:33], v[14:15], v[2:3]
	ds_read_b64 v[6:7], v1
	s_waitcnt lgkmcnt(4)
	v_fma_f64 v[8:9], -v[36:37], v[24:25], v[8:9]
	v_fma_f64 v[2:3], -v[34:35], v[18:19], v[2:3]
	s_waitcnt lgkmcnt(3)
	v_fma_f64 v[8:9], -v[38:39], v[28:29], v[8:9]
	v_fma_f64 v[2:3], -v[36:37], v[22:23], v[2:3]
	s_waitcnt lgkmcnt(2)
	v_mul_f64 v[8:9], v[8:9], v[40:41]
	v_fma_f64 v[2:3], -v[38:39], v[26:27], v[2:3]
	s_waitcnt lgkmcnt(1)
	v_fma_f64 v[2:3], -v[8:9], v[4:5], v[2:3]
	s_waitcnt lgkmcnt(0)
	v_mul_f64 v[2:3], v[2:3], v[6:7]
	v_lshl_or_b32 v1, s14, 6, v10
	s_add_i32 s0, s30, -9
	ds_write_b64 v42, v[8:9] offset:512
	ds_write_b64 v1, v[2:3] offset:512
	s_cmp_gt_i32 s0, -1
	s_cbranch_scc1 .LBB72_46
	s_branch .LBB72_66
.LBB72_45:
	s_mov_b32 s0, s31
	s_cmp_gt_i32 s0, -1
	s_cbranch_scc0 .LBB72_66
.LBB72_46:
	s_cmp_lt_u32 s0, 3
	s_cbranch_scc1 .LBB72_52
; %bb.47:
	s_lshl_b32 s6, s30, 6
	s_lshl_b32 s1, s0, 3
	s_add_i32 s1, s6, s1
	v_lshl_or_b32 v1, v0, 3, s6
	s_addk_i32 s1, 0xffa8
	v_add_u32_e32 v1, 0x1c0, v1
.LBB72_48:                              ; =>This Loop Header: Depth=1
                                        ;     Child Loop BB72_49 Depth 2
	s_lshl_b32 s6, s0, 3
	v_or_b32_e32 v2, s6, v0
	v_lshlrev_b32_e32 v11, 3, v2
	ds_read2_b64 v[6:9], v11 offset0:56 offset1:64
	ds_read2_b64 v[2:5], v11 offset0:40 offset1:48
	s_cmp_le_i32 s31, s0
	v_mov_b32_e32 v12, v1
	s_mov_b32 s7, s1
	s_mov_b32 s8, s31
	s_cbranch_scc1 .LBB72_50
.LBB72_49:                              ;   Parent Loop BB72_48 Depth=1
                                        ; =>  This Inner Loop Header: Depth=2
	v_mov_b32_e32 v13, s7
	ds_read_b64 v[22:23], v12
	ds_read2_b64 v[14:17], v13 offset0:2 offset1:3
	ds_read2_b64 v[18:21], v13 offset1:1
	s_add_i32 s8, s8, -1
	s_sub_i32 s7, s7, 64
	v_subrev_u32_e32 v12, 64, v12
	s_cmp_gt_i32 s8, s0
	s_waitcnt lgkmcnt(1)
	v_fma_f64 v[8:9], -v[22:23], v[16:17], v[8:9]
	v_fma_f64 v[6:7], -v[22:23], v[14:15], v[6:7]
	s_waitcnt lgkmcnt(0)
	v_fma_f64 v[4:5], -v[22:23], v[20:21], v[4:5]
	v_fma_f64 v[2:3], -v[22:23], v[18:19], v[2:3]
	s_cbranch_scc1 .LBB72_49
.LBB72_50:                              ;   in Loop: Header=BB72_48 Depth=1
	s_add_i32 s7, s0, -1
	s_add_i32 s8, s7, s6
	s_lshl_b32 s8, s8, 3
	v_mov_b32_e32 v12, s8
	s_mul_i32 s8, s0, 0x48
	ds_read2_b64 v[12:15], v12 offset1:1
	s_add_i32 s9, s8, 0xffffffb8
	v_mov_b32_e32 v16, s9
	ds_read_b64 v[16:17], v16
	s_lshl_b32 s7, s7, 3
	s_waitcnt lgkmcnt(1)
	v_mul_f64 v[20:21], v[8:9], v[14:15]
	v_fma_f64 v[6:7], -v[20:21], v[12:13], v[6:7]
	s_add_i32 s9, s0, -3
	s_waitcnt lgkmcnt(0)
	v_mul_f64 v[22:23], v[6:7], v[16:17]
	v_or_b32_e32 v6, s7, v0
	s_add_i32 s12, s9, s6
	v_add_u32_e32 v11, 0x200, v11
	v_lshlrev_b32_e32 v6, 3, v6
	s_lshl_b32 s12, s12, 3
	ds_write_b64 v11, v[20:21]
	ds_write_b64 v6, v[22:23] offset:512
	v_mov_b32_e32 v6, s12
	ds_read2_b64 v[6:9], v6 offset1:1
	s_add_i32 s7, s9, s7
	s_lshl_b32 s7, s7, 3
	s_add_i32 s6, s6, -16
	v_mov_b32_e32 v11, s7
	ds_read2_b64 v[12:15], v11 offset1:1
	s_add_i32 s7, s9, s6
	s_lshl_b32 s7, s7, 3
	s_waitcnt lgkmcnt(1)
	v_fma_f64 v[4:5], -v[20:21], v[8:9], v[4:5]
	v_mov_b32_e32 v8, s7
	ds_read2_b64 v[16:19], v8 offset1:1
	s_add_i32 s7, s8, 0xffffff28
	v_mov_b32_e32 v8, s7
	ds_read_b64 v[8:9], v8
	s_waitcnt lgkmcnt(2)
	v_fma_f64 v[4:5], -v[22:23], v[14:15], v[4:5]
	v_fma_f64 v[2:3], -v[20:21], v[6:7], v[2:3]
	s_waitcnt lgkmcnt(1)
	v_mul_f64 v[4:5], v[4:5], v[18:19]
	v_or_b32_e32 v11, s6, v0
	v_fma_f64 v[2:3], -v[22:23], v[12:13], v[2:3]
	v_lshlrev_b32_e32 v11, 3, v11
	v_fma_f64 v[2:3], -v[4:5], v[16:17], v[2:3]
	s_add_i32 s6, s0, -4
	s_sub_i32 s1, s1, 32
	ds_write_b64 v11, v[4:5] offset:512
	s_waitcnt lgkmcnt(1)
	v_mul_f64 v[2:3], v[2:3], v[8:9]
	v_lshl_or_b32 v4, s9, 6, v10
	s_cmp_gt_i32 s0, 6
	ds_write_b64 v4, v[2:3] offset:512
	s_cbranch_scc0 .LBB72_53
; %bb.51:                               ;   in Loop: Header=BB72_48 Depth=1
	s_mov_b32 s0, s6
	s_branch .LBB72_48
.LBB72_52:
	s_mov_b32 s6, s0
.LBB72_53:
	s_cmp_lt_i32 s6, 0
	s_cbranch_scc1 .LBB72_66
; %bb.54:
	s_bitcmp1_b32 s6, 0
	s_cselect_b64 s[0:1], -1, 0
	s_and_b64 vcc, exec, s[0:1]
	s_mov_b32 s0, s6
	s_cbranch_vccnz .LBB72_59
; %bb.55:
	s_lshl_b32 s0, s6, 3
	v_or_b32_e32 v1, s0, v0
	v_lshlrev_b32_e32 v1, 3, v1
	ds_read_b64 v[2:3], v1 offset:512
	s_cmp_le_i32 s31, s6
	s_cbranch_scc1 .LBB72_58
; %bb.56:
	s_lshl_b32 s1, s30, 6
	s_add_i32 s0, s1, s0
	v_lshl_or_b32 v4, v0, 3, s1
	s_sub_i32 s0, s0, 64
	v_add_u32_e32 v4, 0x1c0, v4
	s_mov_b32 s1, s31
.LBB72_57:                              ; =>This Inner Loop Header: Depth=1
	v_mov_b32_e32 v5, s0
	ds_read_b64 v[6:7], v4
	ds_read_b64 v[8:9], v5
	s_add_i32 s1, s1, -1
	s_sub_i32 s0, s0, 64
	v_subrev_u32_e32 v4, 64, v4
	s_cmp_gt_i32 s1, s6
	s_waitcnt lgkmcnt(0)
	v_fma_f64 v[2:3], -v[6:7], v[8:9], v[2:3]
	s_cbranch_scc1 .LBB72_57
.LBB72_58:
	s_mul_i32 s0, s6, 0x48
	v_mov_b32_e32 v4, s0
	ds_read_b64 v[4:5], v4
	v_add_u32_e32 v1, 0x200, v1
	s_add_i32 s0, s6, -1
	s_waitcnt lgkmcnt(0)
	v_mul_f64 v[2:3], v[2:3], v[4:5]
	ds_write_b64 v1, v[2:3]
.LBB72_59:
	s_cmp_eq_u32 s6, 0
	s_cbranch_scc1 .LBB72_66
; %bb.60:
	s_lshl_b32 s6, s30, 6
	s_lshl_b32 s1, s0, 3
	s_add_i32 s7, s6, s1
	v_lshl_or_b32 v1, v0, 3, s6
	s_sub_i32 s1, s7, 64
	v_add_u32_e32 v1, 0x1c0, v1
	s_add_i32 s6, s7, 0xffffffb8
	s_branch .LBB72_62
.LBB72_61:                              ;   in Loop: Header=BB72_62 Depth=1
	s_addk_i32 s7, 0xffb8
	v_mov_b32_e32 v5, s7
	v_add_u32_e32 v4, 0x200, v6
	ds_read_b64 v[6:7], v5
	s_add_i32 s7, s0, -2
	s_add_i32 s1, s1, -16
	;; [unrolled: 1-line block ×3, first 2 shown]
	s_cmp_lt_i32 s0, 2
	s_waitcnt lgkmcnt(0)
	v_mul_f64 v[2:3], v[2:3], v[6:7]
	s_mov_b32 s0, s7
	ds_write_b64 v4, v[2:3]
	s_cbranch_scc1 .LBB72_66
.LBB72_62:                              ; =>This Loop Header: Depth=1
                                        ;     Child Loop BB72_63 Depth 2
                                        ;     Child Loop BB72_65 Depth 2
	v_lshl_or_b32 v2, s0, 6, v10
	ds_read_b64 v[4:5], v2 offset:512
	s_cmp_le_i32 s31, s0
	v_mov_b32_e32 v3, v1
	s_mov_b32 s7, s1
	s_mov_b32 s8, s31
	s_cbranch_scc1 .LBB72_64
.LBB72_63:                              ;   Parent Loop BB72_62 Depth=1
                                        ; =>  This Inner Loop Header: Depth=2
	v_mov_b32_e32 v8, s7
	ds_read_b64 v[6:7], v3
	ds_read_b64 v[8:9], v8
	s_add_i32 s8, s8, -1
	s_sub_i32 s7, s7, 64
	v_subrev_u32_e32 v3, 64, v3
	s_cmp_gt_i32 s8, s0
	s_waitcnt lgkmcnt(0)
	v_fma_f64 v[4:5], -v[6:7], v[8:9], v[4:5]
	s_cbranch_scc1 .LBB72_63
.LBB72_64:                              ;   in Loop: Header=BB72_62 Depth=1
	s_mul_i32 s7, s0, 0x48
	v_add_u32_e32 v7, 0x200, v2
	v_mov_b32_e32 v2, s7
	s_lshl_b32 s8, s0, 6
	ds_read_b64 v[8:9], v2
	s_sub_i32 s8, s8, 64
	v_lshl_or_b32 v6, v0, 3, s8
	ds_read_b64 v[2:3], v6 offset:512
	s_cmp_lt_i32 s31, s0
	s_waitcnt lgkmcnt(1)
	v_mul_f64 v[4:5], v[4:5], v[8:9]
	ds_write_b64 v7, v[4:5]
	v_mov_b32_e32 v4, v1
	s_mov_b32 s8, s6
	s_mov_b32 s9, s30
	s_cbranch_scc1 .LBB72_61
.LBB72_65:                              ;   Parent Loop BB72_62 Depth=1
                                        ; =>  This Inner Loop Header: Depth=2
	v_mov_b32_e32 v5, s8
	ds_read_b64 v[8:9], v4
	ds_read_b64 v[12:13], v5
	s_add_i32 s9, s9, -1
	s_sub_i32 s8, s8, 64
	v_subrev_u32_e32 v4, 64, v4
	s_cmp_gt_i32 s9, s0
	s_waitcnt lgkmcnt(0)
	v_fma_f64 v[2:3], -v[8:9], v[12:13], v[2:3]
	s_cbranch_scc1 .LBB72_65
	s_branch .LBB72_61
.LBB72_66:
	s_waitcnt lgkmcnt(0)
	; wave barrier
	s_waitcnt lgkmcnt(0)
	s_and_saveexec_b64 s[0:1], s[4:5]
	s_cbranch_execz .LBB72_75
; %bb.67:
	ds_read_b64 v[2:3], v10 offset:512
	v_mad_i64_i32 v[0:1], s[0:1], s10, v0, 0
	v_lshlrev_b64 v[0:1], 3, v[0:1]
	v_mov_b32_e32 v4, s11
	v_add_co_u32_e32 v0, vcc, s3, v0
	v_addc_co_u32_e32 v1, vcc, v4, v1, vcc
	s_cmp_eq_u32 s2, 1
	s_waitcnt lgkmcnt(0)
	global_store_dwordx2 v[0:1], v[2:3], off
	s_cbranch_scc1 .LBB72_75
; %bb.68:
	v_or_b32_e32 v2, 0x200, v10
	ds_read_b64 v[4:5], v2 offset:64
	s_cmp_eq_u32 s2, 2
	s_waitcnt lgkmcnt(0)
	global_store_dwordx2 v[0:1], v[4:5], off offset:8
	s_cbranch_scc1 .LBB72_75
; %bb.69:
	ds_read_b64 v[4:5], v2 offset:128
	s_cmp_eq_u32 s2, 3
	s_waitcnt lgkmcnt(0)
	global_store_dwordx2 v[0:1], v[4:5], off offset:16
	s_cbranch_scc1 .LBB72_75
; %bb.70:
	;; [unrolled: 6-line block ×6, first 2 shown]
	ds_read_b64 v[2:3], v2 offset:448
	s_waitcnt lgkmcnt(0)
	global_store_dwordx2 v[0:1], v[2:3], off offset:56
.LBB72_75:
	s_endpgm
	.section	.rodata,"a",@progbits
	.p2align	6, 0x0
	.amdhsa_kernel _ZL38rocblas_trsm_small_left_device_sharedBILi8ELi8ELb0EddPKdPdEv13rocblas_fill_18rocblas_operation_17rocblas_diagonal_iiT3_T4_lilT5_lili
		.amdhsa_group_segment_fixed_size 1024
		.amdhsa_private_segment_fixed_size 0
		.amdhsa_kernarg_size 360
		.amdhsa_user_sgpr_count 6
		.amdhsa_user_sgpr_private_segment_buffer 1
		.amdhsa_user_sgpr_dispatch_ptr 0
		.amdhsa_user_sgpr_queue_ptr 0
		.amdhsa_user_sgpr_kernarg_segment_ptr 1
		.amdhsa_user_sgpr_dispatch_id 0
		.amdhsa_user_sgpr_flat_scratch_init 0
		.amdhsa_user_sgpr_kernarg_preload_length 0
		.amdhsa_user_sgpr_kernarg_preload_offset 0
		.amdhsa_user_sgpr_private_segment_size 0
		.amdhsa_uses_dynamic_stack 0
		.amdhsa_system_sgpr_private_segment_wavefront_offset 0
		.amdhsa_system_sgpr_workgroup_id_x 1
		.amdhsa_system_sgpr_workgroup_id_y 0
		.amdhsa_system_sgpr_workgroup_id_z 1
		.amdhsa_system_sgpr_workgroup_info 0
		.amdhsa_system_vgpr_workitem_id 0
		.amdhsa_next_free_vgpr 54
		.amdhsa_next_free_sgpr 37
		.amdhsa_accum_offset 56
		.amdhsa_reserve_vcc 1
		.amdhsa_reserve_flat_scratch 0
		.amdhsa_float_round_mode_32 0
		.amdhsa_float_round_mode_16_64 0
		.amdhsa_float_denorm_mode_32 3
		.amdhsa_float_denorm_mode_16_64 3
		.amdhsa_dx10_clamp 1
		.amdhsa_ieee_mode 1
		.amdhsa_fp16_overflow 0
		.amdhsa_tg_split 0
		.amdhsa_exception_fp_ieee_invalid_op 0
		.amdhsa_exception_fp_denorm_src 0
		.amdhsa_exception_fp_ieee_div_zero 0
		.amdhsa_exception_fp_ieee_overflow 0
		.amdhsa_exception_fp_ieee_underflow 0
		.amdhsa_exception_fp_ieee_inexact 0
		.amdhsa_exception_int_div_zero 0
	.end_amdhsa_kernel
	.section	.text._ZL38rocblas_trsm_small_left_device_sharedBILi8ELi8ELb0EddPKdPdEv13rocblas_fill_18rocblas_operation_17rocblas_diagonal_iiT3_T4_lilT5_lili,"axG",@progbits,_ZL38rocblas_trsm_small_left_device_sharedBILi8ELi8ELb0EddPKdPdEv13rocblas_fill_18rocblas_operation_17rocblas_diagonal_iiT3_T4_lilT5_lili,comdat
.Lfunc_end72:
	.size	_ZL38rocblas_trsm_small_left_device_sharedBILi8ELi8ELb0EddPKdPdEv13rocblas_fill_18rocblas_operation_17rocblas_diagonal_iiT3_T4_lilT5_lili, .Lfunc_end72-_ZL38rocblas_trsm_small_left_device_sharedBILi8ELi8ELb0EddPKdPdEv13rocblas_fill_18rocblas_operation_17rocblas_diagonal_iiT3_T4_lilT5_lili
                                        ; -- End function
	.section	.AMDGPU.csdata,"",@progbits
; Kernel info:
; codeLenInByte = 5212
; NumSgprs: 41
; NumVgprs: 54
; NumAgprs: 0
; TotalNumVgprs: 54
; ScratchSize: 0
; MemoryBound: 0
; FloatMode: 240
; IeeeMode: 1
; LDSByteSize: 1024 bytes/workgroup (compile time only)
; SGPRBlocks: 5
; VGPRBlocks: 6
; NumSGPRsForWavesPerEU: 41
; NumVGPRsForWavesPerEU: 54
; AccumOffset: 56
; Occupancy: 8
; WaveLimiterHint : 0
; COMPUTE_PGM_RSRC2:SCRATCH_EN: 0
; COMPUTE_PGM_RSRC2:USER_SGPR: 6
; COMPUTE_PGM_RSRC2:TRAP_HANDLER: 0
; COMPUTE_PGM_RSRC2:TGID_X_EN: 1
; COMPUTE_PGM_RSRC2:TGID_Y_EN: 0
; COMPUTE_PGM_RSRC2:TGID_Z_EN: 1
; COMPUTE_PGM_RSRC2:TIDIG_COMP_CNT: 0
; COMPUTE_PGM_RSRC3_GFX90A:ACCUM_OFFSET: 13
; COMPUTE_PGM_RSRC3_GFX90A:TG_SPLIT: 0
	.section	.text._ZL30rocblas_trsm_small_left_deviceILi8ELi8ELb0EddPKdPdEv13rocblas_fill_18rocblas_operation_17rocblas_diagonal_iiT3_T4_lilT5_lili,"axG",@progbits,_ZL30rocblas_trsm_small_left_deviceILi8ELi8ELb0EddPKdPdEv13rocblas_fill_18rocblas_operation_17rocblas_diagonal_iiT3_T4_lilT5_lili,comdat
	.globl	_ZL30rocblas_trsm_small_left_deviceILi8ELi8ELb0EddPKdPdEv13rocblas_fill_18rocblas_operation_17rocblas_diagonal_iiT3_T4_lilT5_lili ; -- Begin function _ZL30rocblas_trsm_small_left_deviceILi8ELi8ELb0EddPKdPdEv13rocblas_fill_18rocblas_operation_17rocblas_diagonal_iiT3_T4_lilT5_lili
	.p2align	8
	.type	_ZL30rocblas_trsm_small_left_deviceILi8ELi8ELb0EddPKdPdEv13rocblas_fill_18rocblas_operation_17rocblas_diagonal_iiT3_T4_lilT5_lili,@function
_ZL30rocblas_trsm_small_left_deviceILi8ELi8ELb0EddPKdPdEv13rocblas_fill_18rocblas_operation_17rocblas_diagonal_iiT3_T4_lilT5_lili: ; @_ZL30rocblas_trsm_small_left_deviceILi8ELi8ELb0EddPKdPdEv13rocblas_fill_18rocblas_operation_17rocblas_diagonal_iiT3_T4_lilT5_lili
; %bb.0:
	s_load_dwordx4 s[12:15], s[4:5], 0x4
	s_load_dwordx4 s[0:3], s[4:5], 0x18
	s_load_dwordx2 s[24:25], s[4:5], 0x28
	s_load_dwordx4 s[8:11], s[4:5], 0x38
	s_load_dwordx2 s[20:21], s[4:5], 0x48
	s_waitcnt lgkmcnt(0)
	s_min_i32 s16, s14, 8
	s_mov_b32 s17, 0
	s_add_i32 s18, s16, -1
	v_cmp_gt_i32_e32 vcc, s16, v0
	s_and_saveexec_b64 s[22:23], vcc
	s_cbranch_execz .LBB73_10
; %bb.1:
	s_load_dword s26, s[4:5], 0x30
	s_mul_i32 s9, s7, s9
	s_mul_hi_u32 s19, s7, s8
	s_add_i32 s9, s19, s9
	s_mul_i32 s8, s7, s8
	s_waitcnt lgkmcnt(0)
	s_ashr_i32 s27, s26, 31
	s_cmp_lt_u32 s18, 3
	v_lshlrev_b32_e32 v1, 3, v0
	s_cbranch_scc1 .LBB73_4
; %bb.2:
	s_lshl_b64 s[28:29], s[8:9], 3
	s_add_u32 s17, s2, s28
	s_addc_u32 s19, s3, s29
	s_lshl_b64 s[28:29], s[24:25], 3
	s_add_u32 s17, s17, s28
	s_addc_u32 s19, s19, s29
	v_mov_b32_e32 v3, s19
	v_add_co_u32_e32 v2, vcc, s17, v1
	s_mul_hi_i32 s36, s26, 24
	s_lshl_b64 s[28:29], s[26:27], 5
	s_lshl_b64 s[30:31], s[26:27], 4
	;; [unrolled: 1-line block ×3, first 2 shown]
	v_addc_co_u32_e32 v3, vcc, 0, v3, vcc
	s_and_b32 s17, s16, -4
	s_mul_i32 s19, s26, 24
	s_mov_b32 s33, 0
	v_mov_b32_e32 v4, s35
	v_mov_b32_e32 v5, s31
	;; [unrolled: 1-line block ×5, first 2 shown]
.LBB73_3:                               ; =>This Inner Loop Header: Depth=1
	v_add_co_u32_e32 v12, vcc, s34, v2
	v_addc_co_u32_e32 v13, vcc, v3, v4, vcc
	v_add_co_u32_e32 v14, vcc, s30, v2
	v_addc_co_u32_e32 v15, vcc, v3, v5, vcc
	v_add_co_u32_e32 v16, vcc, s19, v2
	global_load_dwordx2 v[10:11], v[2:3], off
	v_addc_co_u32_e32 v17, vcc, v3, v6, vcc
	global_load_dwordx2 v[18:19], v[12:13], off
	global_load_dwordx2 v[20:21], v[14:15], off
	;; [unrolled: 1-line block ×3, first 2 shown]
	s_add_i32 s33, s33, 4
	v_add_co_u32_e32 v2, vcc, s28, v2
	v_addc_co_u32_e32 v3, vcc, v3, v7, vcc
	s_cmp_eq_u32 s17, s33
	s_waitcnt vmcnt(2)
	ds_write2_b64 v8, v[10:11], v[18:19] offset1:8
	s_waitcnt vmcnt(0)
	ds_write2_b64 v8, v[20:21], v[22:23] offset0:16 offset1:24
	v_add_u32_e32 v8, 0x100, v8
	s_cbranch_scc0 .LBB73_3
.LBB73_4:
	s_and_b32 s19, s16, 3
	s_cmp_eq_u32 s19, 0
	s_cbranch_scc1 .LBB73_7
; %bb.5:
	s_mul_i32 s28, s27, s17
	s_mul_hi_u32 s29, s26, s17
	s_add_i32 s29, s29, s28
	s_mul_i32 s28, s26, s17
	s_lshl_b64 s[8:9], s[8:9], 3
	s_lshl_b64 s[28:29], s[28:29], 3
	v_lshl_or_b32 v4, s17, 6, v1
	s_add_u32 s17, s8, s28
	s_addc_u32 s28, s9, s29
	s_lshl_b64 s[8:9], s[24:25], 3
	s_add_u32 s8, s17, s8
	s_addc_u32 s9, s28, s9
	s_add_u32 s2, s2, s8
	s_addc_u32 s3, s3, s9
	v_mov_b32_e32 v3, s3
	v_add_co_u32_e32 v2, vcc, s2, v1
	s_lshl_b64 s[2:3], s[26:27], 3
	v_addc_co_u32_e32 v3, vcc, 0, v3, vcc
	v_mov_b32_e32 v1, s3
.LBB73_6:                               ; =>This Inner Loop Header: Depth=1
	global_load_dwordx2 v[6:7], v[2:3], off
	v_add_co_u32_e32 v2, vcc, s2, v2
	s_add_i32 s19, s19, -1
	v_addc_co_u32_e32 v3, vcc, v3, v1, vcc
	s_cmp_lg_u32 s19, 0
	s_waitcnt vmcnt(0)
	ds_write_b64 v4, v[6:7]
	v_add_u32_e32 v4, 64, v4
	s_cbranch_scc1 .LBB73_6
.LBB73_7:
	v_mul_u32_u24_e32 v1, 9, v0
	v_mov_b32_e32 v2, 0
	s_cmpk_lg_i32 s13, 0x84
	v_lshlrev_b32_e32 v1, 3, v1
	v_mov_b32_e32 v3, 0x3ff00000
	s_cbranch_scc0 .LBB73_9
; %bb.8:
	ds_read_b64 v[2:3], v1
	s_waitcnt lgkmcnt(0)
	v_div_scale_f64 v[4:5], s[2:3], v[2:3], v[2:3], 1.0
	v_rcp_f64_e32 v[6:7], v[4:5]
	v_div_scale_f64 v[8:9], vcc, 1.0, v[2:3], 1.0
	v_fma_f64 v[10:11], -v[4:5], v[6:7], 1.0
	v_fmac_f64_e32 v[6:7], v[6:7], v[10:11]
	v_fma_f64 v[10:11], -v[4:5], v[6:7], 1.0
	v_fmac_f64_e32 v[6:7], v[6:7], v[10:11]
	v_mul_f64 v[10:11], v[8:9], v[6:7]
	v_fma_f64 v[4:5], -v[4:5], v[10:11], v[8:9]
	v_div_fmas_f64 v[4:5], v[4:5], v[6:7], v[10:11]
	v_div_fixup_f64 v[2:3], v[4:5], v[2:3], 1.0
.LBB73_9:
	ds_write_b64 v1, v[2:3]
.LBB73_10:
	s_or_b64 exec, exec, s[22:23]
	s_load_dword s2, s[4:5], 0x68
	s_lshl_b32 s8, s6, 3
	s_sub_i32 s3, s15, s8
	s_waitcnt lgkmcnt(0)
	; wave barrier
	s_waitcnt lgkmcnt(0)
	s_add_i32 s2, s2, -1
	s_cmp_ge_u32 s6, s2
	s_cselect_b32 s2, s3, 8
	v_cmp_gt_i32_e32 vcc, s2, v0
	s_and_saveexec_b64 s[2:3], vcc
	s_cbranch_execz .LBB73_62
; %bb.11:
	s_load_dwordx2 s[2:3], s[4:5], 0x58
	s_load_dword s6, s[4:5], 0x50
	v_add_u32_e32 v0, s8, v0
	s_waitcnt lgkmcnt(0)
	s_mul_i32 s3, s7, s3
	s_mul_hi_u32 s4, s7, s2
	s_mul_i32 s2, s7, s2
	s_add_i32 s3, s4, s3
	s_lshl_b64 s[2:3], s[2:3], 3
	s_add_u32 s7, s10, s2
	s_addc_u32 s9, s11, s3
	s_lshl_b64 s[4:5], s[20:21], 3
	s_add_u32 s13, s7, s4
	v_mad_i64_i32 v[0:1], s[6:7], s6, v0, 0
	s_addc_u32 s9, s9, s5
	v_lshlrev_b64 v[6:7], 3, v[0:1]
	v_mov_b32_e32 v0, s9
	v_add_co_u32_e32 v4, vcc, s13, v6
	v_addc_co_u32_e32 v5, vcc, v0, v7, vcc
	s_cmpk_eq_i32 s12, 0x6f
	s_mov_b64 s[6:7], -1
	s_cbranch_scc1 .LBB73_34
; %bb.12:
	s_cmp_gt_i32 s14, 7
	s_cbranch_scc0 .LBB73_14
; %bb.13:
	global_load_dwordx4 v[0:3], v[4:5], off
	global_load_dwordx4 v[8:11], v[4:5], off offset:16
	global_load_dwordx4 v[12:15], v[4:5], off offset:32
	;; [unrolled: 1-line block ×3, first 2 shown]
	v_mov_b32_e32 v58, 0
	ds_read2_b64 v[20:23], v58 offset1:18
	ds_read_b128 v[24:27], v58 offset:64
	ds_read_b128 v[28:31], v58 offset:128
	;; [unrolled: 1-line block ×8, first 2 shown]
	s_mov_b32 s6, 8
	s_waitcnt vmcnt(3)
	v_mul_f64 v[0:1], v[0:1], s[0:1]
	s_waitcnt lgkmcnt(8)
	v_mul_f64 v[0:1], v[0:1], v[20:21]
	s_waitcnt lgkmcnt(7)
	v_mul_f64 v[20:21], v[0:1], v[24:25]
	v_fma_f64 v[2:3], v[2:3], s[0:1], -v[20:21]
	v_mul_f64 v[2:3], v[2:3], v[26:27]
	ds_read_b128 v[24:27], v58 offset:384
	s_waitcnt lgkmcnt(7)
	v_mul_f64 v[20:21], v[0:1], v[28:29]
	s_waitcnt lgkmcnt(6)
	v_mul_f64 v[28:29], v[0:1], v[32:33]
	s_waitcnt vmcnt(2)
	v_fma_f64 v[20:21], v[8:9], s[0:1], -v[20:21]
	s_waitcnt lgkmcnt(4)
	v_mul_f64 v[8:9], v[0:1], v[40:41]
	v_fma_f64 v[28:29], v[10:11], s[0:1], -v[28:29]
	s_waitcnt lgkmcnt(2)
	v_mul_f64 v[10:11], v[0:1], v[48:49]
	s_waitcnt vmcnt(1)
	v_fma_f64 v[32:33], v[12:13], s[0:1], -v[8:9]
	s_waitcnt lgkmcnt(0)
	v_mul_f64 v[8:9], v[0:1], v[24:25]
	v_fma_f64 v[40:41], v[14:15], s[0:1], -v[10:11]
	s_waitcnt vmcnt(0)
	v_fma_f64 v[24:25], v[16:17], s[0:1], -v[8:9]
	ds_read_b128 v[8:11], v58 offset:448
	ds_read_b128 v[12:15], v58 offset:464
	v_fma_f64 v[20:21], -v[2:3], v[30:31], v[20:21]
	v_fma_f64 v[48:49], -v[2:3], v[34:35], v[28:29]
	;; [unrolled: 1-line block ×3, first 2 shown]
	s_waitcnt lgkmcnt(1)
	v_mul_f64 v[8:9], v[0:1], v[8:9]
	v_fma_f64 v[8:9], v[18:19], s[0:1], -v[8:9]
	ds_read_b128 v[16:19], v58 offset:352
	ds_read2_b64 v[28:31], v58 offset0:36 offset1:54
	v_fma_f64 v[40:41], -v[2:3], v[50:51], v[40:41]
	v_fma_f64 v[50:51], -v[2:3], v[26:27], v[24:25]
	ds_read_b128 v[24:27], v58 offset:400
	ds_read_b128 v[32:35], v58 offset:416
	v_mul_f64 v[20:21], v[20:21], v[22:23]
	global_store_dwordx4 v[4:5], v[0:3], off
	v_fma_f64 v[22:23], -v[20:21], v[36:37], v[48:49]
	v_fma_f64 v[56:57], -v[2:3], v[10:11], v[8:9]
	ds_read_b128 v[0:3], v58 offset:480
	ds_read_b128 v[8:11], v58 offset:496
	v_fma_f64 v[36:37], -v[20:21], v[44:45], v[42:43]
	v_mul_f64 v[22:23], v[22:23], v[38:39]
	v_fma_f64 v[40:41], -v[20:21], v[52:53], v[40:41]
	s_waitcnt lgkmcnt(3)
	v_fma_f64 v[24:25], -v[20:21], v[24:25], v[50:51]
	v_fma_f64 v[12:13], -v[20:21], v[12:13], v[56:57]
	global_store_dwordx4 v[4:5], v[20:23], off offset:16
	v_fma_f64 v[14:15], -v[22:23], v[14:15], v[12:13]
	v_fma_f64 v[20:21], -v[22:23], v[46:47], v[36:37]
	v_fma_f64 v[36:37], -v[22:23], v[54:55], v[40:41]
	v_mul_f64 v[12:13], v[20:21], v[28:29]
	v_fma_f64 v[24:25], -v[22:23], v[26:27], v[24:25]
	v_fma_f64 v[16:17], -v[12:13], v[16:17], v[36:37]
	s_waitcnt lgkmcnt(2)
	v_fma_f64 v[20:21], -v[12:13], v[32:33], v[24:25]
	s_waitcnt lgkmcnt(1)
	v_fma_f64 v[0:1], -v[12:13], v[0:1], v[14:15]
	v_mul_f64 v[14:15], v[16:17], v[18:19]
	global_store_dwordx4 v[4:5], v[12:15], off offset:32
	v_fma_f64 v[2:3], -v[14:15], v[2:3], v[0:1]
	v_fma_f64 v[12:13], -v[14:15], v[34:35], v[20:21]
	v_mul_f64 v[0:1], v[12:13], v[30:31]
	s_waitcnt lgkmcnt(0)
	v_fma_f64 v[2:3], -v[0:1], v[8:9], v[2:3]
	v_mul_f64 v[2:3], v[2:3], v[10:11]
	global_store_dwordx4 v[4:5], v[0:3], off offset:48
	s_cmp_lt_i32 s6, s16
	s_cbranch_scc1 .LBB73_15
	s_branch .LBB73_33
.LBB73_14:
	s_mov_b32 s6, 0
	s_cmp_lt_i32 s6, s16
	s_cbranch_scc0 .LBB73_33
.LBB73_15:
	s_or_b32 s7, s6, 3
	s_cmp_ge_u32 s7, s16
	s_cbranch_scc1 .LBB73_21
; %bb.16:
	s_lshl_b32 s9, s6, 6
	s_add_u32 s7, s10, s4
	s_addc_u32 s8, s11, s5
	s_add_u32 s7, s7, s2
	s_addc_u32 s8, s8, s3
	v_mov_b32_e32 v0, s8
	v_add_co_u32_e32 v1, vcc, s7, v6
	v_addc_co_u32_e32 v2, vcc, v0, v7, vcc
	v_add_co_u32_e32 v0, vcc, 16, v1
	v_addc_co_u32_e32 v1, vcc, 0, v2, vcc
	s_mov_b32 s7, 0
.LBB73_17:                              ; =>This Loop Header: Depth=1
                                        ;     Child Loop BB73_18 Depth 2
	s_lshl_b64 s[12:13], s[6:7], 3
	v_mov_b32_e32 v3, s13
	v_add_co_u32_e32 v2, vcc, s12, v4
	v_addc_co_u32_e32 v3, vcc, v5, v3, vcc
	global_load_dwordx4 v[8:11], v[2:3], off
	global_load_dwordx4 v[18:21], v[2:3], off offset:16
	v_pk_mov_b32 v[16:17], v[0:1], v[0:1] op_sel:[0,1]
	s_mov_b32 s8, s6
	s_cmp_eq_u32 s6, 0
	s_mov_b32 s12, s9
	s_waitcnt vmcnt(1)
	v_mul_f64 v[14:15], v[8:9], s[0:1]
	v_mul_f64 v[12:13], v[10:11], s[0:1]
	s_waitcnt vmcnt(0)
	v_mul_f64 v[10:11], v[18:19], s[0:1]
	v_mul_f64 v[8:9], v[20:21], s[0:1]
	s_cbranch_scc1 .LBB73_19
.LBB73_18:                              ;   Parent Loop BB73_17 Depth=1
                                        ; =>  This Inner Loop Header: Depth=2
	global_load_dwordx4 v[18:21], v[16:17], off offset:-16
	global_load_dwordx4 v[22:25], v[16:17], off
	v_mov_b32_e32 v54, s12
	ds_read_b128 v[26:29], v54
	ds_read_b128 v[30:33], v54 offset:16
	ds_read_b128 v[34:37], v54 offset:64
	;; [unrolled: 1-line block ×7, first 2 shown]
	s_add_i32 s12, s12, 32
	s_add_i32 s8, s8, -4
	v_add_co_u32_e32 v16, vcc, 32, v16
	v_addc_co_u32_e32 v17, vcc, 0, v17, vcc
	s_cmp_lg_u32 s8, 0
	s_waitcnt vmcnt(1) lgkmcnt(7)
	v_fma_f64 v[14:15], -v[18:19], v[26:27], v[14:15]
	s_waitcnt lgkmcnt(5)
	v_fma_f64 v[12:13], -v[18:19], v[34:35], v[12:13]
	s_waitcnt lgkmcnt(3)
	;; [unrolled: 2-line block ×3, first 2 shown]
	v_fma_f64 v[8:9], -v[18:19], v[50:51], v[8:9]
	v_fma_f64 v[14:15], -v[20:21], v[28:29], v[14:15]
	;; [unrolled: 1-line block ×5, first 2 shown]
	s_waitcnt vmcnt(0)
	v_fma_f64 v[14:15], -v[22:23], v[30:31], v[14:15]
	v_fma_f64 v[12:13], -v[22:23], v[38:39], v[12:13]
	;; [unrolled: 1-line block ×3, first 2 shown]
	s_waitcnt lgkmcnt(0)
	v_fma_f64 v[8:9], -v[22:23], v[54:55], v[8:9]
	v_fma_f64 v[14:15], -v[24:25], v[32:33], v[14:15]
	;; [unrolled: 1-line block ×5, first 2 shown]
	s_cbranch_scc1 .LBB73_18
.LBB73_19:                              ;   in Loop: Header=BB73_17 Depth=1
	s_mul_i32 s8, s6, 0x48
	v_mov_b32_e32 v16, s8
	s_lshl_b32 s8, s6, 3
	s_add_i32 s8, s6, s8
	s_lshl_b32 s8, s8, 3
	ds_read2_b64 v[16:19], v16 offset1:18
	v_mov_b32_e32 v28, s8
	ds_read_b128 v[20:23], v28 offset:64
	ds_read_b128 v[24:27], v28 offset:128
	s_add_i32 s8, s6, 4
	s_waitcnt lgkmcnt(2)
	v_mul_f64 v[14:15], v[14:15], v[16:17]
	s_add_i32 s6, s6, 7
	s_waitcnt lgkmcnt(1)
	v_fma_f64 v[12:13], -v[14:15], v[20:21], v[12:13]
	v_mul_f64 v[16:17], v[12:13], v[22:23]
	ds_read_b128 v[20:23], v28 offset:192
	s_waitcnt lgkmcnt(1)
	v_fma_f64 v[24:25], -v[14:15], v[24:25], v[10:11]
	ds_read_b128 v[10:13], v28 offset:208
	v_fma_f64 v[24:25], -v[16:17], v[26:27], v[24:25]
	v_mul_f64 v[18:19], v[24:25], v[18:19]
	s_waitcnt lgkmcnt(1)
	v_fma_f64 v[8:9], -v[14:15], v[20:21], v[8:9]
	v_fma_f64 v[8:9], -v[16:17], v[22:23], v[8:9]
	s_waitcnt lgkmcnt(0)
	v_fma_f64 v[8:9], -v[18:19], v[10:11], v[8:9]
	s_addk_i32 s9, 0x100
	v_mul_f64 v[20:21], v[8:9], v[12:13]
	s_cmp_lt_i32 s6, s16
	global_store_dwordx4 v[2:3], v[14:17], off
	global_store_dwordx4 v[2:3], v[18:21], off offset:16
	s_cbranch_scc0 .LBB73_22
; %bb.20:                               ;   in Loop: Header=BB73_17 Depth=1
	s_mov_b32 s6, s8
	s_branch .LBB73_17
.LBB73_21:
	s_mov_b32 s8, s6
.LBB73_22:
	s_cmp_ge_i32 s8, s16
	s_cbranch_scc1 .LBB73_33
; %bb.23:
	s_add_i32 s12, s8, -1
	s_lshl_b32 s13, s8, 6
	s_add_u32 s6, s10, s4
	s_addc_u32 s7, s11, s5
	s_add_u32 s6, s6, s2
	s_addc_u32 s7, s7, s3
	v_mov_b32_e32 v0, s7
	v_add_co_u32_e32 v12, vcc, s6, v6
	v_addc_co_u32_e32 v13, vcc, v0, v7, vcc
	v_add_co_u32_e32 v0, vcc, 56, v12
	v_addc_co_u32_e32 v1, vcc, 0, v13, vcc
	s_mov_b32 s7, 0
	s_mov_b32 s17, s8
	s_mov_b32 s15, 0
	s_branch .LBB73_25
.LBB73_24:                              ;   in Loop: Header=BB73_25 Depth=1
	s_mul_i32 s6, s8, 0x48
	v_mov_b32_e32 v10, s6
	ds_read_b64 v[10:11], v10
	s_add_i32 s8, s8, 1
	s_add_i32 s15, s15, 1
	;; [unrolled: 1-line block ×3, first 2 shown]
	v_add_u16_e64 v14, s17, 1
	s_waitcnt lgkmcnt(0)
	v_mul_f64 v[8:9], v[8:9], v[10:11]
	s_cmp_ge_i32 s8, s16
	v_readfirstlane_b32 s17, v14
	global_store_dwordx2 v[2:3], v[8:9], off
	s_cbranch_scc1 .LBB73_33
.LBB73_25:                              ; =>This Loop Header: Depth=1
                                        ;     Child Loop BB73_28 Depth 2
                                        ;     Child Loop BB73_32 Depth 2
	s_ashr_i32 s9, s8, 31
	s_lshl_b64 s[20:21], s[8:9], 3
	v_mov_b32_e32 v3, s21
	v_add_co_u32_e32 v2, vcc, s20, v4
	v_addc_co_u32_e32 v3, vcc, v5, v3, vcc
	global_load_dwordx2 v[8:9], v[2:3], off
	s_cmp_eq_u32 s8, 0
	s_waitcnt vmcnt(0)
	v_mul_f64 v[8:9], v[8:9], s[0:1]
	s_cbranch_scc1 .LBB73_24
; %bb.26:                               ;   in Loop: Header=BB73_25 Depth=1
	s_add_i32 s6, s12, s15
	s_cmp_lt_u32 s6, 7
	s_cbranch_scc1 .LBB73_30
; %bb.27:                               ;   in Loop: Header=BB73_25 Depth=1
	s_and_b32 s6, s8, -8
	s_mov_b32 s9, 0
	v_pk_mov_b32 v[10:11], v[0:1], v[0:1] op_sel:[0,1]
	s_mov_b32 s19, s13
.LBB73_28:                              ;   Parent Loop BB73_25 Depth=1
                                        ; =>  This Inner Loop Header: Depth=2
	global_load_dwordx4 v[14:17], v[10:11], off offset:-56
	global_load_dwordx4 v[18:21], v[10:11], off offset:-40
	;; [unrolled: 1-line block ×4, first 2 shown]
	v_mov_b32_e32 v42, s19
	ds_read_b128 v[30:33], v42
	ds_read_b128 v[34:37], v42 offset:16
	ds_read_b128 v[38:41], v42 offset:32
	;; [unrolled: 1-line block ×3, first 2 shown]
	s_add_i32 s9, s9, 8
	s_add_i32 s19, s19, 64
	v_add_co_u32_e32 v10, vcc, 64, v10
	v_addc_co_u32_e32 v11, vcc, 0, v11, vcc
	s_cmp_lg_u32 s6, s9
	s_waitcnt vmcnt(3) lgkmcnt(3)
	v_fma_f64 v[8:9], -v[14:15], v[30:31], v[8:9]
	v_fma_f64 v[8:9], -v[16:17], v[32:33], v[8:9]
	s_waitcnt vmcnt(2) lgkmcnt(2)
	v_fma_f64 v[8:9], -v[18:19], v[34:35], v[8:9]
	v_fma_f64 v[8:9], -v[20:21], v[36:37], v[8:9]
	s_waitcnt vmcnt(1) lgkmcnt(1)
	v_fma_f64 v[8:9], -v[22:23], v[38:39], v[8:9]
	v_fma_f64 v[8:9], -v[24:25], v[40:41], v[8:9]
	s_waitcnt vmcnt(0) lgkmcnt(0)
	v_fma_f64 v[8:9], -v[26:27], v[42:43], v[8:9]
	v_fma_f64 v[8:9], -v[28:29], v[44:45], v[8:9]
	s_cbranch_scc1 .LBB73_28
; %bb.29:                               ;   in Loop: Header=BB73_25 Depth=1
	s_and_b32 s9, s8, 7
	s_cmp_eq_u32 s9, 0
	s_cbranch_scc0 .LBB73_31
	s_branch .LBB73_24
.LBB73_30:                              ;   in Loop: Header=BB73_25 Depth=1
	s_mov_b32 s6, 0
	s_and_b32 s9, s8, 7
	s_cmp_eq_u32 s9, 0
	s_cbranch_scc1 .LBB73_24
.LBB73_31:                              ;   in Loop: Header=BB73_25 Depth=1
	s_lshl_b64 s[20:21], s[6:7], 3
	v_mov_b32_e32 v11, s21
	v_add_co_u32_e32 v10, vcc, s20, v12
	s_and_b32 s9, s17, 7
	s_lshl_b32 s19, s6, 3
	v_addc_co_u32_e32 v11, vcc, v13, v11, vcc
.LBB73_32:                              ;   Parent Loop BB73_25 Depth=1
                                        ; =>  This Inner Loop Header: Depth=2
	global_load_dwordx2 v[14:15], v[10:11], off
	s_add_i32 s6, s13, s19
	v_mov_b32_e32 v16, s6
	ds_read_b64 v[16:17], v16
	s_add_i32 s19, s19, 8
	v_add_co_u32_e32 v10, vcc, 8, v10
	s_add_i32 s9, s9, -1
	v_addc_co_u32_e32 v11, vcc, 0, v11, vcc
	s_cmp_lg_u32 s9, 0
	s_waitcnt vmcnt(0) lgkmcnt(0)
	v_fma_f64 v[8:9], -v[14:15], v[16:17], v[8:9]
	s_cbranch_scc1 .LBB73_32
	s_branch .LBB73_24
.LBB73_33:
	s_mov_b64 s[6:7], 0
.LBB73_34:
	s_and_b64 vcc, exec, s[6:7]
	s_cbranch_vccz .LBB73_62
; %bb.35:
	s_cmp_gt_i32 s14, 7
	s_cbranch_scc0 .LBB73_37
; %bb.36:
	s_ashr_i32 s19, s18, 31
	s_lshl_b64 s[6:7], s[18:19], 3
	v_mov_b32_e32 v0, s7
	v_add_co_u32_e32 v48, vcc, s6, v4
	v_addc_co_u32_e32 v49, vcc, v5, v0, vcc
	global_load_dwordx2 v[50:51], v[48:49], off
	s_mov_b32 s17, 0
	s_lshl_b64 s[6:7], s[16:17], 3
	v_mov_b32_e32 v0, s7
	v_add_co_u32_e32 v12, vcc, s6, v4
	v_addc_co_u32_e32 v13, vcc, v5, v0, vcc
	global_load_dwordx2 v[52:53], v[12:13], off offset:-16
	global_load_dwordx4 v[8:11], v[12:13], off offset:-32
	global_load_dwordx4 v[0:3], v[12:13], off offset:-48
	s_add_i32 s12, s16, -2
	global_load_dwordx4 v[12:15], v[12:13], off offset:-64
	s_lshl_b32 s8, s18, 3
	s_add_i32 s13, s12, s8
	s_mul_i32 s6, s18, 0x48
	s_lshl_b32 s25, s13, 3
	s_add_i32 s15, s6, 0xffffffb8
	v_mov_b32_e32 v16, s25
	v_mov_b32_e32 v20, s15
	ds_read2_b64 v[16:19], v16 offset1:1
	ds_read_b64 v[54:55], v20
	s_add_i32 s14, s16, -4
	s_lshl_b32 s7, s16, 3
	s_add_i32 s9, s16, -6
	s_ashr_i32 s17, s16, 31
	s_add_i32 s19, s14, s8
	s_lshl_b32 s20, s12, 3
	s_sub_i32 s21, s7, 24
	s_add_i32 s22, s6, 0xffffff28
	s_add_i32 s23, s9, s8
	s_lshl_b32 s24, s14, 3
	s_lshl_b64 s[12:13], s[16:17], 3
	s_lshl_b32 s15, s19, 3
	s_add_i32 s17, s14, s20
	s_add_i32 s14, s14, s21
	v_mov_b32_e32 v32, s22
	s_lshl_b32 s19, s23, 3
	s_add_i32 s22, s9, s20
	s_add_i32 s23, s9, s21
	;; [unrolled: 1-line block ×3, first 2 shown]
	v_mov_b32_e32 v21, s13
	v_mov_b32_e32 v22, s15
	s_lshl_b32 s13, s17, 3
	s_lshl_b32 s14, s14, 3
	v_mov_b32_e32 v33, s19
	s_lshl_b32 s15, s22, 3
	s_lshl_b32 s17, s23, 3
	s_lshl_b32 s19, s26, 3
	v_add_co_u32_e32 v56, vcc, s12, v4
	s_sub_i32 s12, s7, 40
	v_mov_b32_e32 v24, s13
	v_mov_b32_e32 v28, s14
	v_mov_b32_e32 v36, s15
	v_mov_b32_e32 v40, s17
	v_mov_b32_e32 v44, s19
	s_add_i32 s13, s9, s12
	v_addc_co_u32_e32 v57, vcc, v5, v21, vcc
	ds_read2_b64 v[20:23], v22 offset1:1
	ds_read2_b64 v[24:27], v24 offset1:1
	;; [unrolled: 1-line block ×3, first 2 shown]
	ds_read_b64 v[58:59], v32
	ds_read2_b64 v[32:35], v33 offset1:1
	ds_read2_b64 v[36:39], v36 offset1:1
	;; [unrolled: 1-line block ×4, first 2 shown]
	s_lshl_b32 s13, s13, 3
	s_waitcnt vmcnt(4)
	v_mul_f64 v[50:51], v[50:51], s[0:1]
	s_waitcnt lgkmcnt(9)
	v_mul_f64 v[50:51], v[50:51], v[18:19]
	v_mul_f64 v[16:17], v[50:51], v[16:17]
	s_waitcnt lgkmcnt(7)
	v_mul_f64 v[18:19], v[50:51], v[22:23]
	global_store_dwordx2 v[48:49], v[50:51], off
	v_mul_f64 v[20:21], v[50:51], v[20:21]
	s_waitcnt vmcnt(4)
	v_fma_f64 v[16:17], v[52:53], s[0:1], -v[16:17]
	s_waitcnt vmcnt(3)
	v_fma_f64 v[10:11], v[10:11], s[0:1], -v[18:19]
	v_mul_f64 v[48:49], v[16:17], v[54:55]
	v_mov_b32_e32 v16, s13
	s_waitcnt lgkmcnt(3)
	v_mul_f64 v[22:23], v[50:51], v[34:35]
	v_fma_f64 v[8:9], v[8:9], s[0:1], -v[20:21]
	v_fma_f64 v[10:11], -v[48:49], v[26:27], v[10:11]
	ds_read2_b64 v[16:19], v16 offset1:1
	s_waitcnt vmcnt(2)
	v_fma_f64 v[2:3], v[2:3], s[0:1], -v[22:23]
	v_fma_f64 v[8:9], -v[48:49], v[24:25], v[8:9]
	v_mul_f64 v[10:11], v[10:11], v[30:31]
	s_waitcnt lgkmcnt(3)
	v_fma_f64 v[2:3], -v[48:49], v[38:39], v[2:3]
	v_fma_f64 v[8:9], -v[10:11], v[28:29], v[8:9]
	s_waitcnt lgkmcnt(2)
	v_fma_f64 v[2:3], -v[10:11], v[42:43], v[2:3]
	v_mul_f64 v[8:9], v[8:9], v[58:59]
	s_add_i32 s13, s6, 0xfffffe98
	s_waitcnt lgkmcnt(1)
	v_fma_f64 v[2:3], -v[8:9], v[46:47], v[2:3]
	v_mov_b32_e32 v20, s13
	ds_read_b64 v[24:25], v20
	s_waitcnt lgkmcnt(1)
	v_mul_f64 v[2:3], v[2:3], v[18:19]
	v_mul_f64 v[18:19], v[50:51], v[32:33]
	v_fma_f64 v[0:1], v[0:1], s[0:1], -v[18:19]
	v_fma_f64 v[0:1], -v[48:49], v[36:37], v[0:1]
	s_add_i32 s13, s16, -8
	v_fma_f64 v[0:1], -v[10:11], v[40:41], v[0:1]
	s_add_i32 s8, s13, s8
	v_fma_f64 v[0:1], -v[8:9], v[44:45], v[0:1]
	s_lshl_b32 s8, s8, 3
	v_fma_f64 v[0:1], -v[2:3], v[16:17], v[0:1]
	v_mov_b32_e32 v16, s8
	ds_read2_b64 v[16:19], v16 offset1:1
	s_add_i32 s8, s13, s20
	s_lshl_b32 s8, s8, 3
	v_mov_b32_e32 v20, s8
	ds_read2_b64 v[20:23], v20 offset1:1
	s_add_i32 s8, s13, s21
	s_waitcnt lgkmcnt(1)
	v_mul_f64 v[18:19], v[50:51], v[18:19]
	s_lshl_b32 s8, s8, 3
	s_waitcnt vmcnt(1)
	v_fma_f64 v[14:15], v[14:15], s[0:1], -v[18:19]
	v_mov_b32_e32 v18, s8
	s_add_i32 s8, s13, s24
	s_lshl_b32 s8, s8, 3
	v_mul_f64 v[0:1], v[0:1], v[24:25]
	v_mov_b32_e32 v19, s8
	s_add_i32 s8, s13, s12
	global_store_dwordx2 v[56:57], v[48:49], off offset:-16
	global_store_dwordx4 v[56:57], v[8:11], off offset:-32
	global_store_dwordx4 v[56:57], v[0:3], off offset:-48
	s_lshl_b32 s8, s8, 3
	s_waitcnt lgkmcnt(0)
	v_fma_f64 v[14:15], -v[48:49], v[22:23], v[14:15]
	ds_read2_b64 v[22:25], v18 offset1:1
	ds_read2_b64 v[26:29], v19 offset1:1
	v_mov_b32_e32 v18, s8
	s_lshl_b32 s8, s9, 3
	s_add_i32 s8, s13, s8
	s_lshl_b32 s8, s8, 3
	v_mul_f64 v[16:17], v[50:51], v[16:17]
	s_add_i32 s7, s7, s13
	v_mov_b32_e32 v19, s8
	s_add_i32 s8, s6, 0xfffffe50
	v_fma_f64 v[12:13], v[12:13], s[0:1], -v[16:17]
	s_lshl_b32 s7, s7, 3
	ds_read2_b64 v[30:33], v18 offset1:1
	ds_read2_b64 v[34:37], v19 offset1:1
	v_mov_b32_e32 v18, s8
	v_fma_f64 v[12:13], -v[48:49], v[20:21], v[12:13]
	s_addk_i32 s7, 0xfe40
	ds_read_b64 v[18:19], v18
	s_waitcnt lgkmcnt(4)
	v_fma_f64 v[14:15], -v[10:11], v[24:25], v[14:15]
	v_fma_f64 v[10:11], -v[10:11], v[22:23], v[12:13]
	v_mov_b32_e32 v12, s7
	s_addk_i32 s6, 0xfe08
	ds_read_b64 v[12:13], v12
	v_mov_b32_e32 v16, s6
	s_waitcnt lgkmcnt(4)
	v_fma_f64 v[14:15], -v[8:9], v[28:29], v[14:15]
	ds_read_b64 v[16:17], v16
	s_waitcnt lgkmcnt(4)
	v_fma_f64 v[14:15], -v[2:3], v[32:33], v[14:15]
	v_fma_f64 v[8:9], -v[8:9], v[26:27], v[10:11]
	s_waitcnt lgkmcnt(3)
	v_fma_f64 v[14:15], -v[0:1], v[36:37], v[14:15]
	v_fma_f64 v[2:3], -v[2:3], v[30:31], v[8:9]
	s_waitcnt lgkmcnt(2)
	v_mul_f64 v[14:15], v[14:15], v[18:19]
	v_fma_f64 v[0:1], -v[0:1], v[34:35], v[2:3]
	s_waitcnt lgkmcnt(1)
	v_fma_f64 v[0:1], -v[14:15], v[12:13], v[0:1]
	s_waitcnt lgkmcnt(0)
	v_mul_f64 v[12:13], v[0:1], v[16:17]
	s_add_i32 s6, s16, -9
	global_store_dwordx4 v[56:57], v[12:15], off offset:-64
	s_cmp_gt_i32 s6, -1
	s_cbranch_scc1 .LBB73_38
	s_branch .LBB73_62
.LBB73_37:
	s_mov_b32 s6, s18
	s_cmp_gt_i32 s6, -1
	s_cbranch_scc0 .LBB73_62
.LBB73_38:
	s_cmp_lt_u32 s6, 3
	s_cbranch_scc1 .LBB73_44
; %bb.39:
	s_lshl_b32 s7, s16, 6
	s_lshl_b32 s8, s6, 3
	s_add_i32 s7, s7, s8
	s_ashr_i32 s19, s18, 31
	s_add_i32 s8, s7, 0xffffffa8
	s_lshl_b64 s[12:13], s[18:19], 3
	s_add_u32 s7, s10, s12
	s_addc_u32 s9, s11, s13
	s_add_u32 s7, s7, s4
	s_addc_u32 s9, s9, s5
	;; [unrolled: 2-line block ×3, first 2 shown]
	v_mov_b32_e32 v1, s9
	v_add_co_u32_e32 v0, vcc, s7, v6
	v_addc_co_u32_e32 v1, vcc, v1, v7, vcc
	s_mov_b32 s7, 0
.LBB73_40:                              ; =>This Loop Header: Depth=1
                                        ;     Child Loop BB73_41 Depth 2
	s_lshl_b64 s[12:13], s[6:7], 3
	v_mov_b32_e32 v3, s13
	v_add_co_u32_e32 v2, vcc, s12, v4
	v_addc_co_u32_e32 v3, vcc, v5, v3, vcc
	global_load_dwordx4 v[8:11], v[2:3], off offset:-8
	global_load_dwordx4 v[16:19], v[2:3], off offset:-24
	v_pk_mov_b32 v[14:15], v[0:1], v[0:1] op_sel:[0,1]
	s_mov_b32 s9, s8
	s_cmp_le_i32 s18, s6
	s_mov_b32 s12, s18
	s_waitcnt vmcnt(1)
	v_mul_f64 v[12:13], v[10:11], s[0:1]
	v_mul_f64 v[10:11], v[8:9], s[0:1]
	s_waitcnt vmcnt(0)
	v_mul_f64 v[8:9], v[18:19], s[0:1]
	v_mul_f64 v[2:3], v[16:17], s[0:1]
	s_cbranch_scc1 .LBB73_42
.LBB73_41:                              ;   Parent Loop BB73_40 Depth=1
                                        ; =>  This Inner Loop Header: Depth=2
	global_load_dwordx2 v[24:25], v[14:15], off
	v_mov_b32_e32 v20, s9
	ds_read2_b64 v[16:19], v20 offset0:2 offset1:3
	ds_read2_b64 v[20:23], v20 offset1:1
	s_add_i32 s12, s12, -1
	s_sub_i32 s9, s9, 64
	v_add_co_u32_e32 v14, vcc, -8, v14
	v_addc_co_u32_e32 v15, vcc, -1, v15, vcc
	s_cmp_gt_i32 s12, s6
	s_waitcnt vmcnt(0) lgkmcnt(1)
	v_fma_f64 v[12:13], -v[24:25], v[18:19], v[12:13]
	v_fma_f64 v[10:11], -v[24:25], v[16:17], v[10:11]
	s_waitcnt lgkmcnt(0)
	v_fma_f64 v[8:9], -v[24:25], v[22:23], v[8:9]
	v_fma_f64 v[2:3], -v[24:25], v[20:21], v[2:3]
	s_cbranch_scc1 .LBB73_41
.LBB73_42:                              ;   in Loop: Header=BB73_40 Depth=1
	s_add_i32 s9, s6, -1
	s_lshl_b32 s14, s6, 3
	s_add_i32 s12, s9, s14
	s_lshl_b32 s12, s12, 3
	v_mov_b32_e32 v14, s12
	ds_read2_b64 v[14:17], v14 offset1:1
	s_mul_i32 s15, s6, 0x48
	s_add_i32 s12, s15, 0xffffffb8
	v_mov_b32_e32 v18, s12
	ds_read_b64 v[18:19], v18
	s_ashr_i32 s13, s6, 31
	s_mov_b32 s12, s6
	s_lshl_b64 s[12:13], s[12:13], 3
	v_add_co_u32_e32 v26, vcc, s12, v4
	s_add_i32 s12, s6, -3
	s_waitcnt lgkmcnt(1)
	v_mul_f64 v[12:13], v[12:13], v[16:17]
	v_mov_b32_e32 v16, s13
	s_add_i32 s13, s12, s14
	s_lshl_b32 s13, s13, 3
	v_fma_f64 v[10:11], -v[12:13], v[14:15], v[10:11]
	v_mov_b32_e32 v14, s13
	s_lshl_b32 s9, s9, 3
	v_addc_co_u32_e32 v27, vcc, v5, v16, vcc
	ds_read2_b64 v[14:17], v14 offset1:1
	s_add_i32 s12, s12, s9
	s_lshl_b32 s9, s12, 3
	s_waitcnt lgkmcnt(1)
	v_mul_f64 v[10:11], v[10:11], v[18:19]
	v_mov_b32_e32 v18, s9
	ds_read2_b64 v[18:21], v18 offset1:1
	s_add_i32 s9, s13, 0xffffff80
	s_waitcnt lgkmcnt(1)
	v_fma_f64 v[8:9], -v[12:13], v[16:17], v[8:9]
	v_mov_b32_e32 v16, s9
	ds_read2_b64 v[22:25], v16 offset1:1
	s_add_i32 s9, s15, 0xffffff28
	v_mov_b32_e32 v16, s9
	s_waitcnt lgkmcnt(1)
	v_fma_f64 v[8:9], -v[10:11], v[20:21], v[8:9]
	ds_read_b64 v[20:21], v16
	v_fma_f64 v[2:3], -v[12:13], v[14:15], v[2:3]
	s_waitcnt lgkmcnt(1)
	v_mul_f64 v[16:17], v[8:9], v[24:25]
	v_fma_f64 v[2:3], -v[10:11], v[18:19], v[2:3]
	v_fma_f64 v[2:3], -v[16:17], v[22:23], v[2:3]
	s_add_i32 s9, s6, -4
	s_sub_i32 s8, s8, 32
	s_waitcnt lgkmcnt(0)
	v_mul_f64 v[14:15], v[2:3], v[20:21]
	s_cmp_gt_i32 s6, 6
	global_store_dwordx4 v[26:27], v[10:13], off offset:-8
	global_store_dwordx4 v[26:27], v[14:17], off offset:-24
	s_cbranch_scc0 .LBB73_45
; %bb.43:                               ;   in Loop: Header=BB73_40 Depth=1
	s_mov_b32 s6, s9
	s_branch .LBB73_40
.LBB73_44:
	s_mov_b32 s9, s6
.LBB73_45:
	s_cmp_lt_i32 s9, 0
	s_cbranch_scc1 .LBB73_62
; %bb.46:
	s_add_i32 s6, s9, 1
	s_and_b32 s8, s6, 3
	s_cmp_eq_u32 s8, 0
	s_mov_b32 s6, s9
	s_cbranch_scc1 .LBB73_51
; %bb.47:
	s_lshl_b32 s6, s16, 6
	s_lshl_b32 s7, s9, 3
	s_add_i32 s6, s6, s7
	s_ashr_i32 s19, s18, 31
	s_sub_i32 s12, s6, 64
	s_lshl_b64 s[6:7], s[18:19], 3
	s_add_u32 s6, s10, s6
	s_addc_u32 s7, s11, s7
	s_add_u32 s6, s6, s4
	s_addc_u32 s7, s7, s5
	;; [unrolled: 2-line block ×3, first 2 shown]
	v_mov_b32_e32 v1, s7
	v_add_co_u32_e32 v0, vcc, s6, v6
	s_mov_b32 s7, 0
	v_addc_co_u32_e32 v1, vcc, v1, v7, vcc
	s_mov_b32 s6, s9
	s_mov_b32 s13, s7
	s_branch .LBB73_49
.LBB73_48:                              ;   in Loop: Header=BB73_49 Depth=1
	s_mul_i32 s14, s6, 0x48
	v_mov_b32_e32 v8, s14
	ds_read_b64 v[8:9], v8
	s_ashr_i32 s15, s6, 31
	s_mov_b32 s14, s6
	s_lshl_b64 s[14:15], s[14:15], 3
	v_mov_b32_e32 v10, s15
	s_waitcnt lgkmcnt(0)
	v_mul_f64 v[2:3], v[2:3], v[8:9]
	v_add_co_u32_e32 v8, vcc, s14, v4
	s_add_i32 s6, s6, -1
	s_add_i32 s13, s13, 1
	s_add_i32 s12, s12, -8
	v_addc_co_u32_e32 v9, vcc, v5, v10, vcc
	s_cmp_lg_u32 s13, s8
	global_store_dwordx2 v[8:9], v[2:3], off
	s_cbranch_scc0 .LBB73_51
.LBB73_49:                              ; =>This Loop Header: Depth=1
                                        ;     Child Loop BB73_50 Depth 2
	s_lshl_b64 s[14:15], s[6:7], 3
	v_mov_b32_e32 v3, s15
	v_add_co_u32_e32 v2, vcc, s14, v4
	v_addc_co_u32_e32 v3, vcc, v5, v3, vcc
	global_load_dwordx2 v[2:3], v[2:3], off
	v_pk_mov_b32 v[8:9], v[0:1], v[0:1] op_sel:[0,1]
	s_mov_b32 s14, s12
	s_cmp_le_i32 s18, s6
	s_mov_b32 s15, s18
	s_waitcnt vmcnt(0)
	v_mul_f64 v[2:3], v[2:3], s[0:1]
	s_cbranch_scc1 .LBB73_48
.LBB73_50:                              ;   Parent Loop BB73_49 Depth=1
                                        ; =>  This Inner Loop Header: Depth=2
	global_load_dwordx2 v[10:11], v[8:9], off
	v_mov_b32_e32 v12, s14
	ds_read_b64 v[12:13], v12
	s_add_i32 s15, s15, -1
	s_sub_i32 s14, s14, 64
	v_add_co_u32_e32 v8, vcc, -8, v8
	v_addc_co_u32_e32 v9, vcc, -1, v9, vcc
	s_cmp_gt_i32 s15, s6
	s_waitcnt vmcnt(0) lgkmcnt(0)
	v_fma_f64 v[2:3], -v[10:11], v[12:13], v[2:3]
	s_cbranch_scc1 .LBB73_50
	s_branch .LBB73_48
.LBB73_51:
	s_cmp_lt_u32 s9, 3
	s_cbranch_scc1 .LBB73_62
; %bb.52:
	s_lshl_b32 s7, s16, 6
	s_lshl_b32 s8, s6, 3
	s_add_i32 s7, s7, s8
	s_ashr_i32 s19, s18, 31
	s_sub_i32 s8, s7, 64
	s_lshl_b64 s[12:13], s[18:19], 3
	s_add_u32 s9, s10, s12
	s_addc_u32 s10, s11, s13
	s_add_u32 s4, s9, s4
	s_addc_u32 s5, s10, s5
	s_add_u32 s2, s4, s2
	s_addc_u32 s3, s5, s3
	v_mov_b32_e32 v1, s3
	v_add_co_u32_e32 v0, vcc, s2, v6
	v_addc_co_u32_e32 v1, vcc, v1, v7, vcc
	s_add_i32 s4, s7, 0xffffffb8
	s_add_i32 s5, s7, 0xffffffb0
	;; [unrolled: 1-line block ×3, first 2 shown]
	s_mov_b32 s7, 0
	s_branch .LBB73_54
.LBB73_53:                              ;   in Loop: Header=BB73_54 Depth=1
	s_add_i32 s2, s3, 0xffffffb8
	v_mov_b32_e32 v8, s2
	ds_read_b64 v[8:9], v8
	s_add_i32 s2, s6, -4
	s_sub_i32 s8, s8, 32
	s_sub_i32 s4, s4, 32
	;; [unrolled: 1-line block ×4, first 2 shown]
	s_waitcnt lgkmcnt(0)
	v_mul_f64 v[6:7], v[6:7], v[8:9]
	s_cmp_lt_i32 s6, 4
	s_mov_b32 s6, s2
	global_store_dwordx2 v[2:3], v[6:7], off offset:-24
	s_cbranch_scc1 .LBB73_62
.LBB73_54:                              ; =>This Loop Header: Depth=1
                                        ;     Child Loop BB73_55 Depth 2
                                        ;     Child Loop BB73_57 Depth 2
	;; [unrolled: 1-line block ×4, first 2 shown]
	s_lshl_b64 s[2:3], s[6:7], 3
	v_mov_b32_e32 v3, s3
	v_add_co_u32_e32 v2, vcc, s2, v4
	v_addc_co_u32_e32 v3, vcc, v5, v3, vcc
	global_load_dwordx2 v[6:7], v[2:3], off
	v_pk_mov_b32 v[2:3], v[0:1], v[0:1] op_sel:[0,1]
	s_mov_b32 s2, s8
	s_cmp_le_i32 s18, s6
	s_mov_b32 s3, s18
	s_waitcnt vmcnt(0)
	v_mul_f64 v[6:7], v[6:7], s[0:1]
	s_cbranch_scc1 .LBB73_56
.LBB73_55:                              ;   Parent Loop BB73_54 Depth=1
                                        ; =>  This Inner Loop Header: Depth=2
	global_load_dwordx2 v[8:9], v[2:3], off
	v_mov_b32_e32 v10, s2
	ds_read_b64 v[10:11], v10
	s_add_i32 s3, s3, -1
	s_sub_i32 s2, s2, 64
	v_add_co_u32_e32 v2, vcc, -8, v2
	v_addc_co_u32_e32 v3, vcc, -1, v3, vcc
	s_cmp_gt_i32 s3, s6
	s_waitcnt vmcnt(0) lgkmcnt(0)
	v_fma_f64 v[6:7], -v[8:9], v[10:11], v[6:7]
	s_cbranch_scc1 .LBB73_55
.LBB73_56:                              ;   in Loop: Header=BB73_54 Depth=1
	s_add_i32 s2, s6, -1
	s_mov_b32 s3, s7
	s_lshl_b64 s[2:3], s[2:3], 3
	v_mov_b32_e32 v3, s3
	v_add_co_u32_e32 v2, vcc, s2, v4
	v_addc_co_u32_e32 v3, vcc, v5, v3, vcc
	global_load_dwordx2 v[10:11], v[2:3], off
	s_mul_i32 s10, s6, 0x48
	v_mov_b32_e32 v2, s10
	ds_read_b64 v[12:13], v2
	s_ashr_i32 s13, s6, 31
	s_mov_b32 s12, s6
	s_lshl_b64 s[12:13], s[12:13], 3
	v_mov_b32_e32 v3, s13
	v_add_co_u32_e32 v2, vcc, s12, v4
	v_addc_co_u32_e32 v3, vcc, v5, v3, vcc
	s_waitcnt lgkmcnt(0)
	v_mul_f64 v[6:7], v[6:7], v[12:13]
	v_pk_mov_b32 v[8:9], v[0:1], v[0:1] op_sel:[0,1]
	s_mov_b32 s2, s4
	s_cmp_lt_i32 s18, s6
	global_store_dwordx2 v[2:3], v[6:7], off
	s_mov_b32 s3, s16
	s_waitcnt vmcnt(1)
	v_mul_f64 v[6:7], v[10:11], s[0:1]
	s_cbranch_scc1 .LBB73_58
.LBB73_57:                              ;   Parent Loop BB73_54 Depth=1
                                        ; =>  This Inner Loop Header: Depth=2
	global_load_dwordx2 v[10:11], v[8:9], off
	v_mov_b32_e32 v12, s2
	ds_read_b64 v[12:13], v12
	s_add_i32 s3, s3, -1
	s_sub_i32 s2, s2, 64
	v_add_co_u32_e32 v8, vcc, -8, v8
	v_addc_co_u32_e32 v9, vcc, -1, v9, vcc
	s_cmp_gt_i32 s3, s6
	s_waitcnt vmcnt(0) lgkmcnt(0)
	v_fma_f64 v[6:7], -v[10:11], v[12:13], v[6:7]
	s_cbranch_scc1 .LBB73_57
.LBB73_58:                              ;   in Loop: Header=BB73_54 Depth=1
	s_add_i32 s2, s6, -2
	s_mov_b32 s3, s7
	s_lshl_b64 s[12:13], s[2:3], 3
	v_mov_b32_e32 v9, s13
	v_add_co_u32_e32 v8, vcc, s12, v4
	v_addc_co_u32_e32 v9, vcc, v5, v9, vcc
	global_load_dwordx2 v[10:11], v[8:9], off
	s_addk_i32 s10, 0xffb8
	v_mov_b32_e32 v8, s10
	ds_read_b64 v[12:13], v8
	v_pk_mov_b32 v[8:9], v[0:1], v[0:1] op_sel:[0,1]
	s_mov_b32 s3, s5
	s_cmp_le_i32 s18, s2
	s_mov_b32 s11, s18
	s_waitcnt lgkmcnt(0)
	v_mul_f64 v[6:7], v[6:7], v[12:13]
	global_store_dwordx2 v[2:3], v[6:7], off offset:-8
	s_waitcnt vmcnt(1)
	v_mul_f64 v[6:7], v[10:11], s[0:1]
	s_cbranch_scc1 .LBB73_60
.LBB73_59:                              ;   Parent Loop BB73_54 Depth=1
                                        ; =>  This Inner Loop Header: Depth=2
	global_load_dwordx2 v[10:11], v[8:9], off
	v_mov_b32_e32 v12, s3
	ds_read_b64 v[12:13], v12
	s_add_i32 s11, s11, -1
	s_sub_i32 s3, s3, 64
	v_add_co_u32_e32 v8, vcc, -8, v8
	v_addc_co_u32_e32 v9, vcc, -1, v9, vcc
	s_cmp_gt_i32 s11, s2
	s_waitcnt vmcnt(0) lgkmcnt(0)
	v_fma_f64 v[6:7], -v[10:11], v[12:13], v[6:7]
	s_cbranch_scc1 .LBB73_59
.LBB73_60:                              ;   in Loop: Header=BB73_54 Depth=1
	s_add_i32 s2, s6, -3
	s_mov_b32 s3, s7
	s_lshl_b64 s[12:13], s[2:3], 3
	v_mov_b32_e32 v9, s13
	v_add_co_u32_e32 v8, vcc, s12, v4
	v_addc_co_u32_e32 v9, vcc, v5, v9, vcc
	global_load_dwordx2 v[10:11], v[8:9], off
	s_add_i32 s3, s10, 0xffffffb8
	v_mov_b32_e32 v8, s3
	ds_read_b64 v[12:13], v8
	v_pk_mov_b32 v[8:9], v[0:1], v[0:1] op_sel:[0,1]
	s_mov_b32 s10, s9
	s_cmp_le_i32 s18, s2
	s_mov_b32 s11, s18
	s_waitcnt lgkmcnt(0)
	v_mul_f64 v[6:7], v[6:7], v[12:13]
	global_store_dwordx2 v[2:3], v[6:7], off offset:-16
	s_waitcnt vmcnt(1)
	v_mul_f64 v[6:7], v[10:11], s[0:1]
	s_cbranch_scc1 .LBB73_53
.LBB73_61:                              ;   Parent Loop BB73_54 Depth=1
                                        ; =>  This Inner Loop Header: Depth=2
	global_load_dwordx2 v[10:11], v[8:9], off
	v_mov_b32_e32 v12, s10
	ds_read_b64 v[12:13], v12
	s_add_i32 s11, s11, -1
	s_sub_i32 s10, s10, 64
	v_add_co_u32_e32 v8, vcc, -8, v8
	v_addc_co_u32_e32 v9, vcc, -1, v9, vcc
	s_cmp_gt_i32 s11, s2
	s_waitcnt vmcnt(0) lgkmcnt(0)
	v_fma_f64 v[6:7], -v[10:11], v[12:13], v[6:7]
	s_cbranch_scc1 .LBB73_61
	s_branch .LBB73_53
.LBB73_62:
	s_endpgm
	.section	.rodata,"a",@progbits
	.p2align	6, 0x0
	.amdhsa_kernel _ZL30rocblas_trsm_small_left_deviceILi8ELi8ELb0EddPKdPdEv13rocblas_fill_18rocblas_operation_17rocblas_diagonal_iiT3_T4_lilT5_lili
		.amdhsa_group_segment_fixed_size 512
		.amdhsa_private_segment_fixed_size 0
		.amdhsa_kernarg_size 360
		.amdhsa_user_sgpr_count 6
		.amdhsa_user_sgpr_private_segment_buffer 1
		.amdhsa_user_sgpr_dispatch_ptr 0
		.amdhsa_user_sgpr_queue_ptr 0
		.amdhsa_user_sgpr_kernarg_segment_ptr 1
		.amdhsa_user_sgpr_dispatch_id 0
		.amdhsa_user_sgpr_flat_scratch_init 0
		.amdhsa_user_sgpr_kernarg_preload_length 0
		.amdhsa_user_sgpr_kernarg_preload_offset 0
		.amdhsa_user_sgpr_private_segment_size 0
		.amdhsa_uses_dynamic_stack 0
		.amdhsa_system_sgpr_private_segment_wavefront_offset 0
		.amdhsa_system_sgpr_workgroup_id_x 1
		.amdhsa_system_sgpr_workgroup_id_y 0
		.amdhsa_system_sgpr_workgroup_id_z 1
		.amdhsa_system_sgpr_workgroup_info 0
		.amdhsa_system_vgpr_workitem_id 0
		.amdhsa_next_free_vgpr 60
		.amdhsa_next_free_sgpr 37
		.amdhsa_accum_offset 60
		.amdhsa_reserve_vcc 1
		.amdhsa_reserve_flat_scratch 0
		.amdhsa_float_round_mode_32 0
		.amdhsa_float_round_mode_16_64 0
		.amdhsa_float_denorm_mode_32 3
		.amdhsa_float_denorm_mode_16_64 3
		.amdhsa_dx10_clamp 1
		.amdhsa_ieee_mode 1
		.amdhsa_fp16_overflow 0
		.amdhsa_tg_split 0
		.amdhsa_exception_fp_ieee_invalid_op 0
		.amdhsa_exception_fp_denorm_src 0
		.amdhsa_exception_fp_ieee_div_zero 0
		.amdhsa_exception_fp_ieee_overflow 0
		.amdhsa_exception_fp_ieee_underflow 0
		.amdhsa_exception_fp_ieee_inexact 0
		.amdhsa_exception_int_div_zero 0
	.end_amdhsa_kernel
	.section	.text._ZL30rocblas_trsm_small_left_deviceILi8ELi8ELb0EddPKdPdEv13rocblas_fill_18rocblas_operation_17rocblas_diagonal_iiT3_T4_lilT5_lili,"axG",@progbits,_ZL30rocblas_trsm_small_left_deviceILi8ELi8ELb0EddPKdPdEv13rocblas_fill_18rocblas_operation_17rocblas_diagonal_iiT3_T4_lilT5_lili,comdat
.Lfunc_end73:
	.size	_ZL30rocblas_trsm_small_left_deviceILi8ELi8ELb0EddPKdPdEv13rocblas_fill_18rocblas_operation_17rocblas_diagonal_iiT3_T4_lilT5_lili, .Lfunc_end73-_ZL30rocblas_trsm_small_left_deviceILi8ELi8ELb0EddPKdPdEv13rocblas_fill_18rocblas_operation_17rocblas_diagonal_iiT3_T4_lilT5_lili
                                        ; -- End function
	.section	.AMDGPU.csdata,"",@progbits
; Kernel info:
; codeLenInByte = 5316
; NumSgprs: 41
; NumVgprs: 60
; NumAgprs: 0
; TotalNumVgprs: 60
; ScratchSize: 0
; MemoryBound: 0
; FloatMode: 240
; IeeeMode: 1
; LDSByteSize: 512 bytes/workgroup (compile time only)
; SGPRBlocks: 5
; VGPRBlocks: 7
; NumSGPRsForWavesPerEU: 41
; NumVGPRsForWavesPerEU: 60
; AccumOffset: 60
; Occupancy: 8
; WaveLimiterHint : 0
; COMPUTE_PGM_RSRC2:SCRATCH_EN: 0
; COMPUTE_PGM_RSRC2:USER_SGPR: 6
; COMPUTE_PGM_RSRC2:TRAP_HANDLER: 0
; COMPUTE_PGM_RSRC2:TGID_X_EN: 1
; COMPUTE_PGM_RSRC2:TGID_Y_EN: 0
; COMPUTE_PGM_RSRC2:TGID_Z_EN: 1
; COMPUTE_PGM_RSRC2:TIDIG_COMP_CNT: 0
; COMPUTE_PGM_RSRC3_GFX90A:ACCUM_OFFSET: 14
; COMPUTE_PGM_RSRC3_GFX90A:TG_SPLIT: 0
	.section	.text._ZL38rocblas_trsm_small_left_device_sharedBILi8ELi8ELb1EddPKdPdEv13rocblas_fill_18rocblas_operation_17rocblas_diagonal_iiT3_T4_lilT5_lili,"axG",@progbits,_ZL38rocblas_trsm_small_left_device_sharedBILi8ELi8ELb1EddPKdPdEv13rocblas_fill_18rocblas_operation_17rocblas_diagonal_iiT3_T4_lilT5_lili,comdat
	.globl	_ZL38rocblas_trsm_small_left_device_sharedBILi8ELi8ELb1EddPKdPdEv13rocblas_fill_18rocblas_operation_17rocblas_diagonal_iiT3_T4_lilT5_lili ; -- Begin function _ZL38rocblas_trsm_small_left_device_sharedBILi8ELi8ELb1EddPKdPdEv13rocblas_fill_18rocblas_operation_17rocblas_diagonal_iiT3_T4_lilT5_lili
	.p2align	8
	.type	_ZL38rocblas_trsm_small_left_device_sharedBILi8ELi8ELb1EddPKdPdEv13rocblas_fill_18rocblas_operation_17rocblas_diagonal_iiT3_T4_lilT5_lili,@function
_ZL38rocblas_trsm_small_left_device_sharedBILi8ELi8ELb1EddPKdPdEv13rocblas_fill_18rocblas_operation_17rocblas_diagonal_iiT3_T4_lilT5_lili: ; @_ZL38rocblas_trsm_small_left_device_sharedBILi8ELi8ELb1EddPKdPdEv13rocblas_fill_18rocblas_operation_17rocblas_diagonal_iiT3_T4_lilT5_lili
; %bb.0:
	s_load_dwordx4 s[0:3], s[4:5], 0x4
	s_load_dwordx4 s[8:11], s[4:5], 0x18
	s_load_dwordx2 s[20:21], s[4:5], 0x28
	s_load_dwordx4 s[12:15], s[4:5], 0x38
	s_load_dwordx2 s[16:17], s[4:5], 0x48
	s_waitcnt lgkmcnt(0)
	s_min_i32 s30, s2, 8
	s_mov_b32 s33, 0
	s_add_i32 s31, s30, -1
	v_cmp_gt_i32_e32 vcc, s30, v0
	s_and_saveexec_b64 s[18:19], vcc
	s_cbranch_execz .LBB74_10
; %bb.1:
	s_load_dword s22, s[4:5], 0x30
	s_mul_i32 s13, s7, s13
	s_mul_hi_u32 s24, s7, s12
	s_add_i32 s13, s24, s13
	s_mul_i32 s12, s7, s12
	s_waitcnt lgkmcnt(0)
	s_ashr_i32 s23, s22, 31
	s_cmp_lt_u32 s31, 3
	s_cbranch_scc1 .LBB74_4
; %bb.2:
	s_lshl_b64 s[24:25], s[12:13], 3
	s_add_u32 s26, s10, s24
	s_addc_u32 s27, s11, s25
	s_lshl_b64 s[24:25], s[20:21], 3
	s_add_u32 s24, s26, s24
	s_addc_u32 s25, s27, s25
	v_lshlrev_b32_e32 v1, 3, v0
	v_mov_b32_e32 v3, s25
	v_add_co_u32_e32 v2, vcc, s24, v1
	s_mul_hi_i32 s36, s22, 24
	s_lshl_b64 s[24:25], s[22:23], 5
	s_lshl_b64 s[26:27], s[22:23], 4
	;; [unrolled: 1-line block ×3, first 2 shown]
	v_addc_co_u32_e32 v3, vcc, 0, v3, vcc
	s_and_b32 s33, s30, -4
	s_mul_i32 s34, s22, 24
	s_mov_b32 s35, 0
	v_mov_b32_e32 v4, s29
	v_mov_b32_e32 v5, s27
	;; [unrolled: 1-line block ×4, first 2 shown]
.LBB74_3:                               ; =>This Inner Loop Header: Depth=1
	v_add_co_u32_e32 v10, vcc, s28, v2
	v_addc_co_u32_e32 v11, vcc, v3, v4, vcc
	v_add_co_u32_e32 v12, vcc, s26, v2
	v_addc_co_u32_e32 v13, vcc, v3, v5, vcc
	v_add_co_u32_e32 v14, vcc, s34, v2
	global_load_dwordx2 v[8:9], v[2:3], off
	v_addc_co_u32_e32 v15, vcc, v3, v6, vcc
	global_load_dwordx2 v[16:17], v[10:11], off
	global_load_dwordx2 v[18:19], v[12:13], off
	;; [unrolled: 1-line block ×3, first 2 shown]
	s_add_i32 s35, s35, 4
	v_add_co_u32_e32 v2, vcc, s24, v2
	v_addc_co_u32_e32 v3, vcc, v3, v7, vcc
	s_cmp_eq_u32 s33, s35
	s_waitcnt vmcnt(2)
	ds_write2_b64 v1, v[8:9], v[16:17] offset1:8
	s_waitcnt vmcnt(0)
	ds_write2_b64 v1, v[18:19], v[20:21] offset0:16 offset1:24
	v_add_u32_e32 v1, 0x100, v1
	s_cbranch_scc0 .LBB74_3
.LBB74_4:
	s_and_b32 s24, s30, 3
	s_cmp_eq_u32 s24, 0
	s_cbranch_scc1 .LBB74_7
; %bb.5:
	s_mul_i32 s25, s23, s33
	s_mul_hi_u32 s26, s22, s33
	s_add_i32 s27, s26, s25
	s_mul_i32 s26, s22, s33
	s_lshl_b64 s[12:13], s[12:13], 3
	s_lshl_b64 s[26:27], s[26:27], 3
	s_add_u32 s25, s12, s26
	s_addc_u32 s26, s13, s27
	s_lshl_b64 s[12:13], s[20:21], 3
	s_add_u32 s12, s25, s12
	s_addc_u32 s13, s26, s13
	s_add_u32 s10, s10, s12
	v_lshlrev_b32_e32 v2, 3, v0
	s_addc_u32 s11, s11, s13
	v_lshl_or_b32 v1, s33, 6, v2
	v_mov_b32_e32 v3, s11
	v_add_co_u32_e32 v2, vcc, s10, v2
	s_lshl_b64 s[10:11], s[22:23], 3
	v_addc_co_u32_e32 v3, vcc, 0, v3, vcc
	v_mov_b32_e32 v4, s11
.LBB74_6:                               ; =>This Inner Loop Header: Depth=1
	global_load_dwordx2 v[6:7], v[2:3], off
	v_add_co_u32_e32 v2, vcc, s10, v2
	s_add_i32 s24, s24, -1
	v_addc_co_u32_e32 v3, vcc, v3, v4, vcc
	s_cmp_lg_u32 s24, 0
	s_waitcnt vmcnt(0)
	ds_write_b64 v1, v[6:7]
	v_add_u32_e32 v1, 64, v1
	s_cbranch_scc1 .LBB74_6
.LBB74_7:
	v_mul_u32_u24_e32 v1, 9, v0
	v_mov_b32_e32 v2, 0
	s_cmpk_lg_i32 s1, 0x84
	v_lshlrev_b32_e32 v1, 3, v1
	v_mov_b32_e32 v3, 0x3ff00000
	s_cbranch_scc0 .LBB74_9
; %bb.8:
	ds_read_b64 v[2:3], v1
	s_waitcnt lgkmcnt(0)
	v_div_scale_f64 v[4:5], s[10:11], v[2:3], v[2:3], 1.0
	v_rcp_f64_e32 v[6:7], v[4:5]
	v_div_scale_f64 v[8:9], vcc, 1.0, v[2:3], 1.0
	v_fma_f64 v[10:11], -v[4:5], v[6:7], 1.0
	v_fmac_f64_e32 v[6:7], v[6:7], v[10:11]
	v_fma_f64 v[10:11], -v[4:5], v[6:7], 1.0
	v_fmac_f64_e32 v[6:7], v[6:7], v[10:11]
	v_mul_f64 v[10:11], v[8:9], v[6:7]
	v_fma_f64 v[4:5], -v[4:5], v[10:11], v[8:9]
	v_div_fmas_f64 v[4:5], v[4:5], v[6:7], v[10:11]
	v_div_fixup_f64 v[2:3], v[4:5], v[2:3], 1.0
.LBB74_9:
	ds_write_b64 v1, v[2:3]
.LBB74_10:
	s_or_b64 exec, exec, s[18:19]
	s_load_dword s1, s[4:5], 0x68
	s_load_dwordx2 s[12:13], s[4:5], 0x58
	s_load_dword s10, s[4:5], 0x50
	v_lshlrev_b32_e32 v10, 3, v0
	s_waitcnt lgkmcnt(0)
	s_mul_i32 s5, s7, s13
	s_mul_hi_u32 s11, s7, s12
	s_mul_i32 s4, s7, s12
	s_add_i32 s5, s11, s5
	s_lshl_b64 s[4:5], s[4:5], 3
	s_add_u32 s7, s14, s4
	s_addc_u32 s11, s15, s5
	s_lshl_b64 s[4:5], s[16:17], 3
	s_add_u32 s7, s7, s4
	s_addc_u32 s11, s11, s5
	s_lshl_b32 s4, s6, 3
	s_add_i32 s1, s1, -1
	s_sub_i32 s3, s3, s4
	s_cmp_ge_u32 s6, s1
	s_mul_hi_i32 s5, s10, s4
	s_mul_i32 s4, s10, s4
	s_cselect_b32 s1, s3, 8
	s_lshl_b64 s[4:5], s[4:5], 3
	s_add_u32 s3, s7, s4
	s_addc_u32 s11, s11, s5
	s_cmp_gt_i32 s2, 0
	v_cmp_gt_i32_e32 vcc, s1, v0
	s_cselect_b64 s[4:5], -1, 0
	s_and_b64 s[4:5], vcc, s[4:5]
	s_and_saveexec_b64 s[6:7], s[4:5]
	s_cbranch_execz .LBB74_19
; %bb.11:
	v_mad_i64_i32 v[2:3], s[12:13], s10, v0, 0
	v_lshlrev_b64 v[2:3], 3, v[2:3]
	v_mov_b32_e32 v1, s11
	v_add_co_u32_e32 v2, vcc, s3, v2
	v_addc_co_u32_e32 v3, vcc, v1, v3, vcc
	global_load_dwordx2 v[4:5], v[2:3], off
	s_cmp_eq_u32 s2, 1
	s_waitcnt vmcnt(0)
	v_mul_f64 v[4:5], v[4:5], s[8:9]
	ds_write_b64 v10, v[4:5] offset:512
	s_cbranch_scc1 .LBB74_19
; %bb.12:
	global_load_dwordx2 v[4:5], v[2:3], off offset:8
	v_or_b32_e32 v1, 0x200, v10
	s_cmp_eq_u32 s2, 2
	s_waitcnt vmcnt(0)
	v_mul_f64 v[4:5], v[4:5], s[8:9]
	ds_write_b64 v1, v[4:5] offset:64
	s_cbranch_scc1 .LBB74_19
; %bb.13:
	global_load_dwordx2 v[4:5], v[2:3], off offset:16
	s_cmp_eq_u32 s2, 3
	s_waitcnt vmcnt(0)
	v_mul_f64 v[4:5], v[4:5], s[8:9]
	ds_write_b64 v1, v[4:5] offset:128
	s_cbranch_scc1 .LBB74_19
; %bb.14:
	global_load_dwordx2 v[4:5], v[2:3], off offset:24
	;; [unrolled: 7-line block ×6, first 2 shown]
	s_waitcnt vmcnt(0)
	v_mul_f64 v[2:3], v[2:3], s[8:9]
	ds_write_b64 v1, v[2:3] offset:448
.LBB74_19:
	s_or_b64 exec, exec, s[6:7]
	s_cmpk_eq_i32 s0, 0x6f
	s_mov_b64 s[0:1], -1
	s_waitcnt lgkmcnt(0)
	; wave barrier
	s_waitcnt lgkmcnt(0)
	s_cbranch_scc1 .LBB74_44
; %bb.20:
	s_cmp_gt_i32 s2, 7
	s_cbranch_scc0 .LBB74_22
; %bb.21:
	s_lshl_b32 s0, s30, 3
	s_add_i32 s1, s0, -16
	s_sub_i32 s6, s0, 24
	v_or_b32_e32 v2, s1, v0
	v_or_b32_e32 v3, s6, v0
	s_sub_i32 s7, s0, 32
	v_lshl_or_b32 v1, s31, 6, v10
	v_lshlrev_b32_e32 v2, 3, v2
	v_lshlrev_b32_e32 v11, 3, v3
	v_or_b32_e32 v3, s7, v0
	s_sub_i32 s8, s0, 40
	v_lshlrev_b32_e32 v32, 3, v3
	ds_read_b64 v[6:7], v1 offset:512
	ds_read_b64 v[8:9], v2 offset:512
	;; [unrolled: 1-line block ×4, first 2 shown]
	v_or_b32_e32 v2, s8, v0
	s_sub_i32 s9, s0, 48
	v_lshlrev_b32_e32 v33, 3, v2
	v_or_b32_e32 v2, s9, v0
	s_sub_i32 s12, s0, 56
	v_lshlrev_b32_e32 v34, 3, v2
	v_or_b32_e32 v2, s12, v0
	s_sub_i32 s1, s0, 64
	s_mul_i32 s0, s31, 0x48
	v_lshlrev_b32_e32 v35, 3, v2
	v_or_b32_e32 v2, s1, v0
	s_add_i32 s13, s0, 0xffffffb8
	v_lshlrev_b32_e32 v36, 3, v2
	v_mov_b32_e32 v2, s0
	v_mov_b32_e32 v3, s13
	ds_read_b64 v[16:17], v2
	ds_read2_b64 v[2:5], v3 offset1:1
	ds_read_b64 v[18:19], v33 offset:512
	ds_read_b64 v[20:21], v34 offset:512
	;; [unrolled: 1-line block ×4, first 2 shown]
	s_add_i32 s6, s6, s31
	s_waitcnt lgkmcnt(5)
	v_mul_f64 v[16:17], v[6:7], v[16:17]
	s_lshl_b32 s6, s6, 3
	ds_write_b64 v1, v[16:17] offset:512
	s_waitcnt lgkmcnt(5)
	v_fma_f64 v[4:5], -v[16:17], v[4:5], v[8:9]
	v_mov_b32_e32 v1, s6
	s_add_i32 s6, s0, 0xffffff70
	v_mul_f64 v[26:27], v[4:5], v[2:3]
	v_mov_b32_e32 v2, s6
	ds_read_b64 v[6:7], v1
	ds_read2_b64 v[2:5], v2 offset1:1
	s_lshl_b32 s13, s30, 6
	s_add_i32 s7, s7, s31
	s_addk_i32 s13, 0xff80
	s_lshl_b32 s6, s7, 3
	v_or_b32_e32 v1, s13, v10
	s_waitcnt lgkmcnt(1)
	v_fma_f64 v[6:7], -v[16:17], v[6:7], v[12:13]
	s_add_i32 s6, s6, -8
	ds_write_b64 v1, v[26:27] offset:512
	s_waitcnt lgkmcnt(1)
	v_fma_f64 v[4:5], -v[26:27], v[4:5], v[6:7]
	v_mov_b32_e32 v1, s6
	v_mul_f64 v[28:29], v[4:5], v[2:3]
	ds_read2_b64 v[2:5], v1 offset1:1
	s_add_i32 s6, s0, 0xffffff28
	s_add_i32 s8, s8, s31
	v_mov_b32_e32 v1, s6
	s_lshl_b32 s6, s8, 3
	ds_read2_b64 v[6:9], v1 offset1:1
	s_waitcnt lgkmcnt(1)
	v_fma_f64 v[4:5], -v[16:17], v[4:5], v[14:15]
	v_mov_b32_e32 v1, s6
	s_add_i32 s6, s6, -16
	ds_write_b64 v11, v[28:29] offset:512
	v_fma_f64 v[12:13], -v[26:27], v[2:3], v[4:5]
	v_mov_b32_e32 v2, s6
	ds_read_b64 v[14:15], v1
	ds_read2_b64 v[2:5], v2 offset1:1
	s_waitcnt lgkmcnt(3)
	v_fma_f64 v[8:9], -v[28:29], v[8:9], v[12:13]
	v_mul_f64 v[30:31], v[8:9], v[6:7]
	s_add_i32 s6, s0, 0xfffffee0
	s_waitcnt lgkmcnt(1)
	v_fma_f64 v[6:7], -v[16:17], v[14:15], v[18:19]
	s_waitcnt lgkmcnt(0)
	v_fma_f64 v[4:5], -v[26:27], v[4:5], v[6:7]
	v_mov_b32_e32 v1, s6
	v_fma_f64 v[12:13], -v[28:29], v[2:3], v[4:5]
	s_add_i32 s9, s9, s31
	ds_read2_b64 v[2:5], v1 offset1:1
	s_lshl_b32 s6, s9, 3
	s_add_i32 s7, s6, -8
	v_mov_b32_e32 v1, s7
	ds_read2_b64 v[6:9], v1 offset1:1
	s_sub_i32 s6, s6, 24
	s_waitcnt lgkmcnt(1)
	v_fma_f64 v[4:5], -v[30:31], v[4:5], v[12:13]
	v_mov_b32_e32 v1, s6
	v_mul_f64 v[18:19], v[4:5], v[2:3]
	s_add_i32 s6, s0, 0xfffffe98
	ds_read2_b64 v[2:5], v1 offset1:1
	v_mov_b32_e32 v1, s6
	ds_read2_b64 v[12:15], v1 offset1:1
	s_waitcnt lgkmcnt(2)
	v_fma_f64 v[8:9], -v[16:17], v[8:9], v[20:21]
	v_fma_f64 v[6:7], -v[26:27], v[6:7], v[8:9]
	s_waitcnt lgkmcnt(1)
	v_fma_f64 v[4:5], -v[28:29], v[4:5], v[6:7]
	s_add_i32 s12, s12, s31
	v_fma_f64 v[2:3], -v[30:31], v[2:3], v[4:5]
	s_lshl_b32 s6, s12, 3
	s_waitcnt lgkmcnt(0)
	v_fma_f64 v[2:3], -v[18:19], v[14:15], v[2:3]
	s_add_i32 s7, s6, -8
	v_mul_f64 v[20:21], v[2:3], v[12:13]
	v_mov_b32_e32 v1, s7
	s_sub_i32 s7, s6, 24
	ds_write_b64 v32, v[30:31] offset:512
	ds_write_b64 v33, v[18:19] offset:512
	;; [unrolled: 1-line block ×3, first 2 shown]
	v_mov_b32_e32 v6, s7
	ds_read2_b64 v[2:5], v1 offset1:1
	ds_read2_b64 v[6:9], v6 offset1:1
	s_sub_i32 s6, s6, 40
	v_mov_b32_e32 v1, s6
	ds_read2_b64 v[12:15], v1 offset1:1
	s_waitcnt lgkmcnt(2)
	v_fma_f64 v[4:5], -v[16:17], v[4:5], v[22:23]
	v_fma_f64 v[2:3], -v[26:27], v[2:3], v[4:5]
	s_add_i32 s1, s1, s31
	s_waitcnt lgkmcnt(1)
	v_fma_f64 v[2:3], -v[28:29], v[8:9], v[2:3]
	s_add_i32 s6, s0, 0xfffffe50
	s_lshl_b32 s1, s1, 3
	v_fma_f64 v[2:3], -v[30:31], v[6:7], v[2:3]
	v_mov_b32_e32 v1, s6
	s_add_i32 s6, s1, -16
	s_waitcnt lgkmcnt(0)
	v_fma_f64 v[6:7], -v[18:19], v[14:15], v[2:3]
	ds_read_b64 v[8:9], v1
	v_mov_b32_e32 v1, s1
	v_mov_b32_e32 v2, s6
	ds_read_b64 v[14:15], v1
	ds_read2_b64 v[2:5], v2 offset1:1
	v_fma_f64 v[6:7], -v[20:21], v[12:13], v[6:7]
	s_waitcnt lgkmcnt(2)
	v_mul_f64 v[12:13], v[6:7], v[8:9]
	s_sub_i32 s6, s1, 32
	s_waitcnt lgkmcnt(1)
	v_fma_f64 v[6:7], -v[16:17], v[14:15], v[24:25]
	s_sub_i32 s1, s1, 48
	ds_write_b64 v35, v[12:13] offset:512
	s_waitcnt lgkmcnt(1)
	v_fma_f64 v[4:5], -v[26:27], v[4:5], v[6:7]
	v_mov_b32_e32 v1, s6
	v_mov_b32_e32 v6, s1
	v_fma_f64 v[14:15], -v[28:29], v[2:3], v[4:5]
	ds_read2_b64 v[2:5], v1 offset1:1
	ds_read2_b64 v[6:9], v6 offset1:1
	s_addk_i32 s0, 0xfe08
	v_mov_b32_e32 v1, s0
	ds_read_b64 v[16:17], v1
	s_waitcnt lgkmcnt(2)
	v_fma_f64 v[4:5], -v[30:31], v[4:5], v[14:15]
	v_fma_f64 v[2:3], -v[18:19], v[2:3], v[4:5]
	s_waitcnt lgkmcnt(1)
	v_fma_f64 v[2:3], -v[20:21], v[8:9], v[2:3]
	v_fma_f64 v[2:3], -v[12:13], v[6:7], v[2:3]
	s_waitcnt lgkmcnt(0)
	v_mul_f64 v[2:3], v[2:3], v[16:17]
	s_add_i32 s0, s30, -9
	ds_write_b64 v36, v[2:3] offset:512
	s_cmp_gt_i32 s0, -1
	s_cbranch_scc1 .LBB74_23
	s_branch .LBB74_43
.LBB74_22:
	s_mov_b32 s0, s31
	s_cmp_gt_i32 s0, -1
	s_cbranch_scc0 .LBB74_43
.LBB74_23:
	s_cmp_lt_u32 s0, 3
	s_cbranch_scc1 .LBB74_29
; %bb.24:
	s_lshl_b32 s1, s0, 6
	s_lshl_b32 s6, s30, 3
	s_add_i32 s1, s1, s6
	v_lshl_or_b32 v1, s30, 6, v10
	s_addk_i32 s1, 0xff38
	v_add_u32_e32 v1, 0x1c0, v1
.LBB74_25:                              ; =>This Loop Header: Depth=1
                                        ;     Child Loop BB74_26 Depth 2
	s_lshl_b32 s6, s0, 3
	v_or_b32_e32 v2, s6, v0
	s_add_i32 s7, s6, -8
	v_lshlrev_b32_e32 v13, 3, v2
	v_or_b32_e32 v2, s7, v0
	s_add_i32 s7, s6, -16
	v_or_b32_e32 v3, s7, v0
	s_sub_i32 s6, s6, 24
	v_lshlrev_b32_e32 v2, 3, v2
	v_lshlrev_b32_e32 v12, 3, v3
	v_or_b32_e32 v3, s6, v0
	v_lshlrev_b32_e32 v11, 3, v3
	ds_read_b64 v[8:9], v13 offset:512
	ds_read_b64 v[6:7], v2 offset:512
	;; [unrolled: 1-line block ×4, first 2 shown]
	s_cmp_le_i32 s31, s0
	v_mov_b32_e32 v14, v1
	s_mov_b32 s8, s1
	s_mov_b32 s9, s31
	s_cbranch_scc1 .LBB74_27
.LBB74_26:                              ;   Parent Loop BB74_25 Depth=1
                                        ; =>  This Inner Loop Header: Depth=2
	v_mov_b32_e32 v15, s8
	ds_read_b64 v[24:25], v14
	ds_read2_b64 v[16:19], v15 offset0:16 offset1:24
	ds_read2_b64 v[20:23], v15 offset1:8
	s_add_i32 s9, s9, -1
	s_add_i32 s8, s8, -8
	v_subrev_u32_e32 v14, 64, v14
	s_cmp_gt_i32 s9, s0
	s_waitcnt lgkmcnt(1)
	v_fma_f64 v[8:9], -v[24:25], v[18:19], v[8:9]
	v_fma_f64 v[6:7], -v[24:25], v[16:17], v[6:7]
	s_waitcnt lgkmcnt(0)
	v_fma_f64 v[4:5], -v[24:25], v[22:23], v[4:5]
	v_fma_f64 v[2:3], -v[24:25], v[20:21], v[2:3]
	s_cbranch_scc1 .LBB74_26
.LBB74_27:                              ;   in Loop: Header=BB74_25 Depth=1
	s_mul_i32 s8, s0, 0x48
	v_mov_b32_e32 v14, s8
	s_add_i32 s9, s8, 0xffffffb8
	ds_read_b64 v[18:19], v14
	v_mov_b32_e32 v14, s9
	ds_read2_b64 v[14:17], v14 offset1:1
	s_add_i32 s7, s7, s0
	s_lshl_b32 s7, s7, 3
	s_waitcnt lgkmcnt(1)
	v_mul_f64 v[22:23], v[8:9], v[18:19]
	v_add_u32_e32 v13, 0x200, v13
	s_waitcnt lgkmcnt(0)
	v_fma_f64 v[6:7], -v[22:23], v[16:17], v[6:7]
	v_mul_f64 v[24:25], v[6:7], v[14:15]
	v_mov_b32_e32 v6, s7
	s_add_i32 s7, s8, 0xffffff70
	ds_write_b64 v13, v[22:23]
	v_mov_b32_e32 v7, s7
	ds_read_b64 v[14:15], v6
	ds_read2_b64 v[6:9], v7 offset1:1
	s_add_i32 s6, s6, s0
	s_lshl_b32 s6, s6, 3
	s_add_i32 s6, s6, -8
	s_waitcnt lgkmcnt(1)
	v_fma_f64 v[4:5], -v[22:23], v[14:15], v[4:5]
	s_waitcnt lgkmcnt(0)
	v_fma_f64 v[4:5], -v[24:25], v[8:9], v[4:5]
	v_mov_b32_e32 v8, s6
	s_add_i32 s6, s8, 0xffffff28
	ds_read2_b64 v[14:17], v8 offset1:1
	v_mov_b32_e32 v8, s6
	ds_read2_b64 v[18:21], v8 offset1:1
	s_lshl_b32 s9, s0, 6
	v_mul_f64 v[4:5], v[4:5], v[6:7]
	s_waitcnt lgkmcnt(1)
	v_fma_f64 v[2:3], -v[22:23], v[16:17], v[2:3]
	v_fma_f64 v[2:3], -v[24:25], v[14:15], v[2:3]
	s_sub_i32 s7, s9, 64
	s_waitcnt lgkmcnt(0)
	v_fma_f64 v[2:3], -v[4:5], v[20:21], v[2:3]
	s_add_i32 s6, s0, -4
	s_addk_i32 s1, 0xff00
	v_lshl_or_b32 v13, v0, 3, s7
	v_mul_f64 v[2:3], v[2:3], v[18:19]
	s_cmp_gt_i32 s0, 6
	ds_write_b64 v13, v[24:25] offset:512
	ds_write_b64 v12, v[4:5] offset:512
	;; [unrolled: 1-line block ×3, first 2 shown]
	s_cbranch_scc0 .LBB74_30
; %bb.28:                               ;   in Loop: Header=BB74_25 Depth=1
	s_mov_b32 s0, s6
	s_branch .LBB74_25
.LBB74_29:
	s_mov_b32 s6, s0
.LBB74_30:
	s_cmp_lt_i32 s6, 0
	s_cbranch_scc1 .LBB74_43
; %bb.31:
	s_bitcmp1_b32 s6, 0
	s_cselect_b64 s[0:1], -1, 0
	s_and_b64 vcc, exec, s[0:1]
	s_mov_b32 s0, s6
	s_cbranch_vccnz .LBB74_36
; %bb.32:
	v_lshl_or_b32 v1, s6, 6, v10
	ds_read_b64 v[2:3], v1 offset:512
	s_cmp_le_i32 s31, s6
	s_cbranch_scc1 .LBB74_35
; %bb.33:
	s_lshl_b32 s0, s6, 6
	s_lshl_b32 s1, s30, 3
	s_add_i32 s0, s0, s1
	v_lshl_or_b32 v4, s30, 6, v10
	s_add_i32 s0, s0, -8
	v_add_u32_e32 v4, 0x1c0, v4
	s_mov_b32 s1, s31
.LBB74_34:                              ; =>This Inner Loop Header: Depth=1
	v_mov_b32_e32 v5, s0
	ds_read_b64 v[6:7], v4
	ds_read_b64 v[8:9], v5
	s_add_i32 s1, s1, -1
	s_add_i32 s0, s0, -8
	v_subrev_u32_e32 v4, 64, v4
	s_cmp_gt_i32 s1, s6
	s_waitcnt lgkmcnt(0)
	v_fma_f64 v[2:3], -v[6:7], v[8:9], v[2:3]
	s_cbranch_scc1 .LBB74_34
.LBB74_35:
	s_mul_i32 s0, s6, 0x48
	v_mov_b32_e32 v4, s0
	ds_read_b64 v[4:5], v4
	v_add_u32_e32 v1, 0x200, v1
	s_add_i32 s0, s6, -1
	s_waitcnt lgkmcnt(0)
	v_mul_f64 v[2:3], v[2:3], v[4:5]
	ds_write_b64 v1, v[2:3]
.LBB74_36:
	s_cmp_eq_u32 s6, 0
	s_cbranch_scc1 .LBB74_43
; %bb.37:
	s_lshl_b32 s1, s0, 6
	s_lshl_b32 s6, s30, 3
	s_add_i32 s6, s1, s6
	v_lshl_or_b32 v1, s30, 6, v10
	s_add_i32 s1, s6, -8
	v_add_u32_e32 v1, 0x1c0, v1
	s_addk_i32 s6, 0xffb8
	s_branch .LBB74_39
.LBB74_38:                              ;   in Loop: Header=BB74_39 Depth=1
	s_addk_i32 s7, 0xffb8
	v_mov_b32_e32 v5, s7
	v_add_u32_e32 v4, 0x200, v6
	ds_read_b64 v[6:7], v5
	s_add_i32 s7, s0, -2
	s_addk_i32 s1, 0xff80
	s_addk_i32 s6, 0xff80
	s_cmp_lt_i32 s0, 2
	s_waitcnt lgkmcnt(0)
	v_mul_f64 v[2:3], v[2:3], v[6:7]
	s_mov_b32 s0, s7
	ds_write_b64 v4, v[2:3]
	s_cbranch_scc1 .LBB74_43
.LBB74_39:                              ; =>This Loop Header: Depth=1
                                        ;     Child Loop BB74_40 Depth 2
                                        ;     Child Loop BB74_42 Depth 2
	v_lshl_or_b32 v2, s0, 6, v10
	ds_read_b64 v[4:5], v2 offset:512
	s_cmp_le_i32 s31, s0
	v_mov_b32_e32 v3, v1
	s_mov_b32 s7, s1
	s_mov_b32 s8, s31
	s_cbranch_scc1 .LBB74_41
.LBB74_40:                              ;   Parent Loop BB74_39 Depth=1
                                        ; =>  This Inner Loop Header: Depth=2
	v_mov_b32_e32 v8, s7
	ds_read_b64 v[6:7], v3
	ds_read_b64 v[8:9], v8
	s_add_i32 s8, s8, -1
	s_add_i32 s7, s7, -8
	v_subrev_u32_e32 v3, 64, v3
	s_cmp_gt_i32 s8, s0
	s_waitcnt lgkmcnt(0)
	v_fma_f64 v[4:5], -v[6:7], v[8:9], v[4:5]
	s_cbranch_scc1 .LBB74_40
.LBB74_41:                              ;   in Loop: Header=BB74_39 Depth=1
	s_mul_i32 s7, s0, 0x48
	v_add_u32_e32 v7, 0x200, v2
	v_mov_b32_e32 v2, s7
	s_lshl_b32 s8, s0, 6
	ds_read_b64 v[8:9], v2
	s_sub_i32 s8, s8, 64
	v_lshl_or_b32 v6, v0, 3, s8
	ds_read_b64 v[2:3], v6 offset:512
	s_cmp_lt_i32 s31, s0
	s_waitcnt lgkmcnt(1)
	v_mul_f64 v[4:5], v[4:5], v[8:9]
	ds_write_b64 v7, v[4:5]
	v_mov_b32_e32 v4, v1
	s_mov_b32 s8, s6
	s_mov_b32 s9, s30
	s_cbranch_scc1 .LBB74_38
.LBB74_42:                              ;   Parent Loop BB74_39 Depth=1
                                        ; =>  This Inner Loop Header: Depth=2
	v_mov_b32_e32 v5, s8
	ds_read_b64 v[8:9], v4
	ds_read_b64 v[12:13], v5
	s_add_i32 s9, s9, -1
	s_add_i32 s8, s8, -8
	v_subrev_u32_e32 v4, 64, v4
	s_cmp_gt_i32 s9, s0
	s_waitcnt lgkmcnt(0)
	v_fma_f64 v[2:3], -v[8:9], v[12:13], v[2:3]
	s_cbranch_scc1 .LBB74_42
	s_branch .LBB74_38
.LBB74_43:
	s_mov_b64 s[0:1], 0
.LBB74_44:
	s_and_b64 vcc, exec, s[0:1]
	s_cbranch_vccz .LBB74_66
; %bb.45:
	s_cmp_gt_i32 s2, 7
	s_cbranch_scc0 .LBB74_47
; %bb.46:
	ds_read2_b64 v[2:5], v10 offset0:64 offset1:72
	ds_read2_b64 v[6:9], v10 offset0:80 offset1:88
	v_mov_b32_e32 v1, 0
	ds_read_b128 v[12:15], v1
	ds_read2_b64 v[16:19], v10 offset0:96 offset1:104
	ds_read2_b64 v[20:23], v10 offset0:112 offset1:120
	ds_read2_b64 v[24:27], v1 offset0:9 offset1:10
	ds_read_b128 v[28:31], v1 offset:16
	s_mov_b32 s0, 8
	s_waitcnt lgkmcnt(4)
	v_mul_f64 v[44:45], v[2:3], v[12:13]
	v_fma_f64 v[12:13], -v[44:45], v[14:15], v[4:5]
	s_waitcnt lgkmcnt(1)
	v_mul_f64 v[46:47], v[12:13], v[24:25]
	ds_read_b128 v[12:15], v1 offset:144
	ds_read2_b64 v[2:5], v1 offset0:11 offset1:12
	s_waitcnt lgkmcnt(2)
	v_fma_f64 v[6:7], -v[44:45], v[28:29], v[6:7]
	v_fma_f64 v[6:7], -v[46:47], v[26:27], v[6:7]
	ds_read2_b64 v[24:27], v1 offset0:13 offset1:14
	s_waitcnt lgkmcnt(2)
	v_mul_f64 v[48:49], v[6:7], v[12:13]
	v_fma_f64 v[12:13], -v[44:45], v[30:31], v[8:9]
	ds_read2_b64 v[6:9], v1 offset0:27 offset1:28
	ds_write2_b64 v10, v[44:45], v[46:47] offset0:64 offset1:72
	s_waitcnt lgkmcnt(3)
	v_fma_f64 v[2:3], -v[46:47], v[2:3], v[12:13]
	v_fma_f64 v[2:3], -v[48:49], v[14:15], v[2:3]
	ds_read2_b64 v[12:15], v1 offset0:29 offset1:30
	ds_read_b128 v[28:31], v1 offset:32
	s_waitcnt lgkmcnt(3)
	v_mul_f64 v[50:51], v[2:3], v[6:7]
	ds_write2_b64 v10, v[48:49], v[50:51] offset0:80 offset1:88
	ds_read_b128 v[32:35], v1 offset:48
	ds_read_b128 v[36:39], v1 offset:160
	s_waitcnt lgkmcnt(3)
	v_fma_f64 v[2:3], -v[44:45], v[28:29], v[16:17]
	v_fma_f64 v[6:7], -v[46:47], v[4:5], v[2:3]
	ds_read_b128 v[2:5], v1 offset:288
	ds_read_b128 v[40:43], v1 offset:176
	s_waitcnt lgkmcnt(2)
	v_fma_f64 v[6:7], -v[48:49], v[36:37], v[6:7]
	v_fma_f64 v[16:17], -v[50:51], v[8:9], v[6:7]
	ds_read_b128 v[6:9], v1 offset:304
	s_waitcnt lgkmcnt(2)
	v_mul_f64 v[28:29], v[16:17], v[2:3]
	v_fma_f64 v[2:3], -v[44:45], v[30:31], v[18:19]
	ds_read2_b64 v[16:19], v1 offset0:45 offset1:46
	v_fma_f64 v[2:3], -v[46:47], v[24:25], v[2:3]
	v_fma_f64 v[2:3], -v[48:49], v[38:39], v[2:3]
	;; [unrolled: 1-line block ×4, first 2 shown]
	s_waitcnt lgkmcnt(0)
	v_mul_f64 v[24:25], v[12:13], v[16:17]
	v_fma_f64 v[12:13], -v[44:45], v[32:33], v[20:21]
	v_fma_f64 v[12:13], -v[46:47], v[26:27], v[12:13]
	;; [unrolled: 1-line block ×3, first 2 shown]
	ds_read_b128 v[2:5], v1 offset:432
	v_fma_f64 v[12:13], -v[50:51], v[14:15], v[12:13]
	v_fma_f64 v[6:7], -v[28:29], v[6:7], v[12:13]
	ds_read2_b64 v[12:15], v1 offset0:15 offset1:31
	v_fma_f64 v[6:7], -v[24:25], v[18:19], v[6:7]
	s_waitcnt lgkmcnt(1)
	v_mul_f64 v[2:3], v[6:7], v[2:3]
	v_fma_f64 v[6:7], -v[44:45], v[34:35], v[22:23]
	ds_read2_b64 v[16:19], v1 offset0:47 offset1:63
	s_waitcnt lgkmcnt(1)
	v_fma_f64 v[6:7], -v[46:47], v[12:13], v[6:7]
	v_fma_f64 v[6:7], -v[48:49], v[42:43], v[6:7]
	;; [unrolled: 1-line block ×4, first 2 shown]
	s_waitcnt lgkmcnt(0)
	v_fma_f64 v[6:7], -v[24:25], v[16:17], v[6:7]
	v_fma_f64 v[4:5], -v[2:3], v[4:5], v[6:7]
	v_mul_f64 v[4:5], v[4:5], v[18:19]
	ds_write2_b64 v10, v[28:29], v[24:25] offset0:96 offset1:104
	ds_write2_b64 v10, v[2:3], v[4:5] offset0:112 offset1:120
	s_cmp_lt_i32 s0, s30
	s_cbranch_scc1 .LBB74_48
	s_branch .LBB74_66
.LBB74_47:
	s_mov_b32 s0, 0
	s_cmp_lt_i32 s0, s30
	s_cbranch_scc0 .LBB74_66
.LBB74_48:
	s_or_b32 s1, s0, 3
	s_cmp_ge_u32 s1, s30
	s_cbranch_scc1 .LBB74_54
; %bb.49:
	v_mov_b32_e32 v1, 0x200
	s_lshl_b32 s1, s0, 3
	v_lshl_or_b32 v1, v0, 3, v1
.LBB74_50:                              ; =>This Loop Header: Depth=1
                                        ;     Child Loop BB74_51 Depth 2
	v_lshl_or_b32 v11, s0, 6, v10
	ds_read2_b64 v[6:9], v11 offset0:64 offset1:72
	ds_read2_b64 v[2:5], v11 offset0:80 offset1:88
	s_cmp_eq_u32 s0, 0
	s_mov_b32 s6, s0
	v_mov_b32_e32 v12, v1
	s_mov_b32 s7, s1
	s_cbranch_scc1 .LBB74_52
.LBB74_51:                              ;   Parent Loop BB74_50 Depth=1
                                        ; =>  This Inner Loop Header: Depth=2
	ds_read2_b64 v[14:17], v12 offset1:8
	v_mov_b32_e32 v13, s7
	ds_read2_b64 v[18:21], v12 offset0:16 offset1:24
	ds_read_b128 v[22:25], v13
	ds_read_b128 v[26:29], v13 offset:16
	ds_read_b128 v[30:33], v13 offset:64
	;; [unrolled: 1-line block ×7, first 2 shown]
	s_addk_i32 s7, 0x100
	s_waitcnt lgkmcnt(7)
	v_fma_f64 v[6:7], -v[14:15], v[22:23], v[6:7]
	v_fma_f64 v[8:9], -v[14:15], v[24:25], v[8:9]
	s_waitcnt lgkmcnt(6)
	v_fma_f64 v[2:3], -v[14:15], v[26:27], v[2:3]
	v_fma_f64 v[4:5], -v[14:15], v[28:29], v[4:5]
	;; [unrolled: 3-line block ×4, first 2 shown]
	s_add_i32 s6, s6, -4
	s_waitcnt lgkmcnt(3)
	v_fma_f64 v[6:7], -v[18:19], v[38:39], v[6:7]
	v_fma_f64 v[8:9], -v[18:19], v[40:41], v[8:9]
	s_waitcnt lgkmcnt(2)
	v_fma_f64 v[2:3], -v[18:19], v[42:43], v[2:3]
	v_fma_f64 v[4:5], -v[18:19], v[44:45], v[4:5]
	v_add_u32_e32 v12, 0x100, v12
	s_cmp_lg_u32 s6, 0
	s_waitcnt lgkmcnt(1)
	v_fma_f64 v[6:7], -v[20:21], v[46:47], v[6:7]
	v_fma_f64 v[8:9], -v[20:21], v[48:49], v[8:9]
	s_waitcnt lgkmcnt(0)
	v_fma_f64 v[2:3], -v[20:21], v[50:51], v[2:3]
	v_fma_f64 v[4:5], -v[20:21], v[52:53], v[4:5]
	s_cbranch_scc1 .LBB74_51
.LBB74_52:                              ;   in Loop: Header=BB74_50 Depth=1
	s_mul_i32 s6, s0, 0x48
	v_mov_b32_e32 v24, s6
	ds_read_b128 v[12:15], v24
	ds_read_b128 v[16:19], v24 offset:16
	ds_read2_b64 v[20:23], v24 offset0:9 offset1:10
	s_lshl_b32 s6, s0, 3
	v_add_u32_e32 v11, 0x200, v11
	s_waitcnt lgkmcnt(2)
	v_mul_f64 v[12:13], v[6:7], v[12:13]
	v_fma_f64 v[14:15], -v[12:13], v[14:15], v[8:9]
	ds_read_b128 v[6:9], v24 offset:144
	s_or_b32 s6, s6, 8
	ds_write_b64 v11, v[12:13]
	s_waitcnt lgkmcnt(2)
	v_mul_f64 v[14:15], v[14:15], v[20:21]
	v_or_b32_e32 v11, s6, v0
	v_fma_f64 v[2:3], -v[12:13], v[16:17], v[2:3]
	s_add_i32 s6, s0, s6
	s_lshl_b32 s6, s6, 3
	v_fma_f64 v[2:3], -v[14:15], v[22:23], v[2:3]
	s_waitcnt lgkmcnt(1)
	v_mul_f64 v[2:3], v[2:3], v[6:7]
	v_mov_b32_e32 v6, s6
	ds_read_b64 v[6:7], v6 offset:24
	ds_read_b64 v[16:17], v24 offset:216
	v_fma_f64 v[4:5], -v[12:13], v[18:19], v[4:5]
	v_lshlrev_b32_e32 v11, 3, v11
	s_lshl_b32 s6, s0, 6
	s_waitcnt lgkmcnt(1)
	v_fma_f64 v[4:5], -v[14:15], v[6:7], v[4:5]
	ds_write_b64 v11, v[14:15] offset:512
	v_lshl_or_b32 v11, v0, 3, s6
	v_fma_f64 v[4:5], -v[2:3], v[8:9], v[4:5]
	s_add_i32 s6, s0, 4
	s_add_i32 s0, s0, 7
	;; [unrolled: 1-line block ×3, first 2 shown]
	s_waitcnt lgkmcnt(1)
	v_mul_f64 v[4:5], v[4:5], v[16:17]
	s_cmp_lt_i32 s0, s30
	ds_write2_b64 v11, v[2:3], v[4:5] offset0:80 offset1:88
	s_cbranch_scc0 .LBB74_55
; %bb.53:                               ;   in Loop: Header=BB74_50 Depth=1
	s_mov_b32 s0, s6
	s_branch .LBB74_50
.LBB74_54:
	s_mov_b32 s6, s0
.LBB74_55:
	s_cmp_ge_i32 s6, s30
	s_cbranch_scc1 .LBB74_66
; %bb.56:
	v_mov_b32_e32 v1, 0x200
	s_add_i32 s0, s6, -1
	s_lshl_b32 s1, s6, 3
	v_lshl_or_b32 v1, v0, 3, v1
	s_mov_b32 s7, 0
	s_mov_b32 s8, s6
	s_branch .LBB74_58
.LBB74_57:                              ;   in Loop: Header=BB74_58 Depth=1
	s_mul_i32 s9, s6, 0x48
	v_mov_b32_e32 v5, s9
	ds_read_b64 v[6:7], v5
	s_add_i32 s6, s6, 1
	s_add_i32 s7, s7, 1
	;; [unrolled: 1-line block ×3, first 2 shown]
	v_add_u16_e64 v5, s8, 1
	v_add_u32_e32 v4, 0x200, v4
	s_waitcnt lgkmcnt(0)
	v_mul_f64 v[2:3], v[2:3], v[6:7]
	s_cmp_ge_i32 s6, s30
	v_readfirstlane_b32 s8, v5
	ds_write_b64 v4, v[2:3]
	s_cbranch_scc1 .LBB74_66
.LBB74_58:                              ; =>This Loop Header: Depth=1
                                        ;     Child Loop BB74_61 Depth 2
                                        ;     Child Loop BB74_65 Depth 2
	v_lshl_or_b32 v4, s6, 6, v10
	ds_read_b64 v[2:3], v4 offset:512
	s_cmp_eq_u32 s6, 0
	s_cbranch_scc1 .LBB74_57
; %bb.59:                               ;   in Loop: Header=BB74_58 Depth=1
	s_add_i32 s9, s0, s7
	s_cmp_lt_u32 s9, 7
	s_cbranch_scc1 .LBB74_63
; %bb.60:                               ;   in Loop: Header=BB74_58 Depth=1
	s_and_b32 s9, s6, -8
	s_mov_b32 s12, 0
	v_mov_b32_e32 v5, v1
	s_mov_b32 s13, s1
.LBB74_61:                              ;   Parent Loop BB74_58 Depth=1
                                        ; =>  This Inner Loop Header: Depth=2
	ds_read2_b64 v[6:9], v5 offset1:8
	v_mov_b32_e32 v11, s13
	ds_read2_b64 v[12:15], v5 offset0:16 offset1:24
	ds_read2_b64 v[16:19], v5 offset0:32 offset1:40
	;; [unrolled: 1-line block ×3, first 2 shown]
	ds_read2_b64 v[24:27], v11 offset1:8
	ds_read2_b64 v[28:31], v11 offset0:16 offset1:24
	ds_read2_b64 v[32:35], v11 offset0:32 offset1:40
	;; [unrolled: 1-line block ×3, first 2 shown]
	s_add_i32 s12, s12, 8
	s_waitcnt lgkmcnt(3)
	v_fma_f64 v[2:3], -v[6:7], v[24:25], v[2:3]
	v_fma_f64 v[2:3], -v[8:9], v[26:27], v[2:3]
	s_waitcnt lgkmcnt(2)
	v_fma_f64 v[2:3], -v[12:13], v[28:29], v[2:3]
	v_fma_f64 v[2:3], -v[14:15], v[30:31], v[2:3]
	;; [unrolled: 3-line block ×3, first 2 shown]
	s_addk_i32 s13, 0x200
	s_waitcnt lgkmcnt(0)
	v_fma_f64 v[2:3], -v[20:21], v[36:37], v[2:3]
	v_add_u32_e32 v5, 0x200, v5
	s_cmp_lg_u32 s9, s12
	v_fma_f64 v[2:3], -v[22:23], v[38:39], v[2:3]
	s_cbranch_scc1 .LBB74_61
; %bb.62:                               ;   in Loop: Header=BB74_58 Depth=1
	s_and_b32 s12, s6, 7
	s_cmp_eq_u32 s12, 0
	s_cbranch_scc0 .LBB74_64
	s_branch .LBB74_57
.LBB74_63:                              ;   in Loop: Header=BB74_58 Depth=1
	s_mov_b32 s9, 0
	s_and_b32 s12, s6, 7
	s_cmp_eq_u32 s12, 0
	s_cbranch_scc1 .LBB74_57
.LBB74_64:                              ;   in Loop: Header=BB74_58 Depth=1
	s_and_b32 s12, s8, 7
	s_lshl_b32 s9, s9, 6
.LBB74_65:                              ;   Parent Loop BB74_58 Depth=1
                                        ; =>  This Inner Loop Header: Depth=2
	v_add_u32_e32 v5, s9, v1
	s_add_i32 s13, s1, s9
	ds_read_b64 v[6:7], v5
	v_mov_b32_e32 v5, s13
	ds_read_b64 v[8:9], v5
	s_add_i32 s9, s9, 64
	s_add_i32 s12, s12, -1
	s_cmp_lg_u32 s12, 0
	s_waitcnt lgkmcnt(0)
	v_fma_f64 v[2:3], -v[6:7], v[8:9], v[2:3]
	s_cbranch_scc1 .LBB74_65
	s_branch .LBB74_57
.LBB74_66:
	s_waitcnt lgkmcnt(0)
	; wave barrier
	s_waitcnt lgkmcnt(0)
	s_and_saveexec_b64 s[0:1], s[4:5]
	s_cbranch_execz .LBB74_75
; %bb.67:
	ds_read_b64 v[2:3], v10 offset:512
	v_mad_i64_i32 v[0:1], s[0:1], s10, v0, 0
	v_lshlrev_b64 v[0:1], 3, v[0:1]
	v_mov_b32_e32 v4, s11
	v_add_co_u32_e32 v0, vcc, s3, v0
	v_addc_co_u32_e32 v1, vcc, v4, v1, vcc
	s_cmp_eq_u32 s2, 1
	s_waitcnt lgkmcnt(0)
	global_store_dwordx2 v[0:1], v[2:3], off
	s_cbranch_scc1 .LBB74_75
; %bb.68:
	v_or_b32_e32 v2, 0x200, v10
	ds_read_b64 v[4:5], v2 offset:64
	s_cmp_eq_u32 s2, 2
	s_waitcnt lgkmcnt(0)
	global_store_dwordx2 v[0:1], v[4:5], off offset:8
	s_cbranch_scc1 .LBB74_75
; %bb.69:
	ds_read_b64 v[4:5], v2 offset:128
	s_cmp_eq_u32 s2, 3
	s_waitcnt lgkmcnt(0)
	global_store_dwordx2 v[0:1], v[4:5], off offset:16
	s_cbranch_scc1 .LBB74_75
; %bb.70:
	;; [unrolled: 6-line block ×6, first 2 shown]
	ds_read_b64 v[2:3], v2 offset:448
	s_waitcnt lgkmcnt(0)
	global_store_dwordx2 v[0:1], v[2:3], off offset:56
.LBB74_75:
	s_endpgm
	.section	.rodata,"a",@progbits
	.p2align	6, 0x0
	.amdhsa_kernel _ZL38rocblas_trsm_small_left_device_sharedBILi8ELi8ELb1EddPKdPdEv13rocblas_fill_18rocblas_operation_17rocblas_diagonal_iiT3_T4_lilT5_lili
		.amdhsa_group_segment_fixed_size 1024
		.amdhsa_private_segment_fixed_size 0
		.amdhsa_kernarg_size 360
		.amdhsa_user_sgpr_count 6
		.amdhsa_user_sgpr_private_segment_buffer 1
		.amdhsa_user_sgpr_dispatch_ptr 0
		.amdhsa_user_sgpr_queue_ptr 0
		.amdhsa_user_sgpr_kernarg_segment_ptr 1
		.amdhsa_user_sgpr_dispatch_id 0
		.amdhsa_user_sgpr_flat_scratch_init 0
		.amdhsa_user_sgpr_kernarg_preload_length 0
		.amdhsa_user_sgpr_kernarg_preload_offset 0
		.amdhsa_user_sgpr_private_segment_size 0
		.amdhsa_uses_dynamic_stack 0
		.amdhsa_system_sgpr_private_segment_wavefront_offset 0
		.amdhsa_system_sgpr_workgroup_id_x 1
		.amdhsa_system_sgpr_workgroup_id_y 0
		.amdhsa_system_sgpr_workgroup_id_z 1
		.amdhsa_system_sgpr_workgroup_info 0
		.amdhsa_system_vgpr_workitem_id 0
		.amdhsa_next_free_vgpr 54
		.amdhsa_next_free_sgpr 37
		.amdhsa_accum_offset 56
		.amdhsa_reserve_vcc 1
		.amdhsa_reserve_flat_scratch 0
		.amdhsa_float_round_mode_32 0
		.amdhsa_float_round_mode_16_64 0
		.amdhsa_float_denorm_mode_32 3
		.amdhsa_float_denorm_mode_16_64 3
		.amdhsa_dx10_clamp 1
		.amdhsa_ieee_mode 1
		.amdhsa_fp16_overflow 0
		.amdhsa_tg_split 0
		.amdhsa_exception_fp_ieee_invalid_op 0
		.amdhsa_exception_fp_denorm_src 0
		.amdhsa_exception_fp_ieee_div_zero 0
		.amdhsa_exception_fp_ieee_overflow 0
		.amdhsa_exception_fp_ieee_underflow 0
		.amdhsa_exception_fp_ieee_inexact 0
		.amdhsa_exception_int_div_zero 0
	.end_amdhsa_kernel
	.section	.text._ZL38rocblas_trsm_small_left_device_sharedBILi8ELi8ELb1EddPKdPdEv13rocblas_fill_18rocblas_operation_17rocblas_diagonal_iiT3_T4_lilT5_lili,"axG",@progbits,_ZL38rocblas_trsm_small_left_device_sharedBILi8ELi8ELb1EddPKdPdEv13rocblas_fill_18rocblas_operation_17rocblas_diagonal_iiT3_T4_lilT5_lili,comdat
.Lfunc_end74:
	.size	_ZL38rocblas_trsm_small_left_device_sharedBILi8ELi8ELb1EddPKdPdEv13rocblas_fill_18rocblas_operation_17rocblas_diagonal_iiT3_T4_lilT5_lili, .Lfunc_end74-_ZL38rocblas_trsm_small_left_device_sharedBILi8ELi8ELb1EddPKdPdEv13rocblas_fill_18rocblas_operation_17rocblas_diagonal_iiT3_T4_lilT5_lili
                                        ; -- End function
	.section	.AMDGPU.csdata,"",@progbits
; Kernel info:
; codeLenInByte = 5100
; NumSgprs: 41
; NumVgprs: 54
; NumAgprs: 0
; TotalNumVgprs: 54
; ScratchSize: 0
; MemoryBound: 0
; FloatMode: 240
; IeeeMode: 1
; LDSByteSize: 1024 bytes/workgroup (compile time only)
; SGPRBlocks: 5
; VGPRBlocks: 6
; NumSGPRsForWavesPerEU: 41
; NumVGPRsForWavesPerEU: 54
; AccumOffset: 56
; Occupancy: 8
; WaveLimiterHint : 0
; COMPUTE_PGM_RSRC2:SCRATCH_EN: 0
; COMPUTE_PGM_RSRC2:USER_SGPR: 6
; COMPUTE_PGM_RSRC2:TRAP_HANDLER: 0
; COMPUTE_PGM_RSRC2:TGID_X_EN: 1
; COMPUTE_PGM_RSRC2:TGID_Y_EN: 0
; COMPUTE_PGM_RSRC2:TGID_Z_EN: 1
; COMPUTE_PGM_RSRC2:TIDIG_COMP_CNT: 0
; COMPUTE_PGM_RSRC3_GFX90A:ACCUM_OFFSET: 13
; COMPUTE_PGM_RSRC3_GFX90A:TG_SPLIT: 0
	.section	.text._ZL30rocblas_trsm_small_left_deviceILi8ELi8ELb1EddPKdPdEv13rocblas_fill_18rocblas_operation_17rocblas_diagonal_iiT3_T4_lilT5_lili,"axG",@progbits,_ZL30rocblas_trsm_small_left_deviceILi8ELi8ELb1EddPKdPdEv13rocblas_fill_18rocblas_operation_17rocblas_diagonal_iiT3_T4_lilT5_lili,comdat
	.globl	_ZL30rocblas_trsm_small_left_deviceILi8ELi8ELb1EddPKdPdEv13rocblas_fill_18rocblas_operation_17rocblas_diagonal_iiT3_T4_lilT5_lili ; -- Begin function _ZL30rocblas_trsm_small_left_deviceILi8ELi8ELb1EddPKdPdEv13rocblas_fill_18rocblas_operation_17rocblas_diagonal_iiT3_T4_lilT5_lili
	.p2align	8
	.type	_ZL30rocblas_trsm_small_left_deviceILi8ELi8ELb1EddPKdPdEv13rocblas_fill_18rocblas_operation_17rocblas_diagonal_iiT3_T4_lilT5_lili,@function
_ZL30rocblas_trsm_small_left_deviceILi8ELi8ELb1EddPKdPdEv13rocblas_fill_18rocblas_operation_17rocblas_diagonal_iiT3_T4_lilT5_lili: ; @_ZL30rocblas_trsm_small_left_deviceILi8ELi8ELb1EddPKdPdEv13rocblas_fill_18rocblas_operation_17rocblas_diagonal_iiT3_T4_lilT5_lili
; %bb.0:
	s_load_dwordx4 s[12:15], s[4:5], 0x4
	s_load_dwordx4 s[0:3], s[4:5], 0x18
	s_load_dwordx2 s[24:25], s[4:5], 0x28
	s_load_dwordx4 s[8:11], s[4:5], 0x38
	s_load_dwordx2 s[20:21], s[4:5], 0x48
	s_waitcnt lgkmcnt(0)
	s_min_i32 s16, s14, 8
	s_mov_b32 s17, 0
	s_add_i32 s18, s16, -1
	v_cmp_gt_i32_e32 vcc, s16, v0
	s_and_saveexec_b64 s[22:23], vcc
	s_cbranch_execz .LBB75_10
; %bb.1:
	s_load_dword s26, s[4:5], 0x30
	s_mul_i32 s9, s7, s9
	s_mul_hi_u32 s19, s7, s8
	s_add_i32 s9, s19, s9
	s_mul_i32 s8, s7, s8
	s_waitcnt lgkmcnt(0)
	s_ashr_i32 s27, s26, 31
	s_cmp_lt_u32 s18, 3
	v_lshlrev_b32_e32 v1, 3, v0
	s_cbranch_scc1 .LBB75_4
; %bb.2:
	s_lshl_b64 s[28:29], s[8:9], 3
	s_add_u32 s17, s2, s28
	s_addc_u32 s19, s3, s29
	s_lshl_b64 s[28:29], s[24:25], 3
	s_add_u32 s17, s17, s28
	s_addc_u32 s19, s19, s29
	v_mov_b32_e32 v3, s19
	v_add_co_u32_e32 v2, vcc, s17, v1
	s_mul_hi_i32 s36, s26, 24
	s_lshl_b64 s[28:29], s[26:27], 5
	s_lshl_b64 s[30:31], s[26:27], 4
	;; [unrolled: 1-line block ×3, first 2 shown]
	v_addc_co_u32_e32 v3, vcc, 0, v3, vcc
	s_and_b32 s17, s16, -4
	s_mul_i32 s19, s26, 24
	s_mov_b32 s33, 0
	v_mov_b32_e32 v4, s35
	v_mov_b32_e32 v5, s31
	;; [unrolled: 1-line block ×5, first 2 shown]
.LBB75_3:                               ; =>This Inner Loop Header: Depth=1
	v_add_co_u32_e32 v12, vcc, s34, v2
	v_addc_co_u32_e32 v13, vcc, v3, v4, vcc
	v_add_co_u32_e32 v14, vcc, s30, v2
	v_addc_co_u32_e32 v15, vcc, v3, v5, vcc
	v_add_co_u32_e32 v16, vcc, s19, v2
	global_load_dwordx2 v[10:11], v[2:3], off
	v_addc_co_u32_e32 v17, vcc, v3, v6, vcc
	global_load_dwordx2 v[18:19], v[12:13], off
	global_load_dwordx2 v[20:21], v[14:15], off
	;; [unrolled: 1-line block ×3, first 2 shown]
	s_add_i32 s33, s33, 4
	v_add_co_u32_e32 v2, vcc, s28, v2
	v_addc_co_u32_e32 v3, vcc, v3, v7, vcc
	s_cmp_eq_u32 s17, s33
	s_waitcnt vmcnt(2)
	ds_write2_b64 v8, v[10:11], v[18:19] offset1:8
	s_waitcnt vmcnt(0)
	ds_write2_b64 v8, v[20:21], v[22:23] offset0:16 offset1:24
	v_add_u32_e32 v8, 0x100, v8
	s_cbranch_scc0 .LBB75_3
.LBB75_4:
	s_and_b32 s19, s16, 3
	s_cmp_eq_u32 s19, 0
	s_cbranch_scc1 .LBB75_7
; %bb.5:
	s_mul_i32 s28, s27, s17
	s_mul_hi_u32 s29, s26, s17
	s_add_i32 s29, s29, s28
	s_mul_i32 s28, s26, s17
	s_lshl_b64 s[8:9], s[8:9], 3
	s_lshl_b64 s[28:29], s[28:29], 3
	v_lshl_or_b32 v4, s17, 6, v1
	s_add_u32 s17, s8, s28
	s_addc_u32 s28, s9, s29
	s_lshl_b64 s[8:9], s[24:25], 3
	s_add_u32 s8, s17, s8
	s_addc_u32 s9, s28, s9
	s_add_u32 s2, s2, s8
	s_addc_u32 s3, s3, s9
	v_mov_b32_e32 v3, s3
	v_add_co_u32_e32 v2, vcc, s2, v1
	s_lshl_b64 s[2:3], s[26:27], 3
	v_addc_co_u32_e32 v3, vcc, 0, v3, vcc
	v_mov_b32_e32 v1, s3
.LBB75_6:                               ; =>This Inner Loop Header: Depth=1
	global_load_dwordx2 v[6:7], v[2:3], off
	v_add_co_u32_e32 v2, vcc, s2, v2
	s_add_i32 s19, s19, -1
	v_addc_co_u32_e32 v3, vcc, v3, v1, vcc
	s_cmp_lg_u32 s19, 0
	s_waitcnt vmcnt(0)
	ds_write_b64 v4, v[6:7]
	v_add_u32_e32 v4, 64, v4
	s_cbranch_scc1 .LBB75_6
.LBB75_7:
	v_mul_u32_u24_e32 v1, 9, v0
	v_mov_b32_e32 v2, 0
	s_cmpk_lg_i32 s13, 0x84
	v_lshlrev_b32_e32 v1, 3, v1
	v_mov_b32_e32 v3, 0x3ff00000
	s_cbranch_scc0 .LBB75_9
; %bb.8:
	ds_read_b64 v[2:3], v1
	s_waitcnt lgkmcnt(0)
	v_div_scale_f64 v[4:5], s[2:3], v[2:3], v[2:3], 1.0
	v_rcp_f64_e32 v[6:7], v[4:5]
	v_div_scale_f64 v[8:9], vcc, 1.0, v[2:3], 1.0
	v_fma_f64 v[10:11], -v[4:5], v[6:7], 1.0
	v_fmac_f64_e32 v[6:7], v[6:7], v[10:11]
	v_fma_f64 v[10:11], -v[4:5], v[6:7], 1.0
	v_fmac_f64_e32 v[6:7], v[6:7], v[10:11]
	v_mul_f64 v[10:11], v[8:9], v[6:7]
	v_fma_f64 v[4:5], -v[4:5], v[10:11], v[8:9]
	v_div_fmas_f64 v[4:5], v[4:5], v[6:7], v[10:11]
	v_div_fixup_f64 v[2:3], v[4:5], v[2:3], 1.0
.LBB75_9:
	ds_write_b64 v1, v[2:3]
.LBB75_10:
	s_or_b64 exec, exec, s[22:23]
	s_load_dword s2, s[4:5], 0x68
	s_lshl_b32 s8, s6, 3
	s_sub_i32 s3, s15, s8
	s_waitcnt lgkmcnt(0)
	; wave barrier
	s_waitcnt lgkmcnt(0)
	s_add_i32 s2, s2, -1
	s_cmp_ge_u32 s6, s2
	s_cselect_b32 s2, s3, 8
	v_cmp_gt_i32_e32 vcc, s2, v0
	s_and_saveexec_b64 s[2:3], vcc
	s_cbranch_execz .LBB75_62
; %bb.11:
	s_load_dwordx2 s[2:3], s[4:5], 0x58
	s_load_dword s6, s[4:5], 0x50
	v_add_u32_e32 v0, s8, v0
	s_waitcnt lgkmcnt(0)
	s_mul_i32 s3, s7, s3
	s_mul_hi_u32 s4, s7, s2
	s_mul_i32 s2, s7, s2
	s_add_i32 s3, s4, s3
	s_lshl_b64 s[2:3], s[2:3], 3
	s_add_u32 s7, s10, s2
	s_addc_u32 s9, s11, s3
	s_lshl_b64 s[4:5], s[20:21], 3
	s_add_u32 s13, s7, s4
	v_mad_i64_i32 v[0:1], s[6:7], s6, v0, 0
	s_addc_u32 s9, s9, s5
	v_lshlrev_b64 v[2:3], 3, v[0:1]
	v_mov_b32_e32 v1, s9
	v_add_co_u32_e32 v0, vcc, s13, v2
	v_addc_co_u32_e32 v1, vcc, v1, v3, vcc
	s_cmpk_eq_i32 s12, 0x6f
	s_mov_b64 s[6:7], -1
	s_cbranch_scc1 .LBB75_40
; %bb.12:
	s_cmp_gt_i32 s14, 7
	s_cbranch_scc0 .LBB75_14
; %bb.13:
	s_ashr_i32 s19, s18, 31
	s_lshl_b64 s[6:7], s[18:19], 3
	v_mov_b32_e32 v5, s7
	v_add_co_u32_e32 v4, vcc, s6, v0
	v_addc_co_u32_e32 v5, vcc, v1, v5, vcc
	global_load_dwordx2 v[46:47], v[4:5], off
	s_mov_b32 s17, 0
	s_lshl_b64 s[6:7], s[16:17], 3
	v_mov_b32_e32 v6, s7
	v_add_co_u32_e32 v14, vcc, s6, v0
	v_addc_co_u32_e32 v15, vcc, v1, v6, vcc
	global_load_dwordx4 v[6:9], v[14:15], off offset:-32
	global_load_dwordx4 v[10:13], v[14:15], off offset:-48
	global_load_dwordx2 v[48:49], v[14:15], off offset:-16
	s_mul_i32 s6, s18, 0x48
	global_load_dwordx4 v[14:17], v[14:15], off offset:-64
	s_lshl_b32 s7, s16, 3
	s_add_i32 s8, s6, 0xffffffb8
	s_ashr_i32 s17, s16, 31
	s_add_i32 s7, s7, s18
	s_add_i32 s12, s6, 0xffffff70
	;; [unrolled: 1-line block ×4, first 2 shown]
	v_mov_b32_e32 v19, s8
	s_lshl_b64 s[8:9], s[16:17], 3
	s_lshl_b32 s7, s7, 3
	v_mov_b32_e32 v18, s6
	v_mov_b32_e32 v22, s12
	;; [unrolled: 1-line block ×5, first 2 shown]
	s_add_i32 s9, s7, 0xffffff40
	s_add_i32 s12, s7, 0xfffffef8
	;; [unrolled: 1-line block ×5, first 2 shown]
	v_add_co_u32_e32 v52, vcc, s8, v0
	ds_read_b64 v[50:51], v18
	ds_read2_b64 v[18:21], v19 offset1:1
	v_addc_co_u32_e32 v53, vcc, v1, v23, vcc
	v_mov_b32_e32 v23, s9
	v_mov_b32_e32 v26, s12
	;; [unrolled: 1-line block ×5, first 2 shown]
	ds_read_b64 v[54:55], v23
	ds_read2_b64 v[22:25], v22 offset1:1
	ds_read2_b64 v[26:29], v26 offset1:1
	;; [unrolled: 1-line block ×3, first 2 shown]
	ds_read_b64 v[56:57], v34
	ds_read2_b64 v[34:37], v35 offset1:1
	ds_read2_b64 v[38:41], v38 offset1:1
	ds_read2_b64 v[42:45], v42 offset1:1
	s_add_i32 s19, s6, 0xfffffe98
	v_mov_b32_e32 v58, s19
	s_add_i32 s19, s7, 0xfffffe68
	v_mov_b32_e32 v59, s19
	;; [unrolled: 2-line block ×3, first 2 shown]
	s_add_i32 s8, s7, 0xfffffe28
	s_waitcnt vmcnt(4)
	v_mul_f64 v[46:47], v[46:47], s[0:1]
	s_waitcnt lgkmcnt(9)
	v_mul_f64 v[46:47], v[46:47], v[50:51]
	s_waitcnt lgkmcnt(5)
	v_mul_f64 v[28:29], v[46:47], v[28:29]
	v_mul_f64 v[50:51], v[46:47], v[54:55]
	s_waitcnt lgkmcnt(3)
	v_mul_f64 v[54:55], v[46:47], v[56:57]
	s_waitcnt vmcnt(3)
	v_fma_f64 v[28:29], v[6:7], s[0:1], -v[28:29]
	s_waitcnt lgkmcnt(0)
	v_mul_f64 v[6:7], v[46:47], v[44:45]
	v_fma_f64 v[50:51], v[8:9], s[0:1], -v[50:51]
	s_waitcnt vmcnt(2)
	v_fma_f64 v[44:45], v[12:13], s[0:1], -v[54:55]
	v_fma_f64 v[54:55], v[10:11], s[0:1], -v[6:7]
	ds_read2_b64 v[6:9], v59 offset1:1
	ds_read2_b64 v[10:13], v58 offset1:1
	global_store_dwordx2 v[4:5], v[46:47], off
	v_mul_f64 v[4:5], v[46:47], v[20:21]
	s_waitcnt vmcnt(2)
	v_fma_f64 v[4:5], v[48:49], s[0:1], -v[4:5]
	v_mul_f64 v[48:49], v[4:5], v[18:19]
	v_fma_f64 v[4:5], -v[48:49], v[24:25], v[50:51]
	v_fma_f64 v[18:19], -v[48:49], v[26:27], v[28:29]
	v_mul_f64 v[20:21], v[4:5], v[22:23]
	v_fma_f64 v[24:25], -v[48:49], v[36:37], v[44:45]
	v_fma_f64 v[4:5], -v[20:21], v[32:33], v[18:19]
	;; [unrolled: 1-line block ×4, first 2 shown]
	v_mul_f64 v[18:19], v[4:5], v[30:31]
	s_waitcnt lgkmcnt(1)
	v_fma_f64 v[8:9], -v[20:21], v[8:9], v[26:27]
	v_fma_f64 v[4:5], -v[18:19], v[40:41], v[22:23]
	;; [unrolled: 1-line block ×3, first 2 shown]
	v_mul_f64 v[6:7], v[4:5], v[38:39]
	s_waitcnt lgkmcnt(0)
	v_fma_f64 v[4:5], -v[6:7], v[12:13], v[8:9]
	v_mul_f64 v[4:5], v[4:5], v[10:11]
	ds_read2_b64 v[8:11], v60 offset1:1
	v_mov_b32_e32 v12, s8
	ds_read2_b64 v[22:25], v12 offset1:1
	s_add_i32 s8, s7, 0xfffffe18
	global_store_dwordx2 v[52:53], v[48:49], off offset:-16
	s_waitcnt lgkmcnt(1)
	v_mul_f64 v[26:27], v[46:47], v[10:11]
	v_mov_b32_e32 v10, s8
	ds_read2_b64 v[10:13], v10 offset1:1
	s_waitcnt vmcnt(2)
	v_fma_f64 v[16:17], v[16:17], s[0:1], -v[26:27]
	v_fma_f64 v[8:9], -v[48:49], v[8:9], v[16:17]
	s_waitcnt lgkmcnt(1)
	v_fma_f64 v[8:9], -v[20:21], v[24:25], v[8:9]
	v_fma_f64 v[8:9], -v[18:19], v[22:23], v[8:9]
	s_add_i32 s8, s6, 0xfffffe50
	s_waitcnt lgkmcnt(0)
	v_fma_f64 v[8:9], -v[6:7], v[12:13], v[8:9]
	v_mov_b32_e32 v12, s8
	s_add_i32 s8, s7, 0xfffffe00
	v_mov_b32_e32 v16, s8
	s_add_i32 s8, s7, 0xfffffdf0
	ds_read_b64 v[16:17], v16
	v_mov_b32_e32 v22, s8
	ds_read2_b64 v[22:25], v22 offset1:1
	ds_read_b64 v[12:13], v12
	v_fma_f64 v[8:9], -v[4:5], v[10:11], v[8:9]
	s_waitcnt lgkmcnt(2)
	v_mul_f64 v[10:11], v[46:47], v[16:17]
	v_fma_f64 v[10:11], v[14:15], s[0:1], -v[10:11]
	s_waitcnt lgkmcnt(1)
	v_fma_f64 v[10:11], -v[48:49], v[24:25], v[10:11]
	s_add_i32 s8, s7, 0xfffffde0
	s_addk_i32 s7, 0xfdd0
	global_store_dwordx4 v[52:53], v[18:21], off offset:-32
	global_store_dwordx4 v[52:53], v[4:7], off offset:-48
	v_fma_f64 v[20:21], -v[20:21], v[22:23], v[10:11]
	v_mov_b32_e32 v10, s8
	v_mov_b32_e32 v14, s7
	s_waitcnt lgkmcnt(0)
	v_mul_f64 v[8:9], v[8:9], v[12:13]
	ds_read2_b64 v[10:13], v10 offset1:1
	ds_read2_b64 v[14:17], v14 offset1:1
	s_addk_i32 s6, 0xfe08
	v_mov_b32_e32 v22, s6
	ds_read_b64 v[22:23], v22
	s_waitcnt lgkmcnt(2)
	v_fma_f64 v[12:13], -v[18:19], v[12:13], v[20:21]
	v_fma_f64 v[6:7], -v[6:7], v[10:11], v[12:13]
	s_waitcnt lgkmcnt(1)
	v_fma_f64 v[4:5], -v[4:5], v[16:17], v[6:7]
	v_fma_f64 v[4:5], -v[8:9], v[14:15], v[4:5]
	s_waitcnt lgkmcnt(0)
	v_mul_f64 v[6:7], v[4:5], v[22:23]
	s_add_i32 s6, s16, -9
	global_store_dwordx4 v[52:53], v[6:9], off offset:-64
	s_cmp_gt_i32 s6, -1
	s_cbranch_scc1 .LBB75_15
	s_branch .LBB75_39
.LBB75_14:
	s_mov_b32 s6, s18
	s_cmp_gt_i32 s6, -1
	s_cbranch_scc0 .LBB75_39
.LBB75_15:
	s_cmp_lt_u32 s6, 3
	s_cbranch_scc1 .LBB75_21
; %bb.16:
	s_lshl_b32 s7, s6, 6
	s_lshl_b32 s8, s16, 3
	s_add_i32 s7, s7, s8
	s_ashr_i32 s19, s18, 31
	s_add_i32 s8, s7, 0xffffff38
	s_lshl_b64 s[12:13], s[18:19], 3
	s_add_u32 s7, s10, s12
	s_addc_u32 s9, s11, s13
	s_add_u32 s7, s7, s4
	s_addc_u32 s9, s9, s5
	;; [unrolled: 2-line block ×3, first 2 shown]
	v_mov_b32_e32 v5, s9
	v_add_co_u32_e32 v4, vcc, s7, v2
	v_addc_co_u32_e32 v5, vcc, v5, v3, vcc
	s_mov_b32 s7, 0
.LBB75_17:                              ; =>This Loop Header: Depth=1
                                        ;     Child Loop BB75_18 Depth 2
	s_lshl_b64 s[12:13], s[6:7], 3
	v_mov_b32_e32 v6, s13
	v_add_co_u32_e32 v10, vcc, s12, v0
	v_addc_co_u32_e32 v11, vcc, v1, v6, vcc
	global_load_dwordx4 v[6:9], v[10:11], off offset:-8
	global_load_dwordx4 v[16:19], v[10:11], off offset:-24
	v_pk_mov_b32 v[14:15], v[4:5], v[4:5] op_sel:[0,1]
	s_mov_b32 s9, s8
	s_cmp_le_i32 s18, s6
	s_mov_b32 s12, s18
	s_waitcnt vmcnt(1)
	v_mul_f64 v[12:13], v[8:9], s[0:1]
	v_mul_f64 v[10:11], v[6:7], s[0:1]
	s_waitcnt vmcnt(0)
	v_mul_f64 v[8:9], v[18:19], s[0:1]
	v_mul_f64 v[6:7], v[16:17], s[0:1]
	s_cbranch_scc1 .LBB75_19
.LBB75_18:                              ;   Parent Loop BB75_17 Depth=1
                                        ; =>  This Inner Loop Header: Depth=2
	global_load_dwordx2 v[24:25], v[14:15], off
	v_mov_b32_e32 v20, s9
	ds_read2_b64 v[16:19], v20 offset0:16 offset1:24
	ds_read2_b64 v[20:23], v20 offset1:8
	s_add_i32 s12, s12, -1
	s_add_i32 s9, s9, -8
	v_add_co_u32_e32 v14, vcc, -8, v14
	v_addc_co_u32_e32 v15, vcc, -1, v15, vcc
	s_cmp_gt_i32 s12, s6
	s_waitcnt vmcnt(0) lgkmcnt(1)
	v_fma_f64 v[12:13], -v[24:25], v[18:19], v[12:13]
	v_fma_f64 v[10:11], -v[24:25], v[16:17], v[10:11]
	s_waitcnt lgkmcnt(0)
	v_fma_f64 v[8:9], -v[24:25], v[22:23], v[8:9]
	v_fma_f64 v[6:7], -v[24:25], v[20:21], v[6:7]
	s_cbranch_scc1 .LBB75_18
.LBB75_19:                              ;   in Loop: Header=BB75_17 Depth=1
	s_mul_i32 s9, s6, 0x48
	v_mov_b32_e32 v14, s9
	s_add_i32 s12, s9, 0xffffffb8
	ds_read_b64 v[18:19], v14
	v_mov_b32_e32 v14, s12
	s_ashr_i32 s13, s6, 31
	ds_read2_b64 v[14:17], v14 offset1:1
	s_mov_b32 s12, s6
	s_lshl_b64 s[12:13], s[12:13], 3
	v_add_co_u32_e32 v26, vcc, s12, v0
	s_lshl_b32 s12, s6, 3
	s_add_i32 s12, s12, s6
	s_waitcnt lgkmcnt(1)
	v_mul_f64 v[12:13], v[12:13], v[18:19]
	s_lshl_b32 s12, s12, 3
	v_mov_b32_e32 v18, s13
	s_waitcnt lgkmcnt(0)
	v_fma_f64 v[10:11], -v[12:13], v[16:17], v[10:11]
	s_add_i32 s13, s12, 0xffffff80
	v_mul_f64 v[10:11], v[10:11], v[14:15]
	v_mov_b32_e32 v14, s13
	v_addc_co_u32_e32 v27, vcc, v1, v18, vcc
	ds_read_b64 v[18:19], v14
	s_add_i32 s13, s9, 0xffffff70
	s_addk_i32 s9, 0xff28
	s_addk_i32 s12, 0xff38
	v_mov_b32_e32 v22, s9
	ds_read2_b64 v[22:25], v22 offset1:1
	v_mov_b32_e32 v14, s13
	s_waitcnt lgkmcnt(1)
	v_fma_f64 v[8:9], -v[12:13], v[18:19], v[8:9]
	v_mov_b32_e32 v18, s12
	ds_read2_b64 v[14:17], v14 offset1:1
	ds_read2_b64 v[18:21], v18 offset1:1
	s_add_i32 s9, s6, -4
	s_addk_i32 s8, 0xff00
	s_cmp_gt_i32 s6, 6
	s_waitcnt lgkmcnt(1)
	v_fma_f64 v[8:9], -v[10:11], v[16:17], v[8:9]
	s_waitcnt lgkmcnt(0)
	v_fma_f64 v[6:7], -v[12:13], v[20:21], v[6:7]
	v_mul_f64 v[8:9], v[8:9], v[14:15]
	v_fma_f64 v[6:7], -v[10:11], v[18:19], v[6:7]
	v_fma_f64 v[6:7], -v[8:9], v[24:25], v[6:7]
	v_mul_f64 v[6:7], v[6:7], v[22:23]
	global_store_dwordx4 v[26:27], v[10:13], off offset:-8
	global_store_dwordx4 v[26:27], v[6:9], off offset:-24
	s_cbranch_scc0 .LBB75_22
; %bb.20:                               ;   in Loop: Header=BB75_17 Depth=1
	s_mov_b32 s6, s9
	s_branch .LBB75_17
.LBB75_21:
	s_mov_b32 s9, s6
.LBB75_22:
	s_cmp_lt_i32 s9, 0
	s_cbranch_scc1 .LBB75_39
; %bb.23:
	s_add_i32 s6, s9, 1
	s_and_b32 s8, s6, 3
	s_cmp_eq_u32 s8, 0
	s_mov_b32 s6, s9
	s_cbranch_scc1 .LBB75_28
; %bb.24:
	s_lshl_b32 s6, s9, 6
	s_lshl_b32 s7, s16, 3
	s_add_i32 s6, s6, s7
	s_ashr_i32 s19, s18, 31
	s_add_i32 s12, s6, -8
	s_lshl_b64 s[6:7], s[18:19], 3
	s_add_u32 s6, s10, s6
	s_addc_u32 s7, s11, s7
	s_add_u32 s6, s6, s4
	s_addc_u32 s7, s7, s5
	;; [unrolled: 2-line block ×3, first 2 shown]
	v_mov_b32_e32 v5, s7
	v_add_co_u32_e32 v4, vcc, s6, v2
	s_mov_b32 s7, 0
	v_addc_co_u32_e32 v5, vcc, v5, v3, vcc
	s_mov_b32 s6, s9
	s_mov_b32 s13, s7
	s_branch .LBB75_26
.LBB75_25:                              ;   in Loop: Header=BB75_26 Depth=1
	s_mul_i32 s15, s6, 0x48
	v_mov_b32_e32 v8, s15
	ds_read_b64 v[8:9], v8
	s_ashr_i32 s21, s6, 31
	s_mov_b32 s20, s6
	s_lshl_b64 s[20:21], s[20:21], 3
	v_mov_b32_e32 v10, s21
	s_waitcnt lgkmcnt(0)
	v_mul_f64 v[6:7], v[6:7], v[8:9]
	v_add_co_u32_e32 v8, vcc, s20, v0
	s_add_i32 s6, s6, -1
	s_add_i32 s13, s13, 1
	s_sub_i32 s12, s12, 64
	v_addc_co_u32_e32 v9, vcc, v1, v10, vcc
	s_cmp_lg_u32 s13, s8
	global_store_dwordx2 v[8:9], v[6:7], off
	s_cbranch_scc0 .LBB75_28
.LBB75_26:                              ; =>This Loop Header: Depth=1
                                        ;     Child Loop BB75_27 Depth 2
	s_lshl_b64 s[20:21], s[6:7], 3
	v_mov_b32_e32 v7, s21
	v_add_co_u32_e32 v6, vcc, s20, v0
	v_addc_co_u32_e32 v7, vcc, v1, v7, vcc
	global_load_dwordx2 v[6:7], v[6:7], off
	v_pk_mov_b32 v[8:9], v[4:5], v[4:5] op_sel:[0,1]
	s_mov_b32 s15, s12
	s_cmp_le_i32 s18, s6
	s_mov_b32 s17, s18
	s_waitcnt vmcnt(0)
	v_mul_f64 v[6:7], v[6:7], s[0:1]
	s_cbranch_scc1 .LBB75_25
.LBB75_27:                              ;   Parent Loop BB75_26 Depth=1
                                        ; =>  This Inner Loop Header: Depth=2
	global_load_dwordx2 v[10:11], v[8:9], off
	v_mov_b32_e32 v12, s15
	ds_read_b64 v[12:13], v12
	s_add_i32 s17, s17, -1
	s_add_i32 s15, s15, -8
	v_add_co_u32_e32 v8, vcc, -8, v8
	v_addc_co_u32_e32 v9, vcc, -1, v9, vcc
	s_cmp_gt_i32 s17, s6
	s_waitcnt vmcnt(0) lgkmcnt(0)
	v_fma_f64 v[6:7], -v[10:11], v[12:13], v[6:7]
	s_cbranch_scc1 .LBB75_27
	s_branch .LBB75_25
.LBB75_28:
	s_cmp_lt_u32 s9, 3
	s_cbranch_scc1 .LBB75_39
; %bb.29:
	s_lshl_b32 s7, s6, 6
	s_lshl_b32 s8, s16, 3
	s_add_i32 s7, s7, s8
	s_ashr_i32 s19, s18, 31
	s_add_i32 s12, s7, -8
	s_lshl_b64 s[8:9], s[18:19], 3
	s_add_u32 s8, s10, s8
	s_addc_u32 s9, s11, s9
	s_add_u32 s8, s8, s4
	s_addc_u32 s9, s9, s5
	;; [unrolled: 2-line block ×3, first 2 shown]
	v_mov_b32_e32 v5, s9
	v_add_co_u32_e32 v4, vcc, s8, v2
	v_addc_co_u32_e32 v5, vcc, v5, v3, vcc
	s_add_i32 s13, s7, 0xffffffb8
	s_add_i32 s15, s7, 0xffffff78
	;; [unrolled: 1-line block ×3, first 2 shown]
	s_mov_b32 s7, 0
	s_branch .LBB75_31
.LBB75_30:                              ;   in Loop: Header=BB75_31 Depth=1
	s_add_i32 s8, s9, 0xffffffb8
	v_mov_b32_e32 v10, s8
	ds_read_b64 v[10:11], v10
	s_add_i32 s8, s6, -4
	s_addk_i32 s12, 0xff00
	s_addk_i32 s13, 0xff00
	;; [unrolled: 1-line block ×4, first 2 shown]
	s_waitcnt lgkmcnt(0)
	v_mul_f64 v[8:9], v[8:9], v[10:11]
	s_cmp_lt_i32 s6, 4
	s_mov_b32 s6, s8
	global_store_dwordx2 v[6:7], v[8:9], off offset:-24
	s_cbranch_scc1 .LBB75_39
.LBB75_31:                              ; =>This Loop Header: Depth=1
                                        ;     Child Loop BB75_32 Depth 2
                                        ;     Child Loop BB75_34 Depth 2
	;; [unrolled: 1-line block ×4, first 2 shown]
	s_lshl_b64 s[8:9], s[6:7], 3
	v_mov_b32_e32 v7, s9
	v_add_co_u32_e32 v6, vcc, s8, v0
	v_addc_co_u32_e32 v7, vcc, v1, v7, vcc
	global_load_dwordx2 v[8:9], v[6:7], off
	v_pk_mov_b32 v[6:7], v[4:5], v[4:5] op_sel:[0,1]
	s_mov_b32 s8, s12
	s_cmp_le_i32 s18, s6
	s_mov_b32 s9, s18
	s_waitcnt vmcnt(0)
	v_mul_f64 v[8:9], v[8:9], s[0:1]
	s_cbranch_scc1 .LBB75_33
.LBB75_32:                              ;   Parent Loop BB75_31 Depth=1
                                        ; =>  This Inner Loop Header: Depth=2
	global_load_dwordx2 v[10:11], v[6:7], off
	v_mov_b32_e32 v12, s8
	ds_read_b64 v[12:13], v12
	s_add_i32 s9, s9, -1
	s_add_i32 s8, s8, -8
	v_add_co_u32_e32 v6, vcc, -8, v6
	v_addc_co_u32_e32 v7, vcc, -1, v7, vcc
	s_cmp_gt_i32 s9, s6
	s_waitcnt vmcnt(0) lgkmcnt(0)
	v_fma_f64 v[8:9], -v[10:11], v[12:13], v[8:9]
	s_cbranch_scc1 .LBB75_32
.LBB75_33:                              ;   in Loop: Header=BB75_31 Depth=1
	s_add_i32 s8, s6, -1
	s_mov_b32 s9, s7
	s_lshl_b64 s[8:9], s[8:9], 3
	v_mov_b32_e32 v7, s9
	v_add_co_u32_e32 v6, vcc, s8, v0
	v_addc_co_u32_e32 v7, vcc, v1, v7, vcc
	global_load_dwordx2 v[12:13], v[6:7], off
	s_mul_i32 s19, s6, 0x48
	v_mov_b32_e32 v6, s19
	ds_read_b64 v[14:15], v6
	s_ashr_i32 s21, s6, 31
	s_mov_b32 s20, s6
	s_lshl_b64 s[20:21], s[20:21], 3
	v_mov_b32_e32 v7, s21
	v_add_co_u32_e32 v6, vcc, s20, v0
	v_addc_co_u32_e32 v7, vcc, v1, v7, vcc
	s_waitcnt lgkmcnt(0)
	v_mul_f64 v[8:9], v[8:9], v[14:15]
	v_pk_mov_b32 v[10:11], v[4:5], v[4:5] op_sel:[0,1]
	s_mov_b32 s8, s13
	s_cmp_lt_i32 s18, s6
	global_store_dwordx2 v[6:7], v[8:9], off
	s_mov_b32 s9, s16
	s_waitcnt vmcnt(1)
	v_mul_f64 v[8:9], v[12:13], s[0:1]
	s_cbranch_scc1 .LBB75_35
.LBB75_34:                              ;   Parent Loop BB75_31 Depth=1
                                        ; =>  This Inner Loop Header: Depth=2
	global_load_dwordx2 v[12:13], v[10:11], off
	v_mov_b32_e32 v14, s8
	ds_read_b64 v[14:15], v14
	s_add_i32 s9, s9, -1
	s_add_i32 s8, s8, -8
	v_add_co_u32_e32 v10, vcc, -8, v10
	v_addc_co_u32_e32 v11, vcc, -1, v11, vcc
	s_cmp_gt_i32 s9, s6
	s_waitcnt vmcnt(0) lgkmcnt(0)
	v_fma_f64 v[8:9], -v[12:13], v[14:15], v[8:9]
	s_cbranch_scc1 .LBB75_34
.LBB75_35:                              ;   in Loop: Header=BB75_31 Depth=1
	s_add_i32 s8, s6, -2
	s_mov_b32 s9, s7
	s_lshl_b64 s[20:21], s[8:9], 3
	v_mov_b32_e32 v11, s21
	v_add_co_u32_e32 v10, vcc, s20, v0
	v_addc_co_u32_e32 v11, vcc, v1, v11, vcc
	global_load_dwordx2 v[12:13], v[10:11], off
	s_addk_i32 s19, 0xffb8
	v_mov_b32_e32 v10, s19
	ds_read_b64 v[14:15], v10
	v_pk_mov_b32 v[10:11], v[4:5], v[4:5] op_sel:[0,1]
	s_mov_b32 s9, s15
	s_cmp_le_i32 s18, s8
	s_mov_b32 s20, s18
	s_waitcnt lgkmcnt(0)
	v_mul_f64 v[8:9], v[8:9], v[14:15]
	global_store_dwordx2 v[6:7], v[8:9], off offset:-8
	s_waitcnt vmcnt(1)
	v_mul_f64 v[8:9], v[12:13], s[0:1]
	s_cbranch_scc1 .LBB75_37
.LBB75_36:                              ;   Parent Loop BB75_31 Depth=1
                                        ; =>  This Inner Loop Header: Depth=2
	global_load_dwordx2 v[12:13], v[10:11], off
	v_mov_b32_e32 v14, s9
	ds_read_b64 v[14:15], v14
	s_add_i32 s20, s20, -1
	s_add_i32 s9, s9, -8
	v_add_co_u32_e32 v10, vcc, -8, v10
	v_addc_co_u32_e32 v11, vcc, -1, v11, vcc
	s_cmp_gt_i32 s20, s8
	s_waitcnt vmcnt(0) lgkmcnt(0)
	v_fma_f64 v[8:9], -v[12:13], v[14:15], v[8:9]
	s_cbranch_scc1 .LBB75_36
.LBB75_37:                              ;   in Loop: Header=BB75_31 Depth=1
	s_add_i32 s8, s6, -3
	s_mov_b32 s9, s7
	s_lshl_b64 s[20:21], s[8:9], 3
	v_mov_b32_e32 v11, s21
	v_add_co_u32_e32 v10, vcc, s20, v0
	v_addc_co_u32_e32 v11, vcc, v1, v11, vcc
	global_load_dwordx2 v[12:13], v[10:11], off
	s_add_i32 s9, s19, 0xffffffb8
	v_mov_b32_e32 v10, s9
	ds_read_b64 v[14:15], v10
	v_pk_mov_b32 v[10:11], v[4:5], v[4:5] op_sel:[0,1]
	s_mov_b32 s19, s17
	s_cmp_le_i32 s18, s8
	s_mov_b32 s20, s18
	s_waitcnt lgkmcnt(0)
	v_mul_f64 v[8:9], v[8:9], v[14:15]
	global_store_dwordx2 v[6:7], v[8:9], off offset:-16
	s_waitcnt vmcnt(1)
	v_mul_f64 v[8:9], v[12:13], s[0:1]
	s_cbranch_scc1 .LBB75_30
.LBB75_38:                              ;   Parent Loop BB75_31 Depth=1
                                        ; =>  This Inner Loop Header: Depth=2
	global_load_dwordx2 v[12:13], v[10:11], off
	v_mov_b32_e32 v14, s19
	ds_read_b64 v[14:15], v14
	s_add_i32 s20, s20, -1
	s_add_i32 s19, s19, -8
	v_add_co_u32_e32 v10, vcc, -8, v10
	v_addc_co_u32_e32 v11, vcc, -1, v11, vcc
	s_cmp_gt_i32 s20, s8
	s_waitcnt vmcnt(0) lgkmcnt(0)
	v_fma_f64 v[8:9], -v[12:13], v[14:15], v[8:9]
	s_cbranch_scc1 .LBB75_38
	s_branch .LBB75_30
.LBB75_39:
	s_mov_b64 s[6:7], 0
.LBB75_40:
	s_and_b64 vcc, exec, s[6:7]
	s_cbranch_vccz .LBB75_62
; %bb.41:
	s_cmp_gt_i32 s14, 7
	s_cbranch_scc0 .LBB75_43
; %bb.42:
	global_load_dwordx4 v[4:7], v[0:1], off
	global_load_dwordx4 v[8:11], v[0:1], off offset:16
	global_load_dwordx4 v[12:15], v[0:1], off offset:32
	global_load_dwordx4 v[16:19], v[0:1], off offset:48
	v_mov_b32_e32 v64, 0
	ds_read_b128 v[20:23], v64
	ds_read_b128 v[24:27], v64 offset:16
	ds_read2_b64 v[28:31], v64 offset0:9 offset1:10
	ds_read2_b64 v[32:35], v64 offset0:11 offset1:12
	ds_read_b128 v[36:39], v64 offset:144
	ds_read2_b64 v[40:43], v64 offset0:13 offset1:14
	ds_read2_b64 v[44:47], v64 offset0:27 offset1:28
	;; [unrolled: 1-line block ×3, first 2 shown]
	s_mov_b32 s6, 8
	s_waitcnt vmcnt(3)
	v_mul_f64 v[4:5], v[4:5], s[0:1]
	s_waitcnt lgkmcnt(7)
	v_mul_f64 v[4:5], v[4:5], v[20:21]
	v_mul_f64 v[52:53], v[4:5], v[22:23]
	ds_read_b128 v[20:23], v64 offset:32
	v_fma_f64 v[6:7], v[6:7], s[0:1], -v[52:53]
	ds_read_b128 v[52:55], v64 offset:48
	s_waitcnt lgkmcnt(8)
	v_mul_f64 v[24:25], v[4:5], v[24:25]
	v_mul_f64 v[26:27], v[4:5], v[26:27]
	s_waitcnt lgkmcnt(1)
	v_mul_f64 v[20:21], v[4:5], v[20:21]
	v_mul_f64 v[22:23], v[4:5], v[22:23]
	s_waitcnt vmcnt(2)
	v_fma_f64 v[24:25], v[8:9], s[0:1], -v[24:25]
	s_waitcnt vmcnt(1)
	v_fma_f64 v[58:59], v[12:13], s[0:1], -v[20:21]
	v_fma_f64 v[60:61], v[14:15], s[0:1], -v[22:23]
	s_waitcnt lgkmcnt(0)
	v_mul_f64 v[20:21], v[4:5], v[52:53]
	v_mul_f64 v[22:23], v[4:5], v[54:55]
	;; [unrolled: 1-line block ×3, first 2 shown]
	v_fma_f64 v[56:57], v[10:11], s[0:1], -v[26:27]
	ds_read_b128 v[8:11], v64 offset:160
	ds_read_b128 v[12:15], v64 offset:176
	s_waitcnt vmcnt(0)
	v_fma_f64 v[52:53], v[16:17], s[0:1], -v[20:21]
	v_fma_f64 v[54:55], v[18:19], s[0:1], -v[22:23]
	ds_read_b128 v[16:19], v64 offset:288
	ds_read_b128 v[20:23], v64 offset:304
	v_fma_f64 v[62:63], -v[6:7], v[30:31], v[24:25]
	ds_read2_b64 v[24:27], v64 offset0:15 offset1:31
	v_fma_f64 v[56:57], -v[6:7], v[32:33], v[56:57]
	v_mul_f64 v[36:37], v[62:63], v[36:37]
	v_fma_f64 v[58:59], -v[6:7], v[34:35], v[58:59]
	v_fma_f64 v[38:39], -v[36:37], v[38:39], v[56:57]
	;; [unrolled: 1-line block ×3, first 2 shown]
	ds_read2_b64 v[28:31], v64 offset0:45 offset1:46
	ds_read_b128 v[32:35], v64 offset:432
	s_waitcnt lgkmcnt(6)
	v_fma_f64 v[8:9], -v[36:37], v[8:9], v[58:59]
	v_mul_f64 v[38:39], v[38:39], v[44:45]
	v_fma_f64 v[42:43], -v[6:7], v[42:43], v[52:53]
	global_store_dwordx4 v[0:1], v[4:7], off
	s_waitcnt lgkmcnt(2)
	v_fma_f64 v[24:25], -v[6:7], v[24:25], v[54:55]
	ds_read2_b64 v[4:7], v64 offset0:47 offset1:63
	v_fma_f64 v[10:11], -v[36:37], v[10:11], v[40:41]
	v_fma_f64 v[8:9], -v[38:39], v[46:47], v[8:9]
	;; [unrolled: 1-line block ×4, first 2 shown]
	v_mul_f64 v[8:9], v[8:9], v[16:17]
	v_fma_f64 v[14:15], -v[36:37], v[14:15], v[24:25]
	v_fma_f64 v[12:13], -v[38:39], v[50:51], v[12:13]
	;; [unrolled: 1-line block ×5, first 2 shown]
	s_waitcnt lgkmcnt(2)
	v_mul_f64 v[10:11], v[10:11], v[28:29]
	v_fma_f64 v[14:15], -v[8:9], v[22:23], v[14:15]
	global_store_dwordx4 v[0:1], v[8:11], off offset:32
	global_store_dwordx4 v[0:1], v[36:39], off offset:16
	v_fma_f64 v[8:9], -v[10:11], v[30:31], v[12:13]
	s_waitcnt lgkmcnt(0)
	v_fma_f64 v[10:11], -v[10:11], v[4:5], v[14:15]
	v_mul_f64 v[4:5], v[8:9], v[32:33]
	v_fma_f64 v[8:9], -v[4:5], v[34:35], v[10:11]
	v_mul_f64 v[6:7], v[8:9], v[6:7]
	global_store_dwordx4 v[0:1], v[4:7], off offset:48
	s_cmp_lt_i32 s6, s16
	s_cbranch_scc1 .LBB75_44
	s_branch .LBB75_62
.LBB75_43:
	s_mov_b32 s6, 0
	s_cmp_lt_i32 s6, s16
	s_cbranch_scc0 .LBB75_62
.LBB75_44:
	s_or_b32 s7, s6, 3
	s_cmp_ge_u32 s7, s16
	s_cbranch_scc1 .LBB75_50
; %bb.45:
	s_lshl_b32 s9, s6, 3
	s_add_u32 s7, s10, s4
	s_addc_u32 s8, s11, s5
	s_add_u32 s7, s7, s2
	s_addc_u32 s8, s8, s3
	v_mov_b32_e32 v4, s8
	v_add_co_u32_e32 v5, vcc, s7, v2
	v_addc_co_u32_e32 v6, vcc, v4, v3, vcc
	v_add_co_u32_e32 v4, vcc, 16, v5
	v_addc_co_u32_e32 v5, vcc, 0, v6, vcc
	s_mov_b32 s7, 0
.LBB75_46:                              ; =>This Loop Header: Depth=1
                                        ;     Child Loop BB75_47 Depth 2
	s_lshl_b64 s[12:13], s[6:7], 3
	v_mov_b32_e32 v7, s13
	v_add_co_u32_e32 v6, vcc, s12, v0
	v_addc_co_u32_e32 v7, vcc, v1, v7, vcc
	global_load_dwordx4 v[8:11], v[6:7], off
	global_load_dwordx4 v[18:21], v[6:7], off offset:16
	v_pk_mov_b32 v[16:17], v[4:5], v[4:5] op_sel:[0,1]
	s_mov_b32 s8, s6
	s_cmp_eq_u32 s6, 0
	s_mov_b32 s12, s9
	s_waitcnt vmcnt(1)
	v_mul_f64 v[12:13], v[8:9], s[0:1]
	v_mul_f64 v[14:15], v[10:11], s[0:1]
	s_waitcnt vmcnt(0)
	v_mul_f64 v[10:11], v[18:19], s[0:1]
	v_mul_f64 v[8:9], v[20:21], s[0:1]
	s_cbranch_scc1 .LBB75_48
.LBB75_47:                              ;   Parent Loop BB75_46 Depth=1
                                        ; =>  This Inner Loop Header: Depth=2
	global_load_dwordx4 v[18:21], v[16:17], off offset:-16
	global_load_dwordx4 v[22:25], v[16:17], off
	v_mov_b32_e32 v54, s12
	ds_read_b128 v[26:29], v54
	ds_read_b128 v[30:33], v54 offset:16
	ds_read_b128 v[34:37], v54 offset:64
	;; [unrolled: 1-line block ×7, first 2 shown]
	s_addk_i32 s12, 0x100
	s_add_i32 s8, s8, -4
	v_add_co_u32_e32 v16, vcc, 32, v16
	v_addc_co_u32_e32 v17, vcc, 0, v17, vcc
	s_cmp_lg_u32 s8, 0
	s_waitcnt vmcnt(1) lgkmcnt(7)
	v_fma_f64 v[12:13], -v[18:19], v[26:27], v[12:13]
	v_fma_f64 v[14:15], -v[18:19], v[28:29], v[14:15]
	s_waitcnt lgkmcnt(6)
	v_fma_f64 v[10:11], -v[18:19], v[30:31], v[10:11]
	v_fma_f64 v[8:9], -v[18:19], v[32:33], v[8:9]
	s_waitcnt lgkmcnt(5)
	;; [unrolled: 3-line block ×3, first 2 shown]
	v_fma_f64 v[10:11], -v[20:21], v[38:39], v[10:11]
	v_fma_f64 v[8:9], -v[20:21], v[40:41], v[8:9]
	s_waitcnt vmcnt(0) lgkmcnt(3)
	v_fma_f64 v[12:13], -v[22:23], v[42:43], v[12:13]
	v_fma_f64 v[14:15], -v[22:23], v[44:45], v[14:15]
	s_waitcnt lgkmcnt(2)
	v_fma_f64 v[10:11], -v[22:23], v[46:47], v[10:11]
	v_fma_f64 v[8:9], -v[22:23], v[48:49], v[8:9]
	s_waitcnt lgkmcnt(1)
	;; [unrolled: 3-line block ×3, first 2 shown]
	v_fma_f64 v[10:11], -v[24:25], v[54:55], v[10:11]
	v_fma_f64 v[8:9], -v[24:25], v[56:57], v[8:9]
	s_cbranch_scc1 .LBB75_47
.LBB75_48:                              ;   in Loop: Header=BB75_46 Depth=1
	s_mul_i32 s8, s6, 0x48
	v_mov_b32_e32 v32, s8
	ds_read_b128 v[16:19], v32
	s_lshl_b32 s8, s6, 3
	s_add_i32 s8, s6, s8
	s_lshl_b32 s8, s8, 3
	ds_read2_b64 v[20:23], v32 offset0:9 offset1:10
	ds_read_b128 v[24:27], v32 offset:16
	ds_read_b128 v[28:31], v32 offset:144
	s_waitcnt lgkmcnt(3)
	v_mul_f64 v[12:13], v[12:13], v[16:17]
	v_mov_b32_e32 v16, s8
	ds_read_b64 v[16:17], v16 offset:88
	v_fma_f64 v[14:15], -v[12:13], v[18:19], v[14:15]
	ds_read_b64 v[18:19], v32 offset:216
	s_waitcnt lgkmcnt(4)
	v_mul_f64 v[14:15], v[14:15], v[20:21]
	s_waitcnt lgkmcnt(3)
	v_fma_f64 v[10:11], -v[12:13], v[24:25], v[10:11]
	v_fma_f64 v[10:11], -v[14:15], v[22:23], v[10:11]
	;; [unrolled: 1-line block ×3, first 2 shown]
	s_waitcnt lgkmcnt(2)
	v_mul_f64 v[10:11], v[10:11], v[28:29]
	s_waitcnt lgkmcnt(1)
	v_fma_f64 v[8:9], -v[14:15], v[16:17], v[8:9]
	v_fma_f64 v[8:9], -v[10:11], v[30:31], v[8:9]
	s_add_i32 s8, s6, 4
	s_add_i32 s6, s6, 7
	s_add_i32 s9, s9, 32
	global_store_dwordx4 v[6:7], v[12:15], off
	s_cmp_lt_i32 s6, s16
	s_waitcnt lgkmcnt(0)
	v_mul_f64 v[12:13], v[8:9], v[18:19]
	global_store_dwordx4 v[6:7], v[10:13], off offset:16
	s_cbranch_scc0 .LBB75_51
; %bb.49:                               ;   in Loop: Header=BB75_46 Depth=1
	s_mov_b32 s6, s8
	s_branch .LBB75_46
.LBB75_50:
	s_mov_b32 s8, s6
.LBB75_51:
	s_cmp_ge_i32 s8, s16
	s_cbranch_scc1 .LBB75_62
; %bb.52:
	s_add_i32 s6, s8, -1
	s_lshl_b32 s7, s8, 3
	s_add_u32 s4, s10, s4
	s_addc_u32 s5, s11, s5
	s_add_u32 s2, s4, s2
	s_addc_u32 s3, s5, s3
	v_mov_b32_e32 v4, s3
	v_add_co_u32_e32 v10, vcc, s2, v2
	v_addc_co_u32_e32 v11, vcc, v4, v3, vcc
	v_add_co_u32_e32 v2, vcc, 56, v10
	v_addc_co_u32_e32 v3, vcc, 0, v11, vcc
	s_mov_b32 s3, 0
	s_mov_b32 s5, s8
	;; [unrolled: 1-line block ×3, first 2 shown]
	s_branch .LBB75_54
.LBB75_53:                              ;   in Loop: Header=BB75_54 Depth=1
	s_mul_i32 s2, s8, 0x48
	v_mov_b32_e32 v8, s2
	ds_read_b64 v[8:9], v8
	s_add_i32 s8, s8, 1
	s_add_i32 s4, s4, 1
	;; [unrolled: 1-line block ×3, first 2 shown]
	v_add_u16_e64 v12, s5, 1
	s_waitcnt lgkmcnt(0)
	v_mul_f64 v[6:7], v[6:7], v[8:9]
	s_cmp_ge_i32 s8, s16
	v_readfirstlane_b32 s5, v12
	global_store_dwordx2 v[4:5], v[6:7], off
	s_cbranch_scc1 .LBB75_62
.LBB75_54:                              ; =>This Loop Header: Depth=1
                                        ;     Child Loop BB75_57 Depth 2
                                        ;     Child Loop BB75_61 Depth 2
	s_ashr_i32 s9, s8, 31
	s_lshl_b64 s[10:11], s[8:9], 3
	v_mov_b32_e32 v5, s11
	v_add_co_u32_e32 v4, vcc, s10, v0
	v_addc_co_u32_e32 v5, vcc, v1, v5, vcc
	global_load_dwordx2 v[6:7], v[4:5], off
	s_cmp_eq_u32 s8, 0
	s_waitcnt vmcnt(0)
	v_mul_f64 v[6:7], v[6:7], s[0:1]
	s_cbranch_scc1 .LBB75_53
; %bb.55:                               ;   in Loop: Header=BB75_54 Depth=1
	s_add_i32 s2, s6, s4
	s_cmp_lt_u32 s2, 7
	s_cbranch_scc1 .LBB75_59
; %bb.56:                               ;   in Loop: Header=BB75_54 Depth=1
	s_and_b32 s2, s8, -8
	s_mov_b32 s9, 0
	v_pk_mov_b32 v[8:9], v[2:3], v[2:3] op_sel:[0,1]
	s_mov_b32 s10, s7
.LBB75_57:                              ;   Parent Loop BB75_54 Depth=1
                                        ; =>  This Inner Loop Header: Depth=2
	global_load_dwordx4 v[12:15], v[8:9], off offset:-56
	global_load_dwordx4 v[16:19], v[8:9], off offset:-40
	;; [unrolled: 1-line block ×4, first 2 shown]
	v_mov_b32_e32 v40, s10
	ds_read2_b64 v[28:31], v40 offset1:8
	ds_read2_b64 v[32:35], v40 offset0:16 offset1:24
	ds_read2_b64 v[36:39], v40 offset0:32 offset1:40
	;; [unrolled: 1-line block ×3, first 2 shown]
	s_add_i32 s9, s9, 8
	s_addk_i32 s10, 0x200
	v_add_co_u32_e32 v8, vcc, 64, v8
	v_addc_co_u32_e32 v9, vcc, 0, v9, vcc
	s_cmp_lg_u32 s2, s9
	s_waitcnt vmcnt(3) lgkmcnt(3)
	v_fma_f64 v[6:7], -v[12:13], v[28:29], v[6:7]
	v_fma_f64 v[6:7], -v[14:15], v[30:31], v[6:7]
	s_waitcnt vmcnt(2) lgkmcnt(2)
	v_fma_f64 v[6:7], -v[16:17], v[32:33], v[6:7]
	v_fma_f64 v[6:7], -v[18:19], v[34:35], v[6:7]
	;; [unrolled: 3-line block ×4, first 2 shown]
	s_cbranch_scc1 .LBB75_57
; %bb.58:                               ;   in Loop: Header=BB75_54 Depth=1
	s_and_b32 s9, s8, 7
	s_cmp_eq_u32 s9, 0
	s_cbranch_scc0 .LBB75_60
	s_branch .LBB75_53
.LBB75_59:                              ;   in Loop: Header=BB75_54 Depth=1
	s_mov_b32 s2, 0
	s_and_b32 s9, s8, 7
	s_cmp_eq_u32 s9, 0
	s_cbranch_scc1 .LBB75_53
.LBB75_60:                              ;   in Loop: Header=BB75_54 Depth=1
	s_lshl_b64 s[12:13], s[2:3], 3
	v_mov_b32_e32 v9, s13
	v_add_co_u32_e32 v8, vcc, s12, v10
	s_and_b32 s9, s5, 7
	s_lshl_b32 s10, s2, 6
	v_addc_co_u32_e32 v9, vcc, v11, v9, vcc
.LBB75_61:                              ;   Parent Loop BB75_54 Depth=1
                                        ; =>  This Inner Loop Header: Depth=2
	global_load_dwordx2 v[12:13], v[8:9], off
	s_add_i32 s2, s7, s10
	v_mov_b32_e32 v14, s2
	ds_read_b64 v[14:15], v14
	s_add_i32 s10, s10, 64
	v_add_co_u32_e32 v8, vcc, 8, v8
	s_add_i32 s9, s9, -1
	v_addc_co_u32_e32 v9, vcc, 0, v9, vcc
	s_cmp_lg_u32 s9, 0
	s_waitcnt vmcnt(0) lgkmcnt(0)
	v_fma_f64 v[6:7], -v[12:13], v[14:15], v[6:7]
	s_cbranch_scc1 .LBB75_61
	s_branch .LBB75_53
.LBB75_62:
	s_endpgm
	.section	.rodata,"a",@progbits
	.p2align	6, 0x0
	.amdhsa_kernel _ZL30rocblas_trsm_small_left_deviceILi8ELi8ELb1EddPKdPdEv13rocblas_fill_18rocblas_operation_17rocblas_diagonal_iiT3_T4_lilT5_lili
		.amdhsa_group_segment_fixed_size 512
		.amdhsa_private_segment_fixed_size 0
		.amdhsa_kernarg_size 360
		.amdhsa_user_sgpr_count 6
		.amdhsa_user_sgpr_private_segment_buffer 1
		.amdhsa_user_sgpr_dispatch_ptr 0
		.amdhsa_user_sgpr_queue_ptr 0
		.amdhsa_user_sgpr_kernarg_segment_ptr 1
		.amdhsa_user_sgpr_dispatch_id 0
		.amdhsa_user_sgpr_flat_scratch_init 0
		.amdhsa_user_sgpr_kernarg_preload_length 0
		.amdhsa_user_sgpr_kernarg_preload_offset 0
		.amdhsa_user_sgpr_private_segment_size 0
		.amdhsa_uses_dynamic_stack 0
		.amdhsa_system_sgpr_private_segment_wavefront_offset 0
		.amdhsa_system_sgpr_workgroup_id_x 1
		.amdhsa_system_sgpr_workgroup_id_y 0
		.amdhsa_system_sgpr_workgroup_id_z 1
		.amdhsa_system_sgpr_workgroup_info 0
		.amdhsa_system_vgpr_workitem_id 0
		.amdhsa_next_free_vgpr 65
		.amdhsa_next_free_sgpr 37
		.amdhsa_accum_offset 68
		.amdhsa_reserve_vcc 1
		.amdhsa_reserve_flat_scratch 0
		.amdhsa_float_round_mode_32 0
		.amdhsa_float_round_mode_16_64 0
		.amdhsa_float_denorm_mode_32 3
		.amdhsa_float_denorm_mode_16_64 3
		.amdhsa_dx10_clamp 1
		.amdhsa_ieee_mode 1
		.amdhsa_fp16_overflow 0
		.amdhsa_tg_split 0
		.amdhsa_exception_fp_ieee_invalid_op 0
		.amdhsa_exception_fp_denorm_src 0
		.amdhsa_exception_fp_ieee_div_zero 0
		.amdhsa_exception_fp_ieee_overflow 0
		.amdhsa_exception_fp_ieee_underflow 0
		.amdhsa_exception_fp_ieee_inexact 0
		.amdhsa_exception_int_div_zero 0
	.end_amdhsa_kernel
	.section	.text._ZL30rocblas_trsm_small_left_deviceILi8ELi8ELb1EddPKdPdEv13rocblas_fill_18rocblas_operation_17rocblas_diagonal_iiT3_T4_lilT5_lili,"axG",@progbits,_ZL30rocblas_trsm_small_left_deviceILi8ELi8ELb1EddPKdPdEv13rocblas_fill_18rocblas_operation_17rocblas_diagonal_iiT3_T4_lilT5_lili,comdat
.Lfunc_end75:
	.size	_ZL30rocblas_trsm_small_left_deviceILi8ELi8ELb1EddPKdPdEv13rocblas_fill_18rocblas_operation_17rocblas_diagonal_iiT3_T4_lilT5_lili, .Lfunc_end75-_ZL30rocblas_trsm_small_left_deviceILi8ELi8ELb1EddPKdPdEv13rocblas_fill_18rocblas_operation_17rocblas_diagonal_iiT3_T4_lilT5_lili
                                        ; -- End function
	.section	.AMDGPU.csdata,"",@progbits
; Kernel info:
; codeLenInByte = 5244
; NumSgprs: 41
; NumVgprs: 65
; NumAgprs: 0
; TotalNumVgprs: 65
; ScratchSize: 0
; MemoryBound: 0
; FloatMode: 240
; IeeeMode: 1
; LDSByteSize: 512 bytes/workgroup (compile time only)
; SGPRBlocks: 5
; VGPRBlocks: 8
; NumSGPRsForWavesPerEU: 41
; NumVGPRsForWavesPerEU: 65
; AccumOffset: 68
; Occupancy: 7
; WaveLimiterHint : 0
; COMPUTE_PGM_RSRC2:SCRATCH_EN: 0
; COMPUTE_PGM_RSRC2:USER_SGPR: 6
; COMPUTE_PGM_RSRC2:TRAP_HANDLER: 0
; COMPUTE_PGM_RSRC2:TGID_X_EN: 1
; COMPUTE_PGM_RSRC2:TGID_Y_EN: 0
; COMPUTE_PGM_RSRC2:TGID_Z_EN: 1
; COMPUTE_PGM_RSRC2:TIDIG_COMP_CNT: 0
; COMPUTE_PGM_RSRC3_GFX90A:ACCUM_OFFSET: 16
; COMPUTE_PGM_RSRC3_GFX90A:TG_SPLIT: 0
	.section	.text._ZL31rocblas_trsm_small_right_deviceIddPKdPdLi8EEv13rocblas_fill_18rocblas_operation_17rocblas_diagonal_iiT0_T1_lilT2_lili,"axG",@progbits,_ZL31rocblas_trsm_small_right_deviceIddPKdPdLi8EEv13rocblas_fill_18rocblas_operation_17rocblas_diagonal_iiT0_T1_lilT2_lili,comdat
	.globl	_ZL31rocblas_trsm_small_right_deviceIddPKdPdLi8EEv13rocblas_fill_18rocblas_operation_17rocblas_diagonal_iiT0_T1_lilT2_lili ; -- Begin function _ZL31rocblas_trsm_small_right_deviceIddPKdPdLi8EEv13rocblas_fill_18rocblas_operation_17rocblas_diagonal_iiT0_T1_lilT2_lili
	.p2align	8
	.type	_ZL31rocblas_trsm_small_right_deviceIddPKdPdLi8EEv13rocblas_fill_18rocblas_operation_17rocblas_diagonal_iiT0_T1_lilT2_lili,@function
_ZL31rocblas_trsm_small_right_deviceIddPKdPdLi8EEv13rocblas_fill_18rocblas_operation_17rocblas_diagonal_iiT0_T1_lilT2_lili: ; @_ZL31rocblas_trsm_small_right_deviceIddPKdPdLi8EEv13rocblas_fill_18rocblas_operation_17rocblas_diagonal_iiT0_T1_lilT2_lili
; %bb.0:
	s_load_dwordx4 s[8:11], s[4:5], 0x0
	s_load_dword s30, s[4:5], 0x10
	s_load_dwordx4 s[12:15], s[4:5], 0x18
	s_load_dwordx2 s[20:21], s[4:5], 0x28
	s_load_dwordx4 s[0:3], s[4:5], 0x38
	s_load_dwordx2 s[16:17], s[4:5], 0x48
	s_waitcnt lgkmcnt(0)
	s_min_i32 s31, s30, 8
	s_mov_b32 s34, 0
	s_add_i32 s33, s31, -1
	v_cmp_gt_i32_e32 vcc, s31, v0
	s_and_saveexec_b64 s[18:19], vcc
	s_cbranch_execz .LBB76_9
; %bb.1:
	s_load_dword s22, s[4:5], 0x30
	s_mul_i32 s1, s7, s1
	s_mul_hi_u32 s24, s7, s0
	s_add_i32 s1, s24, s1
	s_mul_i32 s0, s7, s0
	s_waitcnt lgkmcnt(0)
	s_ashr_i32 s23, s22, 31
	s_cmp_lt_u32 s33, 3
	s_cbranch_scc1 .LBB76_4
; %bb.2:
	s_lshl_b64 s[24:25], s[0:1], 3
	s_add_u32 s26, s14, s24
	s_addc_u32 s27, s15, s25
	s_lshl_b64 s[24:25], s[20:21], 3
	s_add_u32 s24, s26, s24
	s_addc_u32 s25, s27, s25
	v_lshlrev_b32_e32 v1, 3, v0
	v_mov_b32_e32 v3, s25
	v_add_co_u32_e32 v2, vcc, s24, v1
	s_mul_hi_i32 s37, s22, 24
	s_lshl_b64 s[24:25], s[22:23], 5
	s_lshl_b64 s[26:27], s[22:23], 4
	;; [unrolled: 1-line block ×3, first 2 shown]
	v_addc_co_u32_e32 v3, vcc, 0, v3, vcc
	s_and_b32 s34, s31, -4
	s_mul_i32 s35, s22, 24
	s_mov_b32 s36, 0
	v_mov_b32_e32 v4, s29
	v_mov_b32_e32 v5, s27
	;; [unrolled: 1-line block ×4, first 2 shown]
.LBB76_3:                               ; =>This Inner Loop Header: Depth=1
	v_add_co_u32_e32 v10, vcc, s28, v2
	v_addc_co_u32_e32 v11, vcc, v3, v4, vcc
	v_add_co_u32_e32 v12, vcc, s26, v2
	v_addc_co_u32_e32 v13, vcc, v3, v5, vcc
	v_add_co_u32_e32 v14, vcc, s35, v2
	global_load_dwordx2 v[8:9], v[2:3], off
	v_addc_co_u32_e32 v15, vcc, v3, v6, vcc
	global_load_dwordx2 v[16:17], v[10:11], off
	global_load_dwordx2 v[18:19], v[12:13], off
	;; [unrolled: 1-line block ×3, first 2 shown]
	s_add_i32 s36, s36, 4
	v_add_co_u32_e32 v2, vcc, s24, v2
	v_addc_co_u32_e32 v3, vcc, v3, v7, vcc
	s_cmp_eq_u32 s34, s36
	s_waitcnt vmcnt(2)
	ds_write2_b64 v1, v[8:9], v[16:17] offset1:8
	s_waitcnt vmcnt(0)
	ds_write2_b64 v1, v[18:19], v[20:21] offset0:16 offset1:24
	v_add_u32_e32 v1, 0x100, v1
	s_cbranch_scc0 .LBB76_3
.LBB76_4:
	s_and_b32 s24, s31, 3
	s_cmp_eq_u32 s24, 0
	s_cbranch_scc1 .LBB76_7
; %bb.5:
	s_mul_i32 s25, s23, s34
	s_mul_hi_u32 s26, s22, s34
	s_add_i32 s27, s26, s25
	s_mul_i32 s26, s22, s34
	s_lshl_b64 s[0:1], s[0:1], 3
	s_lshl_b64 s[26:27], s[26:27], 3
	s_add_u32 s25, s0, s26
	s_addc_u32 s26, s1, s27
	s_lshl_b64 s[0:1], s[20:21], 3
	s_add_u32 s0, s25, s0
	s_addc_u32 s1, s26, s1
	s_add_u32 s0, s14, s0
	v_lshlrev_b32_e32 v2, 3, v0
	s_addc_u32 s1, s15, s1
	v_lshl_or_b32 v1, s34, 6, v2
	v_mov_b32_e32 v3, s1
	v_add_co_u32_e32 v2, vcc, s0, v2
	s_lshl_b64 s[0:1], s[22:23], 3
	v_addc_co_u32_e32 v3, vcc, 0, v3, vcc
	v_mov_b32_e32 v4, s1
.LBB76_6:                               ; =>This Inner Loop Header: Depth=1
	global_load_dwordx2 v[6:7], v[2:3], off
	v_add_co_u32_e32 v2, vcc, s0, v2
	s_add_i32 s24, s24, -1
	v_addc_co_u32_e32 v3, vcc, v3, v4, vcc
	s_cmp_lg_u32 s24, 0
	s_waitcnt vmcnt(0)
	ds_write_b64 v1, v[6:7]
	v_add_u32_e32 v1, 64, v1
	s_cbranch_scc1 .LBB76_6
.LBB76_7:
	s_cmpk_eq_i32 s10, 0x84
	s_cbranch_scc0 .LBB76_9
; %bb.8:
	v_mul_u32_u24_e32 v1, 9, v0
	v_lshlrev_b32_e32 v1, 3, v1
	v_mov_b32_e32 v2, 0
	v_mov_b32_e32 v3, 0x3ff00000
	ds_write_b64 v1, v[2:3]
.LBB76_9:
	s_or_b64 exec, exec, s[18:19]
	s_load_dword s1, s[4:5], 0x68
	s_load_dwordx2 s[14:15], s[4:5], 0x58
	s_load_dword s0, s[4:5], 0x50
	s_mov_b32 s26, 0
	s_waitcnt lgkmcnt(0)
	s_mul_i32 s5, s7, s15
	s_mul_hi_u32 s10, s7, s14
	s_mul_i32 s4, s7, s14
	s_add_i32 s5, s10, s5
	s_lshl_b64 s[14:15], s[4:5], 3
	s_add_u32 s7, s2, s14
	s_addc_u32 s10, s3, s15
	s_lshl_b64 s[4:5], s[16:17], 3
	s_add_u32 s16, s7, s4
	s_addc_u32 s10, s10, s5
	s_lshl_b32 s7, s6, 3
	s_add_i32 s1, s1, -1
	s_sub_i32 s7, s11, s7
	s_cmp_ge_u32 s6, s1
	s_cselect_b32 s1, s7, 8
	s_ashr_i32 s7, s6, 31
	s_lshl_b64 s[6:7], s[6:7], 6
	s_add_u32 s24, s16, s6
	s_addc_u32 s25, s10, s7
	s_cmp_gt_i32 s30, 0
	v_cmp_gt_i32_e32 vcc, s1, v0
	s_cselect_b64 s[10:11], -1, 0
	s_and_b64 s[10:11], vcc, s[10:11]
	s_and_saveexec_b64 s[16:17], s[10:11]
	s_cbranch_execz .LBB76_16
; %bb.10:
	s_ashr_i32 s1, s0, 31
	s_cmp_lt_u32 s30, 4
	s_cbranch_scc1 .LBB76_13
; %bb.11:
	v_lshlrev_b32_e32 v1, 3, v0
	v_mov_b32_e32 v3, s25
	v_add_co_u32_e32 v2, vcc, s24, v1
	s_mul_hi_i32 s29, s0, 24
	s_lshl_b64 s[18:19], s[0:1], 5
	v_mov_b32_e32 v1, 0x200
	s_lshl_b64 s[20:21], s[0:1], 4
	s_lshl_b64 s[22:23], s[0:1], 3
	v_addc_co_u32_e32 v3, vcc, 0, v3, vcc
	s_and_b32 s26, s30, 0x7ffffffc
	s_mul_i32 s27, s0, 24
	v_lshl_or_b32 v1, v0, 3, v1
	s_mov_b32 s28, 0
	v_mov_b32_e32 v4, s23
	v_mov_b32_e32 v5, s21
	;; [unrolled: 1-line block ×4, first 2 shown]
.LBB76_12:                              ; =>This Inner Loop Header: Depth=1
	v_add_co_u32_e32 v10, vcc, s22, v2
	v_addc_co_u32_e32 v11, vcc, v3, v4, vcc
	v_add_co_u32_e32 v12, vcc, s20, v2
	v_addc_co_u32_e32 v13, vcc, v3, v5, vcc
	global_load_dwordx2 v[8:9], v[2:3], off
	v_add_co_u32_e32 v14, vcc, s27, v2
	v_addc_co_u32_e32 v15, vcc, v3, v6, vcc
	global_load_dwordx2 v[16:17], v[10:11], off
	global_load_dwordx2 v[18:19], v[12:13], off
	;; [unrolled: 1-line block ×3, first 2 shown]
	s_add_i32 s28, s28, 4
	v_add_co_u32_e32 v2, vcc, s18, v2
	v_addc_co_u32_e32 v3, vcc, v3, v7, vcc
	s_cmp_lg_u32 s26, s28
	s_waitcnt vmcnt(3)
	v_mul_f64 v[8:9], v[8:9], s[12:13]
	s_waitcnt vmcnt(2)
	v_mul_f64 v[10:11], v[16:17], s[12:13]
	;; [unrolled: 2-line block ×4, first 2 shown]
	ds_write2_b64 v1, v[8:9], v[10:11] offset1:8
	ds_write2_b64 v1, v[12:13], v[14:15] offset0:16 offset1:24
	v_add_u32_e32 v1, 0x100, v1
	s_cbranch_scc1 .LBB76_12
.LBB76_13:
	s_and_b32 s20, s30, 3
	s_cmp_eq_u32 s20, 0
	s_cbranch_scc1 .LBB76_16
; %bb.14:
	s_mul_hi_i32 s19, s0, s26
	s_mul_i32 s18, s0, s26
	s_lshl_b64 s[18:19], s[18:19], 3
	s_add_u32 s18, s14, s18
	s_addc_u32 s19, s15, s19
	s_add_u32 s18, s18, s6
	s_addc_u32 s19, s19, s7
	;; [unrolled: 2-line block ×3, first 2 shown]
	s_add_u32 s18, s2, s18
	v_lshlrev_b32_e32 v2, 3, v0
	s_addc_u32 s19, s3, s19
	v_lshl_or_b32 v1, s26, 6, v2
	v_mov_b32_e32 v3, s19
	v_add_co_u32_e32 v2, vcc, s18, v2
	s_lshl_b64 s[18:19], s[0:1], 3
	v_add_u32_e32 v1, 0x200, v1
	v_addc_co_u32_e32 v3, vcc, 0, v3, vcc
	v_mov_b32_e32 v4, s19
.LBB76_15:                              ; =>This Inner Loop Header: Depth=1
	global_load_dwordx2 v[6:7], v[2:3], off
	v_add_co_u32_e32 v2, vcc, s18, v2
	s_add_i32 s20, s20, -1
	v_addc_co_u32_e32 v3, vcc, v3, v4, vcc
	s_cmp_lg_u32 s20, 0
	s_waitcnt vmcnt(0)
	v_mul_f64 v[6:7], v[6:7], s[12:13]
	ds_write_b64 v1, v[6:7]
	v_add_u32_e32 v1, 64, v1
	s_cbranch_scc1 .LBB76_15
.LBB76_16:
	s_or_b64 exec, exec, s[16:17]
	s_cmpk_eq_i32 s9, 0x6f
	s_cselect_b64 s[16:17], -1, 0
	s_cmpk_eq_i32 s8, 0x79
	s_cselect_b64 s[18:19], -1, 0
	s_cmpk_lg_i32 s8, 0x79
	s_cselect_b64 s[12:13], -1, 0
	s_and_b64 s[18:19], s[18:19], s[16:17]
	s_andn2_b64 vcc, exec, s[18:19]
	s_mov_b64 s[18:19], -1
	s_waitcnt lgkmcnt(0)
	; wave barrier
	s_waitcnt lgkmcnt(0)
	s_cbranch_vccz .LBB76_80
; %bb.17:
	s_cmpk_lg_i32 s8, 0x7a
	s_cselect_b64 s[8:9], -1, 0
	s_xor_b64 s[16:17], s[16:17], -1
	s_or_b64 s[16:17], s[8:9], s[16:17]
	s_cmp_gt_i32 s30, 3
	s_cselect_b64 s[8:9], -1, 0
	s_and_b64 vcc, exec, s[16:17]
	s_cbranch_vccz .LBB76_59
; %bb.18:
	s_andn2_b64 vcc, exec, s[12:13]
	s_mov_b64 s[12:13], -1
	s_cbranch_vccnz .LBB76_38
; %bb.19:
	s_andn2_b64 vcc, exec, s[8:9]
	s_mov_b32 s13, 0
	s_cbranch_vccnz .LBB76_26
; %bb.20:
	v_mov_b32_e32 v1, 0x200
	v_lshl_or_b32 v1, v0, 3, v1
	s_mov_b32 s1, 0
	s_mov_b32 s12, 0
.LBB76_21:                              ; =>This Loop Header: Depth=1
                                        ;     Child Loop BB76_23 Depth 2
	s_lshl_b32 s13, s12, 3
	s_lshl_b32 s16, s12, 6
	v_or_b32_e32 v2, s13, v0
	s_or_b32 s13, s13, 8
	v_lshlrev_b32_e32 v10, 3, v2
	v_or_b32_e32 v2, s13, v0
	v_lshl_or_b32 v14, v0, 3, s16
	v_lshlrev_b32_e32 v12, 3, v2
	ds_read_b64 v[8:9], v10 offset:512
	ds_read_b64 v[6:7], v12 offset:512
	ds_read2_b64 v[2:5], v14 offset0:80 offset1:88
	s_cmp_eq_u32 s12, 0
	s_cbranch_scc1 .LBB76_24
; %bb.22:                               ;   in Loop: Header=BB76_21 Depth=1
	s_mov_b32 s16, 0
	v_mov_b32_e32 v11, v1
	s_mov_b32 s17, s1
.LBB76_23:                              ;   Parent Loop BB76_21 Depth=1
                                        ; =>  This Inner Loop Header: Depth=2
	v_mov_b32_e32 v13, s17
	ds_read_b64 v[24:25], v11
	ds_read_b128 v[16:19], v13
	ds_read_b128 v[20:23], v13 offset:16
	s_add_i32 s16, s16, 1
	s_add_i32 s17, s17, 64
	v_add_u32_e32 v11, 64, v11
	s_cmp_ge_u32 s16, s12
	s_waitcnt lgkmcnt(1)
	v_fma_f64 v[8:9], -v[24:25], v[16:17], v[8:9]
	v_fma_f64 v[6:7], -v[24:25], v[18:19], v[6:7]
	s_waitcnt lgkmcnt(0)
	v_fma_f64 v[2:3], -v[24:25], v[20:21], v[2:3]
	v_fma_f64 v[4:5], -v[24:25], v[22:23], v[4:5]
	s_cbranch_scc0 .LBB76_23
.LBB76_24:                              ;   in Loop: Header=BB76_21 Depth=1
	s_mul_i32 s16, s12, 0x48
	v_mov_b32_e32 v38, s16
	v_add_u32_e32 v11, 0x200, v10
	v_add_u32_e32 v13, 0x280, v14
	;; [unrolled: 1-line block ×3, first 2 shown]
	ds_read_b128 v[14:17], v38
	ds_read_b128 v[18:21], v38 offset:16
	ds_read2_b64 v[22:25], v38 offset0:9 offset1:10
	ds_read_b128 v[26:29], v38 offset:144
	s_add_i32 s13, s13, s12
	s_lshl_b32 s13, s13, 3
	s_waitcnt lgkmcnt(3)
	v_div_scale_f64 v[30:31], s[16:17], v[14:15], v[14:15], v[8:9]
	v_rcp_f64_e32 v[32:33], v[30:31]
	v_div_scale_f64 v[34:35], vcc, v[8:9], v[14:15], v[8:9]
	v_add_u32_e32 v12, 0x200, v12
	v_fma_f64 v[36:37], -v[30:31], v[32:33], 1.0
	v_fmac_f64_e32 v[32:33], v[32:33], v[36:37]
	v_fma_f64 v[36:37], -v[30:31], v[32:33], 1.0
	v_fmac_f64_e32 v[32:33], v[32:33], v[36:37]
	v_mul_f64 v[36:37], v[34:35], v[32:33]
	v_fma_f64 v[30:31], -v[30:31], v[36:37], v[34:35]
	v_div_fmas_f64 v[30:31], v[30:31], v[32:33], v[36:37]
	v_div_fixup_f64 v[8:9], v[30:31], v[14:15], v[8:9]
	v_fma_f64 v[6:7], -v[8:9], v[16:17], v[6:7]
	s_waitcnt lgkmcnt(1)
	v_div_scale_f64 v[14:15], s[16:17], v[22:23], v[22:23], v[6:7]
	v_rcp_f64_e32 v[16:17], v[14:15]
	v_div_scale_f64 v[30:31], vcc, v[6:7], v[22:23], v[6:7]
	v_fma_f64 v[2:3], -v[8:9], v[18:19], v[2:3]
	v_fma_f64 v[32:33], -v[14:15], v[16:17], 1.0
	v_fmac_f64_e32 v[16:17], v[16:17], v[32:33]
	v_fma_f64 v[32:33], -v[14:15], v[16:17], 1.0
	v_fmac_f64_e32 v[16:17], v[16:17], v[32:33]
	v_mul_f64 v[32:33], v[30:31], v[16:17]
	v_fma_f64 v[14:15], -v[14:15], v[32:33], v[30:31]
	v_div_fmas_f64 v[14:15], v[14:15], v[16:17], v[32:33]
	v_div_fixup_f64 v[6:7], v[14:15], v[22:23], v[6:7]
	v_fma_f64 v[2:3], -v[6:7], v[24:25], v[2:3]
	s_waitcnt lgkmcnt(0)
	v_div_scale_f64 v[14:15], s[16:17], v[26:27], v[26:27], v[2:3]
	v_rcp_f64_e32 v[16:17], v[14:15]
	v_fma_f64 v[4:5], -v[8:9], v[20:21], v[4:5]
	s_add_i32 s1, s1, 32
	v_fma_f64 v[18:19], -v[14:15], v[16:17], 1.0
	v_fmac_f64_e32 v[16:17], v[16:17], v[18:19]
	v_fma_f64 v[18:19], -v[14:15], v[16:17], 1.0
	v_fmac_f64_e32 v[16:17], v[16:17], v[18:19]
	v_div_scale_f64 v[18:19], vcc, v[2:3], v[26:27], v[2:3]
	v_mul_f64 v[22:23], v[18:19], v[16:17]
	v_fma_f64 v[14:15], -v[14:15], v[22:23], v[18:19]
	v_mov_b32_e32 v18, s13
	ds_read_b64 v[18:19], v18 offset:24
	v_div_fmas_f64 v[14:15], v[14:15], v[16:17], v[22:23]
	v_div_fixup_f64 v[2:3], v[14:15], v[26:27], v[2:3]
	ds_read_b64 v[14:15], v38 offset:216
	ds_write_b64 v11, v[8:9]
	ds_write_b64 v12, v[6:7]
	;; [unrolled: 1-line block ×3, first 2 shown]
	s_waitcnt lgkmcnt(4)
	v_fma_f64 v[4:5], -v[6:7], v[18:19], v[4:5]
	v_fma_f64 v[4:5], -v[2:3], v[28:29], v[4:5]
	s_add_i32 s13, s12, 4
	s_waitcnt lgkmcnt(3)
	v_div_scale_f64 v[16:17], s[16:17], v[14:15], v[14:15], v[4:5]
	v_rcp_f64_e32 v[18:19], v[16:17]
	s_add_i32 s12, s12, 7
	s_cmp_ge_i32 s12, s31
	v_fma_f64 v[2:3], -v[16:17], v[18:19], 1.0
	v_fmac_f64_e32 v[18:19], v[18:19], v[2:3]
	v_fma_f64 v[2:3], -v[16:17], v[18:19], 1.0
	v_fmac_f64_e32 v[18:19], v[18:19], v[2:3]
	v_div_scale_f64 v[2:3], vcc, v[4:5], v[14:15], v[4:5]
	v_mul_f64 v[6:7], v[2:3], v[18:19]
	v_fma_f64 v[2:3], -v[16:17], v[6:7], v[2:3]
	s_nop 1
	v_div_fmas_f64 v[2:3], v[2:3], v[18:19], v[6:7]
	v_div_fixup_f64 v[2:3], v[2:3], v[14:15], v[4:5]
	ds_write_b64 v10, v[2:3]
	s_cbranch_scc1 .LBB76_26
; %bb.25:                               ;   in Loop: Header=BB76_21 Depth=1
	s_mov_b32 s12, s13
	s_branch .LBB76_21
.LBB76_26:
	s_cmp_ge_i32 s13, s31
	s_cbranch_scc1 .LBB76_37
; %bb.27:
	v_mov_b32_e32 v1, 0x200
	s_add_i32 s1, s13, -1
	v_lshl_or_b32 v1, v0, 3, v1
	s_lshl_b32 s12, s13, 3
	s_mov_b32 s16, 0
	v_lshlrev_b32_e32 v4, 3, v0
	s_mov_b32 s17, s13
	s_branch .LBB76_29
.LBB76_28:                              ;   in Loop: Header=BB76_29 Depth=1
	s_mul_i32 s18, s13, 0x48
	v_mov_b32_e32 v6, s18
	ds_read_b64 v[6:7], v6
	v_add_u32_e32 v5, 0x200, v5
	s_add_i32 s13, s13, 1
	s_add_i32 s16, s16, 1
	;; [unrolled: 1-line block ×3, first 2 shown]
	s_waitcnt lgkmcnt(0)
	v_div_scale_f64 v[8:9], s[18:19], v[6:7], v[6:7], v[2:3]
	v_rcp_f64_e32 v[10:11], v[8:9]
	v_div_scale_f64 v[12:13], vcc, v[2:3], v[6:7], v[2:3]
	s_cmp_ge_i32 s13, s31
	v_fma_f64 v[14:15], -v[8:9], v[10:11], 1.0
	v_fmac_f64_e32 v[10:11], v[10:11], v[14:15]
	v_fma_f64 v[14:15], -v[8:9], v[10:11], 1.0
	v_fmac_f64_e32 v[10:11], v[10:11], v[14:15]
	v_mul_f64 v[14:15], v[12:13], v[10:11]
	v_fma_f64 v[8:9], -v[8:9], v[14:15], v[12:13]
	v_div_fmas_f64 v[8:9], v[8:9], v[10:11], v[14:15]
	v_div_fixup_f64 v[2:3], v[8:9], v[6:7], v[2:3]
	ds_write_b64 v5, v[2:3]
	v_add_u16_e64 v2, s17, 1
	v_readfirstlane_b32 s17, v2
	s_cbranch_scc1 .LBB76_37
.LBB76_29:                              ; =>This Loop Header: Depth=1
                                        ;     Child Loop BB76_32 Depth 2
                                        ;     Child Loop BB76_36 Depth 2
	v_lshl_or_b32 v5, s13, 6, v4
	ds_read_b64 v[2:3], v5 offset:512
	s_cmp_eq_u32 s13, 0
	s_cbranch_scc1 .LBB76_28
; %bb.30:                               ;   in Loop: Header=BB76_29 Depth=1
	s_add_i32 s18, s1, s16
	s_cmp_lt_u32 s18, 7
	s_cbranch_scc1 .LBB76_34
; %bb.31:                               ;   in Loop: Header=BB76_29 Depth=1
	s_and_b32 s18, s13, -8
	s_mov_b32 s19, 0
	s_mov_b32 s20, s12
	v_mov_b32_e32 v6, v1
.LBB76_32:                              ;   Parent Loop BB76_29 Depth=1
                                        ; =>  This Inner Loop Header: Depth=2
	ds_read2_b64 v[8:11], v6 offset1:8
	v_mov_b32_e32 v7, s20
	ds_read2_b64 v[12:15], v6 offset0:16 offset1:24
	ds_read2_b64 v[16:19], v6 offset0:32 offset1:40
	;; [unrolled: 1-line block ×3, first 2 shown]
	ds_read2_b64 v[24:27], v7 offset1:8
	ds_read2_b64 v[28:31], v7 offset0:16 offset1:24
	ds_read2_b64 v[32:35], v7 offset0:32 offset1:40
	;; [unrolled: 1-line block ×3, first 2 shown]
	s_add_i32 s19, s19, 8
	s_waitcnt lgkmcnt(3)
	v_fma_f64 v[2:3], -v[8:9], v[24:25], v[2:3]
	v_fma_f64 v[2:3], -v[10:11], v[26:27], v[2:3]
	s_waitcnt lgkmcnt(2)
	v_fma_f64 v[2:3], -v[12:13], v[28:29], v[2:3]
	v_fma_f64 v[2:3], -v[14:15], v[30:31], v[2:3]
	;; [unrolled: 3-line block ×3, first 2 shown]
	s_addk_i32 s20, 0x200
	s_waitcnt lgkmcnt(0)
	v_fma_f64 v[2:3], -v[20:21], v[36:37], v[2:3]
	v_add_u32_e32 v6, 0x200, v6
	s_cmp_eq_u32 s18, s19
	v_fma_f64 v[2:3], -v[22:23], v[38:39], v[2:3]
	s_cbranch_scc0 .LBB76_32
; %bb.33:                               ;   in Loop: Header=BB76_29 Depth=1
	s_and_b32 s19, s13, 7
	s_cmp_eq_u32 s19, 0
	s_cbranch_scc0 .LBB76_35
	s_branch .LBB76_28
.LBB76_34:                              ;   in Loop: Header=BB76_29 Depth=1
	s_mov_b32 s18, 0
	s_and_b32 s19, s13, 7
	s_cmp_eq_u32 s19, 0
	s_cbranch_scc1 .LBB76_28
.LBB76_35:                              ;   in Loop: Header=BB76_29 Depth=1
	s_and_b32 s19, s17, 7
	s_lshl_b32 s18, s18, 6
.LBB76_36:                              ;   Parent Loop BB76_29 Depth=1
                                        ; =>  This Inner Loop Header: Depth=2
	s_add_i32 s20, s12, s18
	v_add_u32_e32 v6, s18, v1
	v_mov_b32_e32 v8, s20
	ds_read_b64 v[6:7], v6
	ds_read_b64 v[8:9], v8
	s_add_i32 s18, s18, 64
	s_add_i32 s19, s19, -1
	s_cmp_lg_u32 s19, 0
	s_waitcnt lgkmcnt(0)
	v_fma_f64 v[2:3], -v[6:7], v[8:9], v[2:3]
	s_cbranch_scc1 .LBB76_36
	s_branch .LBB76_28
.LBB76_37:
	s_mov_b64 s[12:13], 0
.LBB76_38:
	s_and_b64 vcc, exec, s[12:13]
	s_cbranch_vccz .LBB76_58
; %bb.39:
	s_andn2_b64 vcc, exec, s[8:9]
	s_mov_b32 s13, s33
	s_cbranch_vccnz .LBB76_45
; %bb.40:
	v_lshlrev_b32_e32 v1, 3, v0
	v_lshl_or_b32 v2, s31, 6, v1
	s_mul_i32 s1, s31, 0x48
	v_add_u32_e32 v10, 0x100, v2
	s_addk_i32 s1, 0xfee0
	s_mov_b32 s12, s33
.LBB76_41:                              ; =>This Loop Header: Depth=1
                                        ;     Child Loop BB76_42 Depth 2
	s_lshl_b32 s18, s12, 3
	s_add_i32 s19, s12, -1
	v_or_b32_e32 v2, s18, v0
	s_lshl_b32 s17, s19, 3
	v_lshlrev_b32_e32 v11, 3, v2
	v_or_b32_e32 v2, s17, v0
	s_add_i32 s13, s18, -16
	v_lshlrev_b32_e32 v12, 3, v2
	v_or_b32_e32 v2, s13, v0
	s_add_i32 s16, s12, -3
	v_lshlrev_b32_e32 v13, 3, v2
	v_lshl_or_b32 v14, s16, 6, v1
	ds_read_b64 v[8:9], v11 offset:512
	ds_read_b64 v[6:7], v12 offset:512
	;; [unrolled: 1-line block ×4, first 2 shown]
	s_cmp_le_i32 s33, s12
	s_mov_b32 s20, s1
	v_mov_b32_e32 v15, v10
	s_mov_b32 s21, s33
	s_cbranch_scc1 .LBB76_43
.LBB76_42:                              ;   Parent Loop BB76_41 Depth=1
                                        ; =>  This Inner Loop Header: Depth=2
	ds_read2_b64 v[16:19], v15 offset0:16 offset1:24
	v_mov_b32_e32 v52, s20
	ds_read2_b64 v[20:23], v15 offset1:8
	ds_read2_b64 v[24:27], v52 offset0:26 offset1:27
	ds_read2_b64 v[28:31], v52 offset0:24 offset1:25
	;; [unrolled: 1-line block ×7, first 2 shown]
	ds_read2_b64 v[52:55], v52 offset1:1
	s_add_i32 s21, s21, -4
	s_waitcnt lgkmcnt(7)
	v_fma_f64 v[8:9], -v[18:19], v[26:27], v[8:9]
	v_fma_f64 v[6:7], -v[18:19], v[24:25], v[6:7]
	s_waitcnt lgkmcnt(6)
	v_fma_f64 v[4:5], -v[18:19], v[30:31], v[4:5]
	v_fma_f64 v[2:3], -v[18:19], v[28:29], v[2:3]
	;; [unrolled: 3-line block ×4, first 2 shown]
	s_addk_i32 s20, 0xff00
	s_waitcnt lgkmcnt(3)
	v_fma_f64 v[8:9], -v[22:23], v[42:43], v[8:9]
	v_fma_f64 v[6:7], -v[22:23], v[40:41], v[6:7]
	s_waitcnt lgkmcnt(2)
	v_fma_f64 v[4:5], -v[22:23], v[46:47], v[4:5]
	v_fma_f64 v[2:3], -v[22:23], v[44:45], v[2:3]
	v_add_u32_e32 v15, 0xffffff00, v15
	s_cmp_le_i32 s21, s12
	s_waitcnt lgkmcnt(1)
	v_fma_f64 v[8:9], -v[20:21], v[50:51], v[8:9]
	v_fma_f64 v[6:7], -v[20:21], v[48:49], v[6:7]
	s_waitcnt lgkmcnt(0)
	v_fma_f64 v[4:5], -v[20:21], v[54:55], v[4:5]
	v_fma_f64 v[2:3], -v[20:21], v[52:53], v[2:3]
	s_cbranch_scc0 .LBB76_42
.LBB76_43:                              ;   in Loop: Header=BB76_41 Depth=1
	s_add_i32 s19, s18, s19
	s_lshl_b32 s19, s19, 3
	v_add_u32_e32 v15, 0x200, v11
	v_add_u32_e32 v11, 0x200, v14
	v_mov_b32_e32 v14, s19
	ds_read2_b64 v[16:19], v14 offset1:1
	s_mul_i32 s22, s12, 0x48
	s_add_i32 s19, s22, 0xffffffb8
	v_mov_b32_e32 v14, s19
	ds_read_b64 v[20:21], v14
	s_waitcnt lgkmcnt(1)
	v_div_scale_f64 v[22:23], s[20:21], v[18:19], v[18:19], v[8:9]
	v_rcp_f64_e32 v[24:25], v[22:23]
	v_div_scale_f64 v[26:27], vcc, v[8:9], v[18:19], v[8:9]
	s_add_i32 s18, s18, s16
	v_fma_f64 v[28:29], -v[22:23], v[24:25], 1.0
	v_fmac_f64_e32 v[24:25], v[24:25], v[28:29]
	v_fma_f64 v[28:29], -v[22:23], v[24:25], 1.0
	v_fmac_f64_e32 v[24:25], v[24:25], v[28:29]
	v_mul_f64 v[28:29], v[26:27], v[24:25]
	v_fma_f64 v[22:23], -v[22:23], v[28:29], v[26:27]
	v_div_fmas_f64 v[22:23], v[22:23], v[24:25], v[28:29]
	v_div_fixup_f64 v[22:23], v[22:23], v[18:19], v[8:9]
	v_fma_f64 v[24:25], -v[22:23], v[16:17], v[6:7]
	s_waitcnt lgkmcnt(0)
	v_div_scale_f64 v[6:7], s[20:21], v[20:21], v[20:21], v[24:25]
	v_rcp_f64_e32 v[26:27], v[6:7]
	s_lshl_b32 s18, s18, 3
	s_add_i32 s17, s17, s16
	s_lshl_b32 s17, s17, 3
	v_fma_f64 v[8:9], -v[6:7], v[26:27], 1.0
	v_fmac_f64_e32 v[26:27], v[26:27], v[8:9]
	v_fma_f64 v[8:9], -v[6:7], v[26:27], 1.0
	v_fmac_f64_e32 v[26:27], v[26:27], v[8:9]
	v_div_scale_f64 v[8:9], vcc, v[24:25], v[20:21], v[24:25]
	v_mul_f64 v[28:29], v[8:9], v[26:27]
	v_fma_f64 v[30:31], -v[6:7], v[28:29], v[8:9]
	v_mov_b32_e32 v6, s18
	v_mov_b32_e32 v14, s17
	ds_read2_b64 v[6:9], v6 offset1:1
	ds_read2_b64 v[16:19], v14 offset1:1
	s_add_i32 s13, s13, s16
	v_div_fmas_f64 v[26:27], v[30:31], v[26:27], v[28:29]
	s_lshl_b32 s13, s13, 3
	v_div_fixup_f64 v[24:25], v[26:27], v[20:21], v[24:25]
	s_waitcnt lgkmcnt(1)
	v_fma_f64 v[4:5], -v[22:23], v[8:9], v[4:5]
	v_mov_b32_e32 v8, s13
	s_waitcnt lgkmcnt(0)
	v_fma_f64 v[4:5], -v[24:25], v[18:19], v[4:5]
	ds_read2_b64 v[18:21], v8 offset1:1
	s_add_i32 s13, s22, 0xffffff28
	v_mov_b32_e32 v8, s13
	ds_read_b64 v[8:9], v8
	v_fma_f64 v[2:3], -v[22:23], v[6:7], v[2:3]
	s_waitcnt lgkmcnt(1)
	v_div_scale_f64 v[26:27], s[16:17], v[20:21], v[20:21], v[4:5]
	v_rcp_f64_e32 v[28:29], v[26:27]
	v_fma_f64 v[2:3], -v[24:25], v[16:17], v[2:3]
	v_add_u32_e32 v12, 0x200, v12
	v_add_u32_e32 v13, 0x200, v13
	v_fma_f64 v[30:31], -v[26:27], v[28:29], 1.0
	v_fmac_f64_e32 v[28:29], v[28:29], v[30:31]
	v_fma_f64 v[30:31], -v[26:27], v[28:29], 1.0
	v_fmac_f64_e32 v[28:29], v[28:29], v[30:31]
	v_div_scale_f64 v[30:31], vcc, v[4:5], v[20:21], v[4:5]
	v_mul_f64 v[32:33], v[30:31], v[28:29]
	v_fma_f64 v[26:27], -v[26:27], v[32:33], v[30:31]
	s_add_i32 s13, s12, -4
	s_nop 0
	v_div_fmas_f64 v[26:27], v[26:27], v[28:29], v[32:33]
	v_div_fixup_f64 v[4:5], v[26:27], v[20:21], v[4:5]
	v_fma_f64 v[2:3], -v[4:5], v[18:19], v[2:3]
	s_waitcnt lgkmcnt(0)
	v_div_scale_f64 v[6:7], s[16:17], v[8:9], v[8:9], v[2:3]
	v_rcp_f64_e32 v[16:17], v[6:7]
	ds_write_b64 v15, v[22:23]
	ds_write_b64 v12, v[24:25]
	;; [unrolled: 1-line block ×3, first 2 shown]
	s_sub_i32 s1, s1, 32
	s_cmp_lt_i32 s12, 7
	v_fma_f64 v[4:5], -v[6:7], v[16:17], 1.0
	v_fmac_f64_e32 v[16:17], v[16:17], v[4:5]
	v_fma_f64 v[4:5], -v[6:7], v[16:17], 1.0
	v_fmac_f64_e32 v[16:17], v[16:17], v[4:5]
	v_div_scale_f64 v[4:5], vcc, v[2:3], v[8:9], v[2:3]
	v_mul_f64 v[12:13], v[4:5], v[16:17]
	v_fma_f64 v[4:5], -v[6:7], v[12:13], v[4:5]
	s_nop 1
	v_div_fmas_f64 v[4:5], v[4:5], v[16:17], v[12:13]
	v_div_fixup_f64 v[2:3], v[4:5], v[8:9], v[2:3]
	ds_write_b64 v11, v[2:3]
	s_cbranch_scc1 .LBB76_45
; %bb.44:                               ;   in Loop: Header=BB76_41 Depth=1
	s_mov_b32 s12, s13
	s_branch .LBB76_41
.LBB76_45:
	s_cmp_lt_i32 s13, 0
	s_cbranch_scc1 .LBB76_58
; %bb.46:
	s_bitcmp1_b32 s13, 0
	s_cselect_b64 s[16:17], -1, 0
	s_and_b64 vcc, exec, s[16:17]
	s_mov_b32 s1, s13
	s_cbranch_vccnz .LBB76_51
; %bb.47:
	s_lshl_b32 s1, s13, 3
	v_or_b32_e32 v1, s1, v0
	v_lshlrev_b32_e32 v1, 3, v1
	ds_read_b64 v[2:3], v1 offset:512
	s_cmp_le_i32 s33, s13
	s_cbranch_scc1 .LBB76_50
; %bb.48:
	s_lshl_b32 s12, s31, 6
	s_add_i32 s1, s12, s1
	v_lshl_or_b32 v4, v0, 3, s12
	s_sub_i32 s1, s1, 64
	v_add_u32_e32 v4, 0x1c0, v4
	s_mov_b32 s12, s33
.LBB76_49:                              ; =>This Inner Loop Header: Depth=1
	v_mov_b32_e32 v5, s1
	ds_read_b64 v[6:7], v4
	ds_read_b64 v[8:9], v5
	s_add_i32 s12, s12, -1
	s_sub_i32 s1, s1, 64
	v_subrev_u32_e32 v4, 64, v4
	s_cmp_gt_i32 s12, s13
	s_waitcnt lgkmcnt(0)
	v_fma_f64 v[2:3], -v[6:7], v[8:9], v[2:3]
	s_cbranch_scc1 .LBB76_49
.LBB76_50:
	s_mul_i32 s1, s13, 0x48
	v_mov_b32_e32 v4, s1
	ds_read_b64 v[4:5], v4
	v_add_u32_e32 v1, 0x200, v1
	s_add_i32 s1, s13, -1
	s_waitcnt lgkmcnt(0)
	v_div_scale_f64 v[6:7], s[16:17], v[4:5], v[4:5], v[2:3]
	v_rcp_f64_e32 v[8:9], v[6:7]
	v_div_scale_f64 v[10:11], vcc, v[2:3], v[4:5], v[2:3]
	v_fma_f64 v[12:13], -v[6:7], v[8:9], 1.0
	v_fmac_f64_e32 v[8:9], v[8:9], v[12:13]
	v_fma_f64 v[12:13], -v[6:7], v[8:9], 1.0
	v_fmac_f64_e32 v[8:9], v[8:9], v[12:13]
	v_mul_f64 v[12:13], v[10:11], v[8:9]
	v_fma_f64 v[6:7], -v[6:7], v[12:13], v[10:11]
	v_div_fmas_f64 v[6:7], v[6:7], v[8:9], v[12:13]
	v_div_fixup_f64 v[2:3], v[6:7], v[4:5], v[2:3]
	ds_write_b64 v1, v[2:3]
.LBB76_51:
	s_cmp_eq_u32 s13, 0
	s_cbranch_scc1 .LBB76_58
; %bb.52:
	s_lshl_b32 s12, s31, 6
	s_lshl_b32 s13, s1, 3
	v_lshl_or_b32 v1, v0, 3, s12
	s_add_i32 s13, s12, s13
	v_add_u32_e32 v1, 0x1c0, v1
	s_sub_i32 s12, s13, 64
	s_addk_i32 s13, 0xffb8
	v_lshlrev_b32_e32 v6, 3, v0
	s_branch .LBB76_54
.LBB76_53:                              ;   in Loop: Header=BB76_54 Depth=1
	s_addk_i32 s16, 0xffb8
	v_mov_b32_e32 v5, s16
	ds_read_b64 v[8:9], v5
	s_add_i32 s18, s1, -2
	s_add_i32 s12, s12, -16
	;; [unrolled: 1-line block ×3, first 2 shown]
	v_add_u32_e32 v4, 0x200, v7
	s_waitcnt lgkmcnt(0)
	v_div_scale_f64 v[10:11], s[16:17], v[8:9], v[8:9], v[2:3]
	v_rcp_f64_e32 v[12:13], v[10:11]
	v_div_scale_f64 v[14:15], vcc, v[2:3], v[8:9], v[2:3]
	s_cmp_lt_i32 s1, 2
	v_fma_f64 v[16:17], -v[10:11], v[12:13], 1.0
	v_fmac_f64_e32 v[12:13], v[12:13], v[16:17]
	v_fma_f64 v[16:17], -v[10:11], v[12:13], 1.0
	v_fmac_f64_e32 v[12:13], v[12:13], v[16:17]
	v_mul_f64 v[16:17], v[14:15], v[12:13]
	v_fma_f64 v[10:11], -v[10:11], v[16:17], v[14:15]
	v_div_fmas_f64 v[10:11], v[10:11], v[12:13], v[16:17]
	v_div_fixup_f64 v[2:3], v[10:11], v[8:9], v[2:3]
	s_mov_b32 s1, s18
	ds_write_b64 v4, v[2:3]
	s_cbranch_scc1 .LBB76_58
.LBB76_54:                              ; =>This Loop Header: Depth=1
                                        ;     Child Loop BB76_55 Depth 2
                                        ;     Child Loop BB76_57 Depth 2
	v_lshl_or_b32 v2, s1, 6, v6
	ds_read_b64 v[4:5], v2 offset:512
	s_cmp_le_i32 s33, s1
	s_mov_b32 s16, s12
	v_mov_b32_e32 v3, v1
	s_mov_b32 s17, s33
	s_cbranch_scc1 .LBB76_56
.LBB76_55:                              ;   Parent Loop BB76_54 Depth=1
                                        ; =>  This Inner Loop Header: Depth=2
	v_mov_b32_e32 v7, s16
	ds_read_b64 v[8:9], v3
	ds_read_b64 v[10:11], v7
	s_add_i32 s17, s17, -1
	s_sub_i32 s16, s16, 64
	v_subrev_u32_e32 v3, 64, v3
	s_cmp_le_i32 s17, s1
	s_waitcnt lgkmcnt(0)
	v_fma_f64 v[4:5], -v[8:9], v[10:11], v[4:5]
	s_cbranch_scc0 .LBB76_55
.LBB76_56:                              ;   in Loop: Header=BB76_54 Depth=1
	s_mul_i32 s16, s1, 0x48
	v_add_u32_e32 v8, 0x200, v2
	v_mov_b32_e32 v2, s16
	ds_read_b64 v[10:11], v2
	s_lshl_b32 s17, s1, 6
	s_sub_i32 s17, s17, 64
	v_lshl_or_b32 v7, v0, 3, s17
	ds_read_b64 v[2:3], v7 offset:512
	s_waitcnt lgkmcnt(1)
	v_div_scale_f64 v[12:13], s[18:19], v[10:11], v[10:11], v[4:5]
	v_rcp_f64_e32 v[14:15], v[12:13]
	v_div_scale_f64 v[16:17], vcc, v[4:5], v[10:11], v[4:5]
	s_cmp_lt_i32 s33, s1
	v_fma_f64 v[18:19], -v[12:13], v[14:15], 1.0
	v_fmac_f64_e32 v[14:15], v[14:15], v[18:19]
	v_fma_f64 v[18:19], -v[12:13], v[14:15], 1.0
	v_fmac_f64_e32 v[14:15], v[14:15], v[18:19]
	v_mul_f64 v[18:19], v[16:17], v[14:15]
	v_fma_f64 v[12:13], -v[12:13], v[18:19], v[16:17]
	v_div_fmas_f64 v[12:13], v[12:13], v[14:15], v[18:19]
	v_div_fixup_f64 v[4:5], v[12:13], v[10:11], v[4:5]
	ds_write_b64 v8, v[4:5]
	v_mov_b32_e32 v4, v1
	s_mov_b32 s17, s13
	s_mov_b32 s18, s31
	s_cbranch_scc1 .LBB76_53
.LBB76_57:                              ;   Parent Loop BB76_54 Depth=1
                                        ; =>  This Inner Loop Header: Depth=2
	v_mov_b32_e32 v5, s17
	ds_read_b64 v[8:9], v4
	ds_read_b64 v[10:11], v5
	s_add_i32 s18, s18, -1
	s_sub_i32 s17, s17, 64
	v_subrev_u32_e32 v4, 64, v4
	s_cmp_gt_i32 s18, s1
	s_waitcnt lgkmcnt(0)
	v_fma_f64 v[2:3], -v[8:9], v[10:11], v[2:3]
	s_cbranch_scc1 .LBB76_57
	s_branch .LBB76_53
.LBB76_58:
	s_mov_b64 s[18:19], 0
.LBB76_59:
	s_andn2_b64 vcc, exec, s[18:19]
	s_cbranch_vccnz .LBB76_79
; %bb.60:
	s_andn2_b64 vcc, exec, s[8:9]
	s_mov_b32 s9, s33
	s_cbranch_vccnz .LBB76_66
; %bb.61:
	v_lshlrev_b32_e32 v1, 3, v0
	s_mul_i32 s1, s31, 0x48
	v_lshl_or_b32 v2, s31, 6, v1
	s_addk_i32 s1, 0xfee0
	v_add_u32_e32 v10, 0x100, v2
	s_mov_b32 s8, s33
.LBB76_62:                              ; =>This Loop Header: Depth=1
                                        ;     Child Loop BB76_63 Depth 2
	s_lshl_b32 s12, s8, 3
	v_or_b32_e32 v2, s12, v0
	s_add_i32 s13, s12, -16
	v_lshlrev_b32_e32 v11, 3, v2
	v_or_b32_e32 v2, s13, v0
	s_sub_i32 s12, s12, 24
	s_add_i32 s9, s8, -1
	v_lshlrev_b32_e32 v13, 3, v2
	v_or_b32_e32 v2, s12, v0
	v_lshl_or_b32 v12, s9, 6, v1
	v_lshlrev_b32_e32 v14, 3, v2
	ds_read_b64 v[8:9], v11 offset:512
	ds_read_b64 v[6:7], v12 offset:512
	;; [unrolled: 1-line block ×4, first 2 shown]
	s_cmp_le_i32 s33, s8
	v_mov_b32_e32 v15, v10
	s_mov_b32 s16, s1
	s_mov_b32 s17, s33
	s_cbranch_scc1 .LBB76_64
.LBB76_63:                              ;   Parent Loop BB76_62 Depth=1
                                        ; =>  This Inner Loop Header: Depth=2
	ds_read2_b64 v[16:19], v15 offset0:16 offset1:24
	v_mov_b32_e32 v52, s16
	ds_read2_b64 v[20:23], v15 offset1:8
	ds_read2_b64 v[24:27], v52 offset0:26 offset1:27
	ds_read2_b64 v[28:31], v52 offset0:24 offset1:25
	;; [unrolled: 1-line block ×7, first 2 shown]
	ds_read2_b64 v[52:55], v52 offset1:1
	s_add_i32 s17, s17, -4
	s_waitcnt lgkmcnt(7)
	v_fma_f64 v[8:9], -v[18:19], v[26:27], v[8:9]
	s_waitcnt lgkmcnt(5)
	v_fma_f64 v[6:7], -v[18:19], v[34:35], v[6:7]
	;; [unrolled: 2-line block ×4, first 2 shown]
	v_fma_f64 v[8:9], -v[16:17], v[24:25], v[8:9]
	v_fma_f64 v[6:7], -v[16:17], v[32:33], v[6:7]
	;; [unrolled: 1-line block ×4, first 2 shown]
	s_sub_i32 s16, s16, 32
	v_fma_f64 v[8:9], -v[22:23], v[30:31], v[8:9]
	v_fma_f64 v[6:7], -v[22:23], v[38:39], v[6:7]
	;; [unrolled: 1-line block ×3, first 2 shown]
	s_waitcnt lgkmcnt(0)
	v_fma_f64 v[2:3], -v[22:23], v[54:55], v[2:3]
	v_add_u32_e32 v15, 0xffffff00, v15
	s_cmp_le_i32 s17, s8
	v_fma_f64 v[8:9], -v[20:21], v[28:29], v[8:9]
	v_fma_f64 v[6:7], -v[20:21], v[36:37], v[6:7]
	;; [unrolled: 1-line block ×4, first 2 shown]
	s_cbranch_scc0 .LBB76_63
.LBB76_64:                              ;   in Loop: Header=BB76_62 Depth=1
	s_mul_i32 s18, s8, 0x48
	v_add_u32_e32 v15, 0x200, v11
	v_add_u32_e32 v11, 0x200, v14
	v_mov_b32_e32 v14, s18
	ds_read_b64 v[20:21], v14
	s_add_i32 s16, s18, 0xffffffb8
	v_mov_b32_e32 v14, s16
	ds_read2_b64 v[16:19], v14 offset1:1
	s_add_i32 s13, s13, s8
	s_waitcnt lgkmcnt(1)
	v_div_scale_f64 v[22:23], s[16:17], v[20:21], v[20:21], v[8:9]
	v_rcp_f64_e32 v[24:25], v[22:23]
	v_div_scale_f64 v[26:27], vcc, v[8:9], v[20:21], v[8:9]
	s_lshl_b32 s13, s13, 3
	v_fma_f64 v[28:29], -v[22:23], v[24:25], 1.0
	v_fmac_f64_e32 v[24:25], v[24:25], v[28:29]
	v_fma_f64 v[28:29], -v[22:23], v[24:25], 1.0
	v_fmac_f64_e32 v[24:25], v[24:25], v[28:29]
	v_mul_f64 v[28:29], v[26:27], v[24:25]
	v_fma_f64 v[22:23], -v[22:23], v[28:29], v[26:27]
	v_div_fmas_f64 v[22:23], v[22:23], v[24:25], v[28:29]
	v_div_fixup_f64 v[24:25], v[22:23], v[20:21], v[8:9]
	s_waitcnt lgkmcnt(0)
	v_fma_f64 v[18:19], -v[24:25], v[18:19], v[6:7]
	v_div_scale_f64 v[6:7], s[16:17], v[16:17], v[16:17], v[18:19]
	v_rcp_f64_e32 v[20:21], v[6:7]
	v_div_scale_f64 v[8:9], vcc, v[18:19], v[16:17], v[18:19]
	s_add_i32 s12, s12, s9
	v_fma_f64 v[22:23], -v[6:7], v[20:21], 1.0
	v_fmac_f64_e32 v[20:21], v[20:21], v[22:23]
	v_fma_f64 v[22:23], -v[6:7], v[20:21], 1.0
	v_fmac_f64_e32 v[20:21], v[20:21], v[22:23]
	v_mul_f64 v[22:23], v[8:9], v[20:21]
	v_fma_f64 v[26:27], -v[6:7], v[22:23], v[8:9]
	v_mov_b32_e32 v6, s13
	s_add_i32 s13, s18, 0xffffff70
	v_mov_b32_e32 v7, s13
	ds_read_b64 v[28:29], v6
	ds_read2_b64 v[6:9], v7 offset1:1
	v_div_fmas_f64 v[20:21], v[26:27], v[20:21], v[22:23]
	v_div_fixup_f64 v[26:27], v[20:21], v[16:17], v[18:19]
	s_lshl_b32 s9, s12, 3
	s_waitcnt lgkmcnt(1)
	v_fma_f64 v[4:5], -v[24:25], v[28:29], v[4:5]
	s_waitcnt lgkmcnt(0)
	v_fma_f64 v[4:5], -v[26:27], v[8:9], v[4:5]
	v_div_scale_f64 v[8:9], s[16:17], v[6:7], v[6:7], v[4:5]
	v_rcp_f64_e32 v[28:29], v[8:9]
	v_mov_b32_e32 v14, s9
	s_add_i32 s9, s18, 0xffffff28
	v_mov_b32_e32 v20, s9
	v_fma_f64 v[16:17], -v[8:9], v[28:29], 1.0
	v_fmac_f64_e32 v[28:29], v[28:29], v[16:17]
	v_fma_f64 v[16:17], -v[8:9], v[28:29], 1.0
	v_fmac_f64_e32 v[28:29], v[28:29], v[16:17]
	v_div_scale_f64 v[16:17], vcc, v[4:5], v[6:7], v[4:5]
	v_mul_f64 v[30:31], v[16:17], v[28:29]
	v_fma_f64 v[8:9], -v[8:9], v[30:31], v[16:17]
	ds_read2_b64 v[16:19], v14 offset1:1
	ds_read2_b64 v[20:23], v20 offset1:1
	v_div_fmas_f64 v[8:9], v[8:9], v[28:29], v[30:31]
	v_div_fixup_f64 v[4:5], v[8:9], v[6:7], v[4:5]
	v_add_u32_e32 v12, 0x200, v12
	s_waitcnt lgkmcnt(1)
	v_fma_f64 v[2:3], -v[24:25], v[18:19], v[2:3]
	v_fma_f64 v[2:3], -v[26:27], v[16:17], v[2:3]
	s_waitcnt lgkmcnt(0)
	v_fma_f64 v[2:3], -v[4:5], v[22:23], v[2:3]
	v_div_scale_f64 v[6:7], s[12:13], v[20:21], v[20:21], v[2:3]
	v_rcp_f64_e32 v[8:9], v[6:7]
	v_add_u32_e32 v13, 0x200, v13
	ds_write_b64 v15, v[24:25]
	ds_write_b64 v12, v[26:27]
	ds_write_b64 v13, v[4:5]
	s_add_i32 s9, s8, -4
	v_fma_f64 v[4:5], -v[6:7], v[8:9], 1.0
	v_fmac_f64_e32 v[8:9], v[8:9], v[4:5]
	v_fma_f64 v[4:5], -v[6:7], v[8:9], 1.0
	v_fmac_f64_e32 v[8:9], v[8:9], v[4:5]
	v_div_scale_f64 v[4:5], vcc, v[2:3], v[20:21], v[2:3]
	v_mul_f64 v[12:13], v[4:5], v[8:9]
	v_fma_f64 v[4:5], -v[6:7], v[12:13], v[4:5]
	s_addk_i32 s1, 0xff00
	s_nop 0
	v_div_fmas_f64 v[4:5], v[4:5], v[8:9], v[12:13]
	v_div_fixup_f64 v[2:3], v[4:5], v[20:21], v[2:3]
	s_cmp_lt_i32 s8, 7
	ds_write_b64 v11, v[2:3]
	s_cbranch_scc1 .LBB76_66
; %bb.65:                               ;   in Loop: Header=BB76_62 Depth=1
	s_mov_b32 s8, s9
	s_branch .LBB76_62
.LBB76_66:
	s_cmp_lt_i32 s9, 0
	s_cbranch_scc1 .LBB76_79
; %bb.67:
	s_bitcmp1_b32 s9, 0
	s_cselect_b64 s[12:13], -1, 0
	s_and_b64 vcc, exec, s[12:13]
	s_mov_b32 s1, s9
	s_cbranch_vccnz .LBB76_72
; %bb.68:
	v_lshlrev_b32_e32 v4, 3, v0
	v_lshl_or_b32 v1, s9, 6, v4
	ds_read_b64 v[2:3], v1 offset:512
	s_cmp_le_i32 s33, s9
	s_cbranch_scc1 .LBB76_71
; %bb.69:
	s_lshl_b32 s1, s9, 6
	s_lshl_b32 s8, s31, 3
	s_add_i32 s1, s1, s8
	v_lshl_or_b32 v4, s31, 6, v4
	s_add_i32 s1, s1, -8
	v_add_u32_e32 v4, 0x1c0, v4
	s_mov_b32 s8, s33
.LBB76_70:                              ; =>This Inner Loop Header: Depth=1
	v_mov_b32_e32 v5, s1
	ds_read_b64 v[6:7], v4
	ds_read_b64 v[8:9], v5
	s_add_i32 s8, s8, -1
	s_add_i32 s1, s1, -8
	v_subrev_u32_e32 v4, 64, v4
	s_cmp_gt_i32 s8, s9
	s_waitcnt lgkmcnt(0)
	v_fma_f64 v[2:3], -v[6:7], v[8:9], v[2:3]
	s_cbranch_scc1 .LBB76_70
.LBB76_71:
	s_mul_i32 s1, s9, 0x48
	v_mov_b32_e32 v4, s1
	ds_read_b64 v[4:5], v4
	v_add_u32_e32 v1, 0x200, v1
	s_add_i32 s1, s9, -1
	s_waitcnt lgkmcnt(0)
	v_div_scale_f64 v[6:7], s[12:13], v[4:5], v[4:5], v[2:3]
	v_rcp_f64_e32 v[8:9], v[6:7]
	v_div_scale_f64 v[10:11], vcc, v[2:3], v[4:5], v[2:3]
	v_fma_f64 v[12:13], -v[6:7], v[8:9], 1.0
	v_fmac_f64_e32 v[8:9], v[8:9], v[12:13]
	v_fma_f64 v[12:13], -v[6:7], v[8:9], 1.0
	v_fmac_f64_e32 v[8:9], v[8:9], v[12:13]
	v_mul_f64 v[12:13], v[10:11], v[8:9]
	v_fma_f64 v[6:7], -v[6:7], v[12:13], v[10:11]
	v_div_fmas_f64 v[6:7], v[6:7], v[8:9], v[12:13]
	v_div_fixup_f64 v[2:3], v[6:7], v[4:5], v[2:3]
	ds_write_b64 v1, v[2:3]
.LBB76_72:
	s_cmp_eq_u32 s9, 0
	s_cbranch_scc1 .LBB76_79
; %bb.73:
	v_lshlrev_b32_e32 v1, 3, v0
	s_lshl_b32 s8, s1, 6
	s_lshl_b32 s9, s31, 3
	v_lshl_or_b32 v2, s31, 6, v1
	s_add_i32 s9, s8, s9
	v_add_u32_e32 v6, 0x1c0, v2
	s_add_i32 s8, s9, -8
	s_addk_i32 s9, 0xffb8
	s_branch .LBB76_75
.LBB76_74:                              ;   in Loop: Header=BB76_75 Depth=1
	s_addk_i32 s12, 0xffb8
	v_mov_b32_e32 v5, s12
	ds_read_b64 v[8:9], v5
	s_add_i32 s16, s1, -2
	s_addk_i32 s8, 0xff80
	s_addk_i32 s9, 0xff80
	v_add_u32_e32 v4, 0x200, v7
	s_waitcnt lgkmcnt(0)
	v_div_scale_f64 v[10:11], s[12:13], v[8:9], v[8:9], v[2:3]
	v_rcp_f64_e32 v[12:13], v[10:11]
	v_div_scale_f64 v[14:15], vcc, v[2:3], v[8:9], v[2:3]
	s_cmp_lt_i32 s1, 2
	v_fma_f64 v[16:17], -v[10:11], v[12:13], 1.0
	v_fmac_f64_e32 v[12:13], v[12:13], v[16:17]
	v_fma_f64 v[16:17], -v[10:11], v[12:13], 1.0
	v_fmac_f64_e32 v[12:13], v[12:13], v[16:17]
	v_mul_f64 v[16:17], v[14:15], v[12:13]
	v_fma_f64 v[10:11], -v[10:11], v[16:17], v[14:15]
	v_div_fmas_f64 v[10:11], v[10:11], v[12:13], v[16:17]
	v_div_fixup_f64 v[2:3], v[10:11], v[8:9], v[2:3]
	s_mov_b32 s1, s16
	ds_write_b64 v4, v[2:3]
	s_cbranch_scc1 .LBB76_79
.LBB76_75:                              ; =>This Loop Header: Depth=1
                                        ;     Child Loop BB76_76 Depth 2
                                        ;     Child Loop BB76_78 Depth 2
	v_lshl_or_b32 v2, s1, 6, v1
	ds_read_b64 v[4:5], v2 offset:512
	s_cmp_le_i32 s33, s1
	s_mov_b32 s12, s8
	v_mov_b32_e32 v3, v6
	s_mov_b32 s13, s33
	s_cbranch_scc1 .LBB76_77
.LBB76_76:                              ;   Parent Loop BB76_75 Depth=1
                                        ; =>  This Inner Loop Header: Depth=2
	v_mov_b32_e32 v7, s12
	ds_read_b64 v[8:9], v3
	ds_read_b64 v[10:11], v7
	s_add_i32 s13, s13, -1
	s_add_i32 s12, s12, -8
	v_subrev_u32_e32 v3, 64, v3
	s_cmp_le_i32 s13, s1
	s_waitcnt lgkmcnt(0)
	v_fma_f64 v[4:5], -v[8:9], v[10:11], v[4:5]
	s_cbranch_scc0 .LBB76_76
.LBB76_77:                              ;   in Loop: Header=BB76_75 Depth=1
	s_mul_i32 s12, s1, 0x48
	v_add_u32_e32 v8, 0x200, v2
	v_mov_b32_e32 v2, s12
	ds_read_b64 v[10:11], v2
	s_lshl_b32 s13, s1, 6
	s_sub_i32 s13, s13, 64
	v_lshl_or_b32 v7, v0, 3, s13
	ds_read_b64 v[2:3], v7 offset:512
	s_waitcnt lgkmcnt(1)
	v_div_scale_f64 v[12:13], s[16:17], v[10:11], v[10:11], v[4:5]
	v_rcp_f64_e32 v[14:15], v[12:13]
	v_div_scale_f64 v[16:17], vcc, v[4:5], v[10:11], v[4:5]
	s_cmp_lt_i32 s33, s1
	v_fma_f64 v[18:19], -v[12:13], v[14:15], 1.0
	v_fmac_f64_e32 v[14:15], v[14:15], v[18:19]
	v_fma_f64 v[18:19], -v[12:13], v[14:15], 1.0
	v_fmac_f64_e32 v[14:15], v[14:15], v[18:19]
	v_mul_f64 v[18:19], v[16:17], v[14:15]
	v_fma_f64 v[12:13], -v[12:13], v[18:19], v[16:17]
	v_div_fmas_f64 v[12:13], v[12:13], v[14:15], v[18:19]
	v_div_fixup_f64 v[4:5], v[12:13], v[10:11], v[4:5]
	ds_write_b64 v8, v[4:5]
	v_mov_b32_e32 v4, v6
	s_mov_b32 s13, s9
	s_mov_b32 s16, s31
	s_cbranch_scc1 .LBB76_74
.LBB76_78:                              ;   Parent Loop BB76_75 Depth=1
                                        ; =>  This Inner Loop Header: Depth=2
	v_mov_b32_e32 v5, s13
	ds_read_b64 v[8:9], v4
	ds_read_b64 v[10:11], v5
	s_add_i32 s16, s16, -1
	s_add_i32 s13, s13, -8
	v_subrev_u32_e32 v4, 64, v4
	s_cmp_gt_i32 s16, s1
	s_waitcnt lgkmcnt(0)
	v_fma_f64 v[2:3], -v[8:9], v[10:11], v[2:3]
	s_cbranch_scc1 .LBB76_78
	s_branch .LBB76_74
.LBB76_79:
	s_mov_b64 s[18:19], 0
.LBB76_80:
	s_andn2_b64 vcc, exec, s[18:19]
	s_cbranch_vccnz .LBB76_99
; %bb.81:
	s_cmp_lt_i32 s30, 4
	s_mov_b32 s9, 0
	s_cbranch_scc1 .LBB76_88
; %bb.82:
	v_mov_b32_e32 v1, 0x200
	v_lshl_or_b32 v1, v0, 3, v1
	s_mov_b32 s1, 0
	s_mov_b32 s8, 0
.LBB76_83:                              ; =>This Loop Header: Depth=1
                                        ;     Child Loop BB76_85 Depth 2
	s_lshl_b32 s9, s8, 3
	v_or_b32_e32 v2, s9, v0
	s_or_b32 s13, s9, 8
	v_lshlrev_b32_e32 v10, 3, v2
	v_or_b32_e32 v2, s13, v0
	s_or_b32 s12, s9, 16
	v_lshlrev_b32_e32 v12, 3, v2
	;; [unrolled: 3-line block ×3, first 2 shown]
	v_or_b32_e32 v2, s9, v0
	v_lshlrev_b32_e32 v14, 3, v2
	ds_read_b64 v[8:9], v10 offset:512
	ds_read_b64 v[6:7], v12 offset:512
	ds_read_b64 v[4:5], v13 offset:512
	ds_read_b64 v[2:3], v14 offset:512
	s_cmp_eq_u32 s8, 0
	s_cbranch_scc1 .LBB76_86
; %bb.84:                               ;   in Loop: Header=BB76_83 Depth=1
	s_mov_b32 s16, 0
	s_mov_b32 s17, s1
	v_mov_b32_e32 v11, v1
.LBB76_85:                              ;   Parent Loop BB76_83 Depth=1
                                        ; =>  This Inner Loop Header: Depth=2
	v_mov_b32_e32 v15, s17
	ds_read_b64 v[24:25], v11
	ds_read2_b64 v[16:19], v15 offset1:8
	ds_read2_b64 v[20:23], v15 offset0:16 offset1:24
	s_add_i32 s16, s16, 1
	s_add_i32 s17, s17, 8
	v_add_u32_e32 v11, 64, v11
	s_cmp_ge_u32 s16, s8
	s_waitcnt lgkmcnt(1)
	v_fma_f64 v[8:9], -v[24:25], v[16:17], v[8:9]
	v_fma_f64 v[6:7], -v[24:25], v[18:19], v[6:7]
	s_waitcnt lgkmcnt(0)
	v_fma_f64 v[4:5], -v[24:25], v[20:21], v[4:5]
	v_fma_f64 v[2:3], -v[24:25], v[22:23], v[2:3]
	s_cbranch_scc0 .LBB76_85
.LBB76_86:                              ;   in Loop: Header=BB76_83 Depth=1
	s_mul_i32 s16, s8, 0x48
	v_add_u32_e32 v11, 0x200, v10
	v_add_u32_e32 v10, 0x200, v14
	v_mov_b32_e32 v14, s16
	ds_read2_b64 v[14:17], v14 offset1:18
	s_add_i32 s13, s13, s8
	s_lshl_b32 s13, s13, 3
	v_mov_b32_e32 v26, s13
	s_add_i32 s12, s12, s8
	s_waitcnt lgkmcnt(0)
	v_div_scale_f64 v[18:19], s[16:17], v[14:15], v[14:15], v[8:9]
	v_rcp_f64_e32 v[20:21], v[18:19]
	v_div_scale_f64 v[22:23], vcc, v[8:9], v[14:15], v[8:9]
	s_lshl_b32 s12, s12, 3
	v_fma_f64 v[24:25], -v[18:19], v[20:21], 1.0
	v_fmac_f64_e32 v[20:21], v[20:21], v[24:25]
	v_fma_f64 v[24:25], -v[18:19], v[20:21], 1.0
	v_fmac_f64_e32 v[20:21], v[20:21], v[24:25]
	v_mul_f64 v[24:25], v[22:23], v[20:21]
	v_fma_f64 v[18:19], -v[18:19], v[24:25], v[22:23]
	v_div_fmas_f64 v[18:19], v[18:19], v[20:21], v[24:25]
	v_div_fixup_f64 v[8:9], v[18:19], v[14:15], v[8:9]
	ds_read_b128 v[18:21], v26
	v_mov_b32_e32 v14, s12
	ds_read_b128 v[22:25], v14
	s_add_i32 s9, s9, s8
	s_lshl_b32 s9, s9, 3
	s_waitcnt lgkmcnt(1)
	v_fma_f64 v[6:7], -v[8:9], v[18:19], v[6:7]
	v_div_scale_f64 v[14:15], s[12:13], v[20:21], v[20:21], v[6:7]
	v_rcp_f64_e32 v[18:19], v[14:15]
	s_waitcnt lgkmcnt(0)
	v_fma_f64 v[4:5], -v[8:9], v[22:23], v[4:5]
	v_add_u32_e32 v12, 0x200, v12
	v_add_u32_e32 v13, 0x200, v13
	v_fma_f64 v[26:27], -v[14:15], v[18:19], 1.0
	v_fmac_f64_e32 v[18:19], v[18:19], v[26:27]
	v_fma_f64 v[26:27], -v[14:15], v[18:19], 1.0
	v_fmac_f64_e32 v[18:19], v[18:19], v[26:27]
	v_div_scale_f64 v[26:27], vcc, v[6:7], v[20:21], v[6:7]
	v_mul_f64 v[28:29], v[26:27], v[18:19]
	v_fma_f64 v[14:15], -v[14:15], v[28:29], v[26:27]
	s_addk_i32 s1, 0x100
	s_nop 0
	v_div_fmas_f64 v[14:15], v[14:15], v[18:19], v[28:29]
	v_div_fixup_f64 v[14:15], v[14:15], v[20:21], v[6:7]
	v_fma_f64 v[22:23], -v[14:15], v[24:25], v[4:5]
	v_div_scale_f64 v[4:5], s[12:13], v[16:17], v[16:17], v[22:23]
	v_rcp_f64_e32 v[24:25], v[4:5]
	v_mov_b32_e32 v18, s9
	s_add_i32 s9, s8, 4
	s_add_i32 s8, s8, 7
	v_fma_f64 v[6:7], -v[4:5], v[24:25], 1.0
	v_fmac_f64_e32 v[24:25], v[24:25], v[6:7]
	v_fma_f64 v[6:7], -v[4:5], v[24:25], 1.0
	v_fmac_f64_e32 v[24:25], v[24:25], v[6:7]
	v_div_scale_f64 v[6:7], vcc, v[22:23], v[16:17], v[22:23]
	v_mul_f64 v[26:27], v[6:7], v[24:25]
	v_fma_f64 v[28:29], -v[4:5], v[26:27], v[6:7]
	ds_read_b128 v[4:7], v18
	ds_read_b128 v[18:21], v18 offset:16
	v_div_fmas_f64 v[24:25], v[28:29], v[24:25], v[26:27]
	v_div_fixup_f64 v[16:17], v[24:25], v[16:17], v[22:23]
	ds_write_b64 v11, v[8:9]
	ds_write_b64 v12, v[14:15]
	ds_write_b64 v13, v[16:17]
	s_waitcnt lgkmcnt(4)
	v_fma_f64 v[2:3], -v[8:9], v[4:5], v[2:3]
	v_fma_f64 v[2:3], -v[14:15], v[6:7], v[2:3]
	s_waitcnt lgkmcnt(3)
	v_fma_f64 v[2:3], -v[16:17], v[18:19], v[2:3]
	v_div_scale_f64 v[4:5], s[12:13], v[20:21], v[20:21], v[2:3]
	v_rcp_f64_e32 v[6:7], v[4:5]
	s_cmp_ge_i32 s8, s31
	v_fma_f64 v[8:9], -v[4:5], v[6:7], 1.0
	v_fmac_f64_e32 v[6:7], v[6:7], v[8:9]
	v_fma_f64 v[8:9], -v[4:5], v[6:7], 1.0
	v_fmac_f64_e32 v[6:7], v[6:7], v[8:9]
	v_div_scale_f64 v[8:9], vcc, v[2:3], v[20:21], v[2:3]
	v_mul_f64 v[12:13], v[8:9], v[6:7]
	v_fma_f64 v[4:5], -v[4:5], v[12:13], v[8:9]
	s_nop 1
	v_div_fmas_f64 v[4:5], v[4:5], v[6:7], v[12:13]
	v_div_fixup_f64 v[2:3], v[4:5], v[20:21], v[2:3]
	ds_write_b64 v10, v[2:3]
	s_cbranch_scc1 .LBB76_88
; %bb.87:                               ;   in Loop: Header=BB76_83 Depth=1
	s_mov_b32 s8, s9
	s_branch .LBB76_83
.LBB76_88:
	s_cmp_ge_i32 s9, s31
	s_cbranch_scc1 .LBB76_99
; %bb.89:
	v_mov_b32_e32 v1, 0x200
	s_add_i32 s1, s9, -1
	v_lshl_or_b32 v1, v0, 3, v1
	s_lshl_b32 s8, s9, 6
	s_mov_b32 s12, 0
	v_lshlrev_b32_e32 v4, 3, v0
	s_mov_b32 s13, s9
	s_branch .LBB76_91
.LBB76_90:                              ;   in Loop: Header=BB76_91 Depth=1
	s_mul_i32 s16, s9, 0x48
	v_mov_b32_e32 v6, s16
	ds_read_b64 v[6:7], v6
	v_add_u32_e32 v5, 0x200, v5
	s_add_i32 s9, s9, 1
	s_add_i32 s12, s12, 1
	;; [unrolled: 1-line block ×3, first 2 shown]
	s_waitcnt lgkmcnt(0)
	v_div_scale_f64 v[8:9], s[16:17], v[6:7], v[6:7], v[2:3]
	v_rcp_f64_e32 v[10:11], v[8:9]
	v_div_scale_f64 v[12:13], vcc, v[2:3], v[6:7], v[2:3]
	s_cmp_ge_i32 s9, s31
	v_fma_f64 v[14:15], -v[8:9], v[10:11], 1.0
	v_fmac_f64_e32 v[10:11], v[10:11], v[14:15]
	v_fma_f64 v[14:15], -v[8:9], v[10:11], 1.0
	v_fmac_f64_e32 v[10:11], v[10:11], v[14:15]
	v_mul_f64 v[14:15], v[12:13], v[10:11]
	v_fma_f64 v[8:9], -v[8:9], v[14:15], v[12:13]
	v_div_fmas_f64 v[8:9], v[8:9], v[10:11], v[14:15]
	v_div_fixup_f64 v[2:3], v[8:9], v[6:7], v[2:3]
	ds_write_b64 v5, v[2:3]
	v_add_u16_e64 v2, s13, 1
	v_readfirstlane_b32 s13, v2
	s_cbranch_scc1 .LBB76_99
.LBB76_91:                              ; =>This Loop Header: Depth=1
                                        ;     Child Loop BB76_94 Depth 2
                                        ;     Child Loop BB76_98 Depth 2
	v_lshl_or_b32 v5, s9, 6, v4
	ds_read_b64 v[2:3], v5 offset:512
	s_cmp_eq_u32 s9, 0
	s_cbranch_scc1 .LBB76_90
; %bb.92:                               ;   in Loop: Header=BB76_91 Depth=1
	s_add_i32 s16, s1, s12
	s_cmp_lt_u32 s16, 7
	s_cbranch_scc1 .LBB76_96
; %bb.93:                               ;   in Loop: Header=BB76_91 Depth=1
	s_and_b32 s16, s9, -8
	s_mov_b32 s17, 0
	s_mov_b32 s18, s8
	v_mov_b32_e32 v6, v1
.LBB76_94:                              ;   Parent Loop BB76_91 Depth=1
                                        ; =>  This Inner Loop Header: Depth=2
	ds_read2_b64 v[8:11], v6 offset1:8
	v_mov_b32_e32 v7, s18
	ds_read2_b64 v[12:15], v6 offset0:16 offset1:24
	ds_read2_b64 v[16:19], v6 offset0:32 offset1:40
	;; [unrolled: 1-line block ×3, first 2 shown]
	ds_read_b128 v[24:27], v7
	ds_read_b128 v[28:31], v7 offset:16
	ds_read_b128 v[32:35], v7 offset:32
	;; [unrolled: 1-line block ×3, first 2 shown]
	s_add_i32 s17, s17, 8
	s_waitcnt lgkmcnt(3)
	v_fma_f64 v[2:3], -v[8:9], v[24:25], v[2:3]
	v_fma_f64 v[2:3], -v[10:11], v[26:27], v[2:3]
	s_waitcnt lgkmcnt(2)
	v_fma_f64 v[2:3], -v[12:13], v[28:29], v[2:3]
	v_fma_f64 v[2:3], -v[14:15], v[30:31], v[2:3]
	;; [unrolled: 3-line block ×3, first 2 shown]
	s_add_i32 s18, s18, 64
	s_waitcnt lgkmcnt(0)
	v_fma_f64 v[2:3], -v[20:21], v[36:37], v[2:3]
	v_add_u32_e32 v6, 0x200, v6
	s_cmp_eq_u32 s16, s17
	v_fma_f64 v[2:3], -v[22:23], v[38:39], v[2:3]
	s_cbranch_scc0 .LBB76_94
; %bb.95:                               ;   in Loop: Header=BB76_91 Depth=1
	s_and_b32 s17, s9, 7
	s_cmp_eq_u32 s17, 0
	s_cbranch_scc0 .LBB76_97
	s_branch .LBB76_90
.LBB76_96:                              ;   in Loop: Header=BB76_91 Depth=1
	s_mov_b32 s16, 0
	s_and_b32 s17, s9, 7
	s_cmp_eq_u32 s17, 0
	s_cbranch_scc1 .LBB76_90
.LBB76_97:                              ;   in Loop: Header=BB76_91 Depth=1
	s_and_b32 s17, s13, 7
	s_lshl_b32 s18, s16, 3
	v_lshl_add_u32 v6, s16, 6, v1
.LBB76_98:                              ;   Parent Loop BB76_91 Depth=1
                                        ; =>  This Inner Loop Header: Depth=2
	s_add_i32 s16, s8, s18
	v_mov_b32_e32 v7, s16
	ds_read_b64 v[8:9], v6
	ds_read_b64 v[10:11], v7
	s_add_i32 s18, s18, 8
	s_add_i32 s17, s17, -1
	v_add_u32_e32 v6, 64, v6
	s_cmp_lg_u32 s17, 0
	s_waitcnt lgkmcnt(0)
	v_fma_f64 v[2:3], -v[8:9], v[10:11], v[2:3]
	s_cbranch_scc1 .LBB76_98
	s_branch .LBB76_90
.LBB76_99:
	s_and_saveexec_b64 s[8:9], s[10:11]
	s_cbranch_execz .LBB76_106
; %bb.100:
	s_ashr_i32 s1, s0, 31
	s_mov_b32 s16, 0
	s_cmp_lt_u32 s30, 4
	v_lshlrev_b32_e32 v4, 3, v0
	s_cbranch_scc1 .LBB76_103
; %bb.101:
	v_mov_b32_e32 v1, s25
	v_add_co_u32_e32 v2, vcc, s24, v4
	v_addc_co_u32_e32 v3, vcc, 0, v1, vcc
	v_mov_b32_e32 v1, 0x200
	s_mul_hi_i32 s19, s0, 24
	s_lshl_b64 s[8:9], s[0:1], 5
	s_lshl_b64 s[10:11], s[0:1], 4
	;; [unrolled: 1-line block ×3, first 2 shown]
	s_and_b32 s16, s30, 0x7ffffffc
	v_lshl_or_b32 v0, v0, 3, v1
	s_mul_i32 s17, s0, 24
	s_mov_b32 s18, 0
	v_mov_b32_e32 v1, s13
	v_mov_b32_e32 v5, s11
	;; [unrolled: 1-line block ×4, first 2 shown]
.LBB76_102:                             ; =>This Inner Loop Header: Depth=1
	v_add_co_u32_e32 v16, vcc, s12, v2
	ds_read2_b64 v[8:11], v0 offset1:8
	v_addc_co_u32_e32 v17, vcc, v3, v1, vcc
	v_add_co_u32_e32 v18, vcc, s10, v2
	ds_read2_b64 v[12:15], v0 offset0:16 offset1:24
	v_addc_co_u32_e32 v19, vcc, v3, v5, vcc
	v_add_co_u32_e32 v20, vcc, s17, v2
	v_addc_co_u32_e32 v21, vcc, v3, v6, vcc
	s_add_i32 s18, s18, 4
	s_waitcnt lgkmcnt(1)
	global_store_dwordx2 v[2:3], v[8:9], off
	global_store_dwordx2 v[16:17], v[10:11], off
	s_waitcnt lgkmcnt(0)
	global_store_dwordx2 v[18:19], v[12:13], off
	global_store_dwordx2 v[20:21], v[14:15], off
	v_add_co_u32_e32 v2, vcc, s8, v2
	v_add_u32_e32 v0, 0x100, v0
	s_cmp_lg_u32 s16, s18
	v_addc_co_u32_e32 v3, vcc, v3, v7, vcc
	s_cbranch_scc1 .LBB76_102
.LBB76_103:
	s_and_b32 s8, s30, 3
	s_cmp_eq_u32 s8, 0
	s_cbranch_scc1 .LBB76_106
; %bb.104:
	s_mul_hi_i32 s11, s0, s16
	s_mul_i32 s10, s0, s16
	s_lshl_b64 s[10:11], s[10:11], 3
	s_add_u32 s9, s14, s10
	s_addc_u32 s10, s15, s11
	s_add_u32 s6, s9, s6
	s_addc_u32 s7, s10, s7
	;; [unrolled: 2-line block ×4, first 2 shown]
	v_mov_b32_e32 v1, s3
	v_add_co_u32_e32 v0, vcc, s2, v4
	s_lshl_b64 s[0:1], s[0:1], 3
	v_lshl_or_b32 v2, s16, 6, v4
	v_addc_co_u32_e32 v1, vcc, 0, v1, vcc
	v_add_u32_e32 v2, 0x200, v2
	v_mov_b32_e32 v3, s1
.LBB76_105:                             ; =>This Inner Loop Header: Depth=1
	ds_read_b64 v[4:5], v2
	s_add_i32 s8, s8, -1
	v_add_u32_e32 v2, 64, v2
	s_cmp_lg_u32 s8, 0
	s_waitcnt lgkmcnt(0)
	global_store_dwordx2 v[0:1], v[4:5], off
	v_add_co_u32_e32 v0, vcc, s0, v0
	v_addc_co_u32_e32 v1, vcc, v1, v3, vcc
	s_cbranch_scc1 .LBB76_105
.LBB76_106:
	s_endpgm
	.section	.rodata,"a",@progbits
	.p2align	6, 0x0
	.amdhsa_kernel _ZL31rocblas_trsm_small_right_deviceIddPKdPdLi8EEv13rocblas_fill_18rocblas_operation_17rocblas_diagonal_iiT0_T1_lilT2_lili
		.amdhsa_group_segment_fixed_size 1024
		.amdhsa_private_segment_fixed_size 0
		.amdhsa_kernarg_size 360
		.amdhsa_user_sgpr_count 6
		.amdhsa_user_sgpr_private_segment_buffer 1
		.amdhsa_user_sgpr_dispatch_ptr 0
		.amdhsa_user_sgpr_queue_ptr 0
		.amdhsa_user_sgpr_kernarg_segment_ptr 1
		.amdhsa_user_sgpr_dispatch_id 0
		.amdhsa_user_sgpr_flat_scratch_init 0
		.amdhsa_user_sgpr_kernarg_preload_length 0
		.amdhsa_user_sgpr_kernarg_preload_offset 0
		.amdhsa_user_sgpr_private_segment_size 0
		.amdhsa_uses_dynamic_stack 0
		.amdhsa_system_sgpr_private_segment_wavefront_offset 0
		.amdhsa_system_sgpr_workgroup_id_x 1
		.amdhsa_system_sgpr_workgroup_id_y 0
		.amdhsa_system_sgpr_workgroup_id_z 1
		.amdhsa_system_sgpr_workgroup_info 0
		.amdhsa_system_vgpr_workitem_id 0
		.amdhsa_next_free_vgpr 56
		.amdhsa_next_free_sgpr 38
		.amdhsa_accum_offset 56
		.amdhsa_reserve_vcc 1
		.amdhsa_reserve_flat_scratch 0
		.amdhsa_float_round_mode_32 0
		.amdhsa_float_round_mode_16_64 0
		.amdhsa_float_denorm_mode_32 3
		.amdhsa_float_denorm_mode_16_64 3
		.amdhsa_dx10_clamp 1
		.amdhsa_ieee_mode 1
		.amdhsa_fp16_overflow 0
		.amdhsa_tg_split 0
		.amdhsa_exception_fp_ieee_invalid_op 0
		.amdhsa_exception_fp_denorm_src 0
		.amdhsa_exception_fp_ieee_div_zero 0
		.amdhsa_exception_fp_ieee_overflow 0
		.amdhsa_exception_fp_ieee_underflow 0
		.amdhsa_exception_fp_ieee_inexact 0
		.amdhsa_exception_int_div_zero 0
	.end_amdhsa_kernel
	.section	.text._ZL31rocblas_trsm_small_right_deviceIddPKdPdLi8EEv13rocblas_fill_18rocblas_operation_17rocblas_diagonal_iiT0_T1_lilT2_lili,"axG",@progbits,_ZL31rocblas_trsm_small_right_deviceIddPKdPdLi8EEv13rocblas_fill_18rocblas_operation_17rocblas_diagonal_iiT0_T1_lilT2_lili,comdat
.Lfunc_end76:
	.size	_ZL31rocblas_trsm_small_right_deviceIddPKdPdLi8EEv13rocblas_fill_18rocblas_operation_17rocblas_diagonal_iiT0_T1_lilT2_lili, .Lfunc_end76-_ZL31rocblas_trsm_small_right_deviceIddPKdPdLi8EEv13rocblas_fill_18rocblas_operation_17rocblas_diagonal_iiT0_T1_lilT2_lili
                                        ; -- End function
	.section	.AMDGPU.csdata,"",@progbits
; Kernel info:
; codeLenInByte = 7588
; NumSgprs: 42
; NumVgprs: 56
; NumAgprs: 0
; TotalNumVgprs: 56
; ScratchSize: 0
; MemoryBound: 0
; FloatMode: 240
; IeeeMode: 1
; LDSByteSize: 1024 bytes/workgroup (compile time only)
; SGPRBlocks: 5
; VGPRBlocks: 6
; NumSGPRsForWavesPerEU: 42
; NumVGPRsForWavesPerEU: 56
; AccumOffset: 56
; Occupancy: 8
; WaveLimiterHint : 0
; COMPUTE_PGM_RSRC2:SCRATCH_EN: 0
; COMPUTE_PGM_RSRC2:USER_SGPR: 6
; COMPUTE_PGM_RSRC2:TRAP_HANDLER: 0
; COMPUTE_PGM_RSRC2:TGID_X_EN: 1
; COMPUTE_PGM_RSRC2:TGID_Y_EN: 0
; COMPUTE_PGM_RSRC2:TGID_Z_EN: 1
; COMPUTE_PGM_RSRC2:TIDIG_COMP_CNT: 0
; COMPUTE_PGM_RSRC3_GFX90A:ACCUM_OFFSET: 13
; COMPUTE_PGM_RSRC3_GFX90A:TG_SPLIT: 0
	.section	.text._ZL38rocblas_trsm_small_left_device_sharedBILi12ELi12ELb0EddPKdPdEv13rocblas_fill_18rocblas_operation_17rocblas_diagonal_iiT3_T4_lilT5_lili,"axG",@progbits,_ZL38rocblas_trsm_small_left_device_sharedBILi12ELi12ELb0EddPKdPdEv13rocblas_fill_18rocblas_operation_17rocblas_diagonal_iiT3_T4_lilT5_lili,comdat
	.globl	_ZL38rocblas_trsm_small_left_device_sharedBILi12ELi12ELb0EddPKdPdEv13rocblas_fill_18rocblas_operation_17rocblas_diagonal_iiT3_T4_lilT5_lili ; -- Begin function _ZL38rocblas_trsm_small_left_device_sharedBILi12ELi12ELb0EddPKdPdEv13rocblas_fill_18rocblas_operation_17rocblas_diagonal_iiT3_T4_lilT5_lili
	.p2align	8
	.type	_ZL38rocblas_trsm_small_left_device_sharedBILi12ELi12ELb0EddPKdPdEv13rocblas_fill_18rocblas_operation_17rocblas_diagonal_iiT3_T4_lilT5_lili,@function
_ZL38rocblas_trsm_small_left_device_sharedBILi12ELi12ELb0EddPKdPdEv13rocblas_fill_18rocblas_operation_17rocblas_diagonal_iiT3_T4_lilT5_lili: ; @_ZL38rocblas_trsm_small_left_device_sharedBILi12ELi12ELb0EddPKdPdEv13rocblas_fill_18rocblas_operation_17rocblas_diagonal_iiT3_T4_lilT5_lili
; %bb.0:
	s_load_dwordx4 s[8:11], s[4:5], 0x4
	s_load_dwordx4 s[12:15], s[4:5], 0x18
	s_load_dwordx2 s[20:21], s[4:5], 0x28
	s_load_dwordx4 s[0:3], s[4:5], 0x38
	s_load_dwordx2 s[16:17], s[4:5], 0x48
	s_waitcnt lgkmcnt(0)
	s_min_i32 s30, s10, 12
	s_mov_b32 s33, 0
	s_add_i32 s31, s30, -1
	v_cmp_gt_i32_e32 vcc, s30, v0
	s_and_saveexec_b64 s[18:19], vcc
	s_cbranch_execz .LBB77_10
; %bb.1:
	s_load_dword s22, s[4:5], 0x30
	s_mul_i32 s1, s7, s1
	s_mul_hi_u32 s24, s7, s0
	s_add_i32 s1, s24, s1
	s_mul_i32 s0, s7, s0
	s_waitcnt lgkmcnt(0)
	s_ashr_i32 s23, s22, 31
	s_cmp_lt_u32 s31, 3
	s_cbranch_scc1 .LBB77_4
; %bb.2:
	s_lshl_b64 s[24:25], s[0:1], 3
	s_add_u32 s26, s14, s24
	s_addc_u32 s27, s15, s25
	s_lshl_b64 s[24:25], s[20:21], 3
	s_add_u32 s24, s26, s24
	s_addc_u32 s25, s27, s25
	v_lshlrev_b32_e32 v1, 3, v0
	v_mov_b32_e32 v3, s25
	v_add_co_u32_e32 v2, vcc, s24, v1
	s_mul_hi_i32 s36, s22, 24
	s_lshl_b64 s[24:25], s[22:23], 5
	s_lshl_b64 s[26:27], s[22:23], 4
	;; [unrolled: 1-line block ×3, first 2 shown]
	v_addc_co_u32_e32 v3, vcc, 0, v3, vcc
	s_and_b32 s33, s30, -4
	s_mul_i32 s34, s22, 24
	s_mov_b32 s35, 0
	v_mov_b32_e32 v4, s29
	v_mov_b32_e32 v5, s27
	v_mov_b32_e32 v6, s36
	v_mov_b32_e32 v7, s25
.LBB77_3:                               ; =>This Inner Loop Header: Depth=1
	v_add_co_u32_e32 v10, vcc, s28, v2
	v_addc_co_u32_e32 v11, vcc, v3, v4, vcc
	v_add_co_u32_e32 v12, vcc, s26, v2
	v_addc_co_u32_e32 v13, vcc, v3, v5, vcc
	v_add_co_u32_e32 v14, vcc, s34, v2
	global_load_dwordx2 v[8:9], v[2:3], off
	v_addc_co_u32_e32 v15, vcc, v3, v6, vcc
	global_load_dwordx2 v[16:17], v[10:11], off
	global_load_dwordx2 v[18:19], v[12:13], off
	;; [unrolled: 1-line block ×3, first 2 shown]
	s_add_i32 s35, s35, 4
	v_add_co_u32_e32 v2, vcc, s24, v2
	v_addc_co_u32_e32 v3, vcc, v3, v7, vcc
	s_cmp_eq_u32 s33, s35
	s_waitcnt vmcnt(2)
	ds_write2_b64 v1, v[8:9], v[16:17] offset1:12
	s_waitcnt vmcnt(0)
	ds_write2_b64 v1, v[18:19], v[20:21] offset0:24 offset1:36
	v_add_u32_e32 v1, 0x180, v1
	s_cbranch_scc0 .LBB77_3
.LBB77_4:
	s_and_b32 s24, s30, 3
	s_cmp_eq_u32 s24, 0
	s_cbranch_scc1 .LBB77_7
; %bb.5:
	s_mul_i32 s25, s33, 0x60
	v_lshl_add_u32 v1, v0, 3, s25
	s_mul_i32 s25, s23, s33
	s_mul_hi_u32 s26, s22, s33
	s_add_i32 s27, s26, s25
	s_mul_i32 s26, s22, s33
	s_lshl_b64 s[0:1], s[0:1], 3
	s_lshl_b64 s[26:27], s[26:27], 3
	s_add_u32 s25, s0, s26
	s_addc_u32 s26, s1, s27
	s_lshl_b64 s[0:1], s[20:21], 3
	s_add_u32 s0, s25, s0
	s_addc_u32 s1, s26, s1
	s_add_u32 s0, s14, s0
	v_lshlrev_b32_e32 v2, 3, v0
	s_addc_u32 s1, s15, s1
	v_mov_b32_e32 v3, s1
	v_add_co_u32_e32 v2, vcc, s0, v2
	s_lshl_b64 s[0:1], s[22:23], 3
	v_addc_co_u32_e32 v3, vcc, 0, v3, vcc
	v_mov_b32_e32 v4, s1
.LBB77_6:                               ; =>This Inner Loop Header: Depth=1
	global_load_dwordx2 v[6:7], v[2:3], off
	v_add_co_u32_e32 v2, vcc, s0, v2
	s_add_i32 s24, s24, -1
	v_addc_co_u32_e32 v3, vcc, v3, v4, vcc
	s_cmp_lg_u32 s24, 0
	s_waitcnt vmcnt(0)
	ds_write_b64 v1, v[6:7]
	v_add_u32_e32 v1, 0x60, v1
	s_cbranch_scc1 .LBB77_6
.LBB77_7:
	v_mul_u32_u24_e32 v1, 13, v0
	v_mov_b32_e32 v2, 0
	s_cmpk_lg_i32 s9, 0x84
	v_lshlrev_b32_e32 v1, 3, v1
	v_mov_b32_e32 v3, 0x3ff00000
	s_cbranch_scc0 .LBB77_9
; %bb.8:
	ds_read_b64 v[2:3], v1
	s_waitcnt lgkmcnt(0)
	v_div_scale_f64 v[4:5], s[0:1], v[2:3], v[2:3], 1.0
	v_rcp_f64_e32 v[6:7], v[4:5]
	v_div_scale_f64 v[8:9], vcc, 1.0, v[2:3], 1.0
	v_fma_f64 v[10:11], -v[4:5], v[6:7], 1.0
	v_fmac_f64_e32 v[6:7], v[6:7], v[10:11]
	v_fma_f64 v[10:11], -v[4:5], v[6:7], 1.0
	v_fmac_f64_e32 v[6:7], v[6:7], v[10:11]
	v_mul_f64 v[10:11], v[8:9], v[6:7]
	v_fma_f64 v[4:5], -v[4:5], v[10:11], v[8:9]
	v_div_fmas_f64 v[4:5], v[4:5], v[6:7], v[10:11]
	v_div_fixup_f64 v[2:3], v[4:5], v[2:3], 1.0
.LBB77_9:
	ds_write_b64 v1, v[2:3]
.LBB77_10:
	s_or_b64 exec, exec, s[18:19]
	s_load_dword s9, s[4:5], 0x68
	s_load_dword s20, s[4:5], 0x50
	s_load_dwordx2 s[0:1], s[4:5], 0x58
	s_mov_b32 s18, 0
	s_waitcnt lgkmcnt(0)
	s_ashr_i32 s21, s20, 31
	s_mul_i32 s1, s7, s1
	s_mul_hi_u32 s4, s7, s0
	s_mul_i32 s0, s7, s0
	s_add_i32 s1, s4, s1
	s_lshl_b64 s[0:1], s[0:1], 3
	s_add_u32 s7, s2, s0
	s_addc_u32 s14, s3, s1
	s_lshl_b64 s[4:5], s[16:17], 3
	s_add_u32 s16, s7, s4
	s_mul_i32 s7, s6, -12
	s_addc_u32 s17, s14, s5
	s_add_i32 s9, s9, -1
	s_add_i32 s7, s7, s11
	s_cmp_ge_u32 s6, s9
	s_mul_i32 s6, s6, 12
	s_mul_hi_i32 s15, s20, s6
	s_mul_i32 s14, s20, s6
	s_cselect_b32 s9, s7, 12
	s_ashr_i32 s7, s6, 31
	s_lshl_b64 s[14:15], s[14:15], 3
	s_add_u32 s11, s16, s14
	s_addc_u32 s22, s17, s15
	s_cmp_gt_i32 s10, 0
	v_cmp_gt_i32_e32 vcc, s9, v0
	s_cselect_b64 s[14:15], -1, 0
	s_and_b64 s[14:15], vcc, s[14:15]
	s_and_saveexec_b64 s[16:17], s[14:15]
	s_cbranch_execz .LBB77_18
; %bb.11:
	s_cmp_lt_i32 s10, 8
	s_cbranch_scc1 .LBB77_15
; %bb.12:
	v_mad_i64_i32 v[2:3], s[18:19], s20, v0, 0
	v_lshlrev_b64 v[2:3], 3, v[2:3]
	v_mov_b32_e32 v4, s22
	v_add_co_u32_e32 v1, vcc, s11, v2
	v_addc_co_u32_e32 v2, vcc, v4, v3, vcc
	v_mov_b32_e32 v3, 0x480
	s_lshl_b32 s9, s30, 3
	v_lshl_or_b32 v3, v0, 3, v3
	s_and_b32 s9, s9, 64
	s_mov_b64 s[18:19], 0
.LBB77_13:                              ; =>This Inner Loop Header: Depth=1
	v_mov_b32_e32 v4, s19
	v_add_co_u32_e32 v20, vcc, s18, v1
	v_addc_co_u32_e32 v21, vcc, v2, v4, vcc
	global_load_dwordx4 v[4:7], v[20:21], off
	global_load_dwordx4 v[8:11], v[20:21], off offset:16
	global_load_dwordx4 v[12:15], v[20:21], off offset:32
	;; [unrolled: 1-line block ×3, first 2 shown]
	s_add_u32 s18, s18, 64
	s_addc_u32 s19, s19, 0
	s_cmp_lg_u32 s9, s18
	s_waitcnt vmcnt(3)
	v_mul_f64 v[4:5], v[4:5], s[12:13]
	v_mul_f64 v[6:7], v[6:7], s[12:13]
	s_waitcnt vmcnt(2)
	v_mul_f64 v[8:9], v[8:9], s[12:13]
	v_mul_f64 v[10:11], v[10:11], s[12:13]
	;; [unrolled: 3-line block ×4, first 2 shown]
	ds_write2_b64 v3, v[4:5], v[6:7] offset1:12
	ds_write2_b64 v3, v[8:9], v[10:11] offset0:24 offset1:36
	ds_write2_b64 v3, v[12:13], v[14:15] offset0:48 offset1:60
	;; [unrolled: 1-line block ×3, first 2 shown]
	v_add_u32_e32 v3, 0x300, v3
	s_cbranch_scc1 .LBB77_13
; %bb.14:
	s_mov_b32 s18, 8
.LBB77_15:
	s_and_b32 s9, s30, 7
	s_cmp_eq_u32 s9, 0
	s_cbranch_scc1 .LBB77_18
; %bb.16:
	s_mul_i32 s19, s18, 0x60
	s_lshl_b64 s[24:25], s[6:7], 3
	s_lshl_b32 s18, s18, 3
	s_add_u32 s18, s2, s18
	v_lshl_add_u32 v1, v0, 3, s19
	s_addc_u32 s19, s3, 0
	s_add_u32 s18, s18, s4
	s_addc_u32 s19, s19, s5
	v_lshlrev_b32_e32 v2, 3, v0
	s_add_u32 s18, s18, s0
	v_mov_b32_e32 v3, s25
	v_add_co_u32_e32 v4, vcc, s24, v2
	s_addc_u32 s19, s19, s1
	v_addc_co_u32_e32 v5, vcc, 0, v3, vcc
	v_pk_mov_b32 v[2:3], s[18:19], s[18:19] op_sel:[0,1]
	v_mad_u64_u32 v[2:3], s[18:19], v4, s20, v[2:3]
	v_mul_lo_u32 v4, v4, s21
	v_mul_lo_u32 v5, v5, s20
	v_add_u32_e32 v1, 0x480, v1
	v_add3_u32 v3, v5, v3, v4
.LBB77_17:                              ; =>This Inner Loop Header: Depth=1
	global_load_dwordx2 v[4:5], v[2:3], off
	v_add_co_u32_e32 v2, vcc, 8, v2
	s_add_i32 s9, s9, -1
	v_addc_co_u32_e32 v3, vcc, 0, v3, vcc
	s_cmp_lg_u32 s9, 0
	s_waitcnt vmcnt(0)
	v_mul_f64 v[4:5], v[4:5], s[12:13]
	ds_write_b64 v1, v[4:5]
	v_add_u32_e32 v1, 0x60, v1
	s_cbranch_scc1 .LBB77_17
.LBB77_18:
	s_or_b64 exec, exec, s[16:17]
	s_cmpk_eq_i32 s8, 0x6f
	s_mov_b64 s[8:9], -1
	s_waitcnt lgkmcnt(0)
	; wave barrier
	s_waitcnt lgkmcnt(0)
	s_cbranch_scc1 .LBB77_43
; %bb.19:
	s_cmp_gt_i32 s10, 11
	s_cselect_b64 s[8:9], -1, 0
	s_and_b64 vcc, exec, s[8:9]
	s_cbranch_vccz .LBB77_21
; %bb.20:
	v_lshlrev_b32_e32 v1, 3, v0
	v_mov_b32_e32 v48, 0
	ds_read2_b64 v[10:13], v1 offset0:144 offset1:156
	ds_read2_b64 v[14:17], v1 offset0:168 offset1:180
	;; [unrolled: 1-line block ×4, first 2 shown]
	ds_read2_b64 v[26:29], v48 offset1:26
	ds_read2_b64 v[6:9], v1 offset0:240 offset1:252
	ds_read_b128 v[30:33], v48 offset:96
	ds_read_b128 v[34:37], v48 offset:192
	;; [unrolled: 1-line block ×3, first 2 shown]
	s_waitcnt lgkmcnt(4)
	v_mul_f64 v[10:11], v[10:11], v[26:27]
	v_add_u32_e32 v49, 0x800, v1
	s_waitcnt lgkmcnt(2)
	v_fma_f64 v[12:13], -v[10:11], v[30:31], v[12:13]
	v_mul_f64 v[12:13], v[12:13], v[32:33]
	ds_read_b128 v[30:33], v48 offset:288
	s_waitcnt lgkmcnt(2)
	v_fma_f64 v[14:15], -v[10:11], v[34:35], v[14:15]
	v_fma_f64 v[14:15], -v[12:13], v[36:37], v[14:15]
	v_mul_f64 v[14:15], v[14:15], v[28:29]
	ds_read_b128 v[26:29], v48 offset:384
	s_waitcnt lgkmcnt(1)
	v_fma_f64 v[16:17], -v[10:11], v[30:31], v[16:17]
	v_fma_f64 v[16:17], -v[12:13], v[32:33], v[16:17]
	;; [unrolled: 1-line block ×3, first 2 shown]
	v_mul_f64 v[16:17], v[16:17], v[40:41]
	ds_write2_b64 v1, v[10:11], v[12:13] offset0:144 offset1:156
	ds_write2_b64 v1, v[14:15], v[16:17] offset0:168 offset1:180
	ds_read2_b64 v[2:5], v49 offset0:8 offset1:20
	ds_read_b128 v[30:33], v48 offset:400
	ds_read2_b64 v[34:37], v48 offset0:52 offset1:78
	s_waitcnt lgkmcnt(5)
	v_fma_f64 v[18:19], -v[10:11], v[26:27], v[18:19]
	v_fma_f64 v[18:19], -v[12:13], v[28:29], v[18:19]
	ds_read_b128 v[26:29], v48 offset:480
	s_waitcnt lgkmcnt(2)
	v_fma_f64 v[18:19], -v[14:15], v[30:31], v[18:19]
	v_fma_f64 v[18:19], -v[16:17], v[32:33], v[18:19]
	ds_read_b128 v[30:33], v48 offset:496
	ds_read_b128 v[38:41], v48 offset:512
	s_waitcnt lgkmcnt(2)
	v_fma_f64 v[20:21], -v[10:11], v[26:27], v[20:21]
	v_fma_f64 v[20:21], -v[12:13], v[28:29], v[20:21]
	ds_read_b128 v[26:29], v48 offset:576
	s_waitcnt lgkmcnt(2)
	v_fma_f64 v[20:21], -v[14:15], v[30:31], v[20:21]
	v_mul_f64 v[18:19], v[18:19], v[34:35]
	v_fma_f64 v[20:21], -v[16:17], v[32:33], v[20:21]
	ds_read_b128 v[30:33], v48 offset:592
	s_waitcnt lgkmcnt(2)
	v_fma_f64 v[20:21], -v[18:19], v[38:39], v[20:21]
	v_mul_f64 v[20:21], v[20:21], v[40:41]
	ds_read_b128 v[38:41], v48 offset:608
	s_waitcnt lgkmcnt(2)
	v_fma_f64 v[22:23], -v[10:11], v[26:27], v[22:23]
	v_fma_f64 v[22:23], -v[12:13], v[28:29], v[22:23]
	s_waitcnt lgkmcnt(1)
	v_fma_f64 v[22:23], -v[14:15], v[30:31], v[22:23]
	ds_read_b128 v[26:29], v48 offset:672
	v_fma_f64 v[22:23], -v[16:17], v[32:33], v[22:23]
	s_waitcnt lgkmcnt(1)
	v_fma_f64 v[22:23], -v[18:19], v[38:39], v[22:23]
	ds_write2_b64 v1, v[18:19], v[20:21] offset0:192 offset1:204
	v_fma_f64 v[22:23], -v[20:21], v[40:41], v[22:23]
	v_mul_f64 v[22:23], v[22:23], v[36:37]
	ds_read_b128 v[30:33], v48 offset:688
	ds_read_b128 v[34:37], v48 offset:704
	;; [unrolled: 1-line block ×3, first 2 shown]
	s_waitcnt lgkmcnt(4)
	v_fma_f64 v[24:25], -v[10:11], v[26:27], v[24:25]
	v_fma_f64 v[24:25], -v[12:13], v[28:29], v[24:25]
	s_waitcnt lgkmcnt(2)
	v_fma_f64 v[24:25], -v[14:15], v[30:31], v[24:25]
	v_fma_f64 v[24:25], -v[16:17], v[32:33], v[24:25]
	;; [unrolled: 3-line block ×3, first 2 shown]
	s_waitcnt lgkmcnt(0)
	v_fma_f64 v[24:25], -v[22:23], v[38:39], v[24:25]
	v_mul_f64 v[44:45], v[24:25], v[40:41]
	ds_read_b128 v[24:27], v48 offset:768
	ds_write2_b64 v1, v[22:23], v[44:45] offset0:216 offset1:228
	ds_read_b128 v[28:31], v48 offset:784
	ds_read_b128 v[32:35], v48 offset:800
	;; [unrolled: 1-line block ×3, first 2 shown]
	s_mov_b32 s12, 12
	s_waitcnt lgkmcnt(4)
	v_fma_f64 v[6:7], -v[10:11], v[24:25], v[6:7]
	v_fma_f64 v[6:7], -v[12:13], v[26:27], v[6:7]
	s_waitcnt lgkmcnt(2)
	v_fma_f64 v[6:7], -v[14:15], v[28:29], v[6:7]
	v_fma_f64 v[6:7], -v[16:17], v[30:31], v[6:7]
	ds_read2_b64 v[24:27], v48 offset0:104 offset1:130
	ds_read_b128 v[28:31], v48 offset:864
	s_waitcnt lgkmcnt(3)
	v_fma_f64 v[6:7], -v[18:19], v[32:33], v[6:7]
	v_fma_f64 v[6:7], -v[20:21], v[34:35], v[6:7]
	s_waitcnt lgkmcnt(2)
	v_fma_f64 v[6:7], -v[22:23], v[36:37], v[6:7]
	v_fma_f64 v[6:7], -v[44:45], v[38:39], v[6:7]
	ds_read_b128 v[32:35], v48 offset:880
	ds_read_b128 v[36:39], v48 offset:896
	;; [unrolled: 1-line block ×3, first 2 shown]
	s_waitcnt lgkmcnt(4)
	v_mul_f64 v[46:47], v[6:7], v[24:25]
	s_waitcnt lgkmcnt(3)
	v_fma_f64 v[6:7], -v[10:11], v[28:29], v[8:9]
	v_fma_f64 v[6:7], -v[12:13], v[30:31], v[6:7]
	s_waitcnt lgkmcnt(2)
	v_fma_f64 v[6:7], -v[14:15], v[32:33], v[6:7]
	v_fma_f64 v[6:7], -v[16:17], v[34:35], v[6:7]
	s_waitcnt lgkmcnt(1)
	v_fma_f64 v[24:25], -v[18:19], v[36:37], v[6:7]
	ds_read_b128 v[6:9], v48 offset:928
	ds_read_b128 v[28:31], v48 offset:960
	v_fma_f64 v[24:25], -v[20:21], v[38:39], v[24:25]
	s_waitcnt lgkmcnt(2)
	v_fma_f64 v[24:25], -v[22:23], v[40:41], v[24:25]
	v_fma_f64 v[24:25], -v[44:45], v[42:43], v[24:25]
	s_waitcnt lgkmcnt(1)
	v_fma_f64 v[6:7], -v[46:47], v[6:7], v[24:25]
	v_mul_f64 v[36:37], v[6:7], v[8:9]
	ds_read_b128 v[6:9], v48 offset:976
	ds_read_b128 v[32:35], v48 offset:992
	s_waitcnt lgkmcnt(2)
	v_fma_f64 v[2:3], -v[10:11], v[28:29], v[2:3]
	v_fma_f64 v[2:3], -v[12:13], v[30:31], v[2:3]
	ds_read_b128 v[28:31], v48 offset:1008
	s_waitcnt lgkmcnt(2)
	v_fma_f64 v[2:3], -v[14:15], v[6:7], v[2:3]
	v_fma_f64 v[2:3], -v[16:17], v[8:9], v[2:3]
	;; [unrolled: 4-line block ×3, first 2 shown]
	s_waitcnt lgkmcnt(1)
	v_fma_f64 v[2:3], -v[22:23], v[28:29], v[2:3]
	v_fma_f64 v[2:3], -v[44:45], v[30:31], v[2:3]
	s_waitcnt lgkmcnt(0)
	v_fma_f64 v[2:3], -v[46:47], v[6:7], v[2:3]
	v_fma_f64 v[2:3], -v[36:37], v[8:9], v[2:3]
	ds_read_b128 v[6:9], v48 offset:1056
	ds_write2_b64 v1, v[46:47], v[36:37] offset0:240 offset1:252
	v_mul_f64 v[38:39], v[2:3], v[26:27]
	ds_read_b128 v[24:27], v48 offset:1072
	ds_read_b128 v[28:31], v48 offset:1088
	ds_read_b128 v[32:35], v48 offset:1104
	s_waitcnt lgkmcnt(4)
	v_fma_f64 v[2:3], -v[10:11], v[6:7], v[4:5]
	v_fma_f64 v[2:3], -v[12:13], v[8:9], v[2:3]
	s_waitcnt lgkmcnt(2)
	v_fma_f64 v[2:3], -v[14:15], v[24:25], v[2:3]
	v_fma_f64 v[2:3], -v[16:17], v[26:27], v[2:3]
	s_waitcnt lgkmcnt(1)
	v_fma_f64 v[6:7], -v[18:19], v[28:29], v[2:3]
	ds_read_b128 v[2:5], v48 offset:1120
	v_fma_f64 v[10:11], -v[20:21], v[30:31], v[6:7]
	ds_read_b128 v[6:9], v48 offset:1136
	s_waitcnt lgkmcnt(2)
	v_fma_f64 v[10:11], -v[22:23], v[32:33], v[10:11]
	v_fma_f64 v[10:11], -v[44:45], v[34:35], v[10:11]
	s_waitcnt lgkmcnt(1)
	v_fma_f64 v[2:3], -v[46:47], v[2:3], v[10:11]
	v_fma_f64 v[2:3], -v[36:37], v[4:5], v[2:3]
	s_waitcnt lgkmcnt(0)
	v_fma_f64 v[2:3], -v[38:39], v[6:7], v[2:3]
	v_mul_f64 v[2:3], v[2:3], v[8:9]
	ds_write2_b64 v49, v[38:39], v[2:3] offset0:8 offset1:20
	s_cmp_lt_i32 s12, s30
	s_cbranch_scc1 .LBB77_22
	s_branch .LBB77_42
.LBB77_21:
	s_mov_b32 s12, 0
	s_cmp_lt_i32 s12, s30
	s_cbranch_scc0 .LBB77_42
.LBB77_22:
	s_add_i32 s13, s12, 7
	s_cmp_ge_u32 s13, s30
	s_cbranch_scc1 .LBB77_31
; %bb.23:
	s_mul_i32 s16, s12, 12
	v_add_lshl_u32 v18, s16, v0, 3
	ds_read2_b64 v[10:13], v18 offset0:144 offset1:156
	ds_read2_b64 v[6:9], v18 offset0:168 offset1:180
	;; [unrolled: 1-line block ×3, first 2 shown]
	s_add_i32 s13, s16, 0x54
	v_add_lshl_u32 v1, s13, v0, 3
	ds_read_b64 v[16:17], v18 offset:1728
	ds_read_b64 v[14:15], v1 offset:1152
	s_andn2_b64 vcc, exec, s[8:9]
	s_cbranch_vccnz .LBB77_30
; %bb.24:
	s_max_u32 s9, s12, 1
	s_cmp_eq_u32 s9, 1
	s_cbranch_scc1 .LBB77_27
; %bb.25:
	v_mov_b32_e32 v19, 0x480
	s_and_b32 s8, s9, 12
	s_mul_i32 s17, s12, 0x60
	v_lshl_or_b32 v19, v0, 3, v19
	s_mov_b32 s18, 0
.LBB77_26:                              ; =>This Inner Loop Header: Depth=1
	v_mov_b32_e32 v52, s17
	ds_read2_b64 v[20:23], v19 offset1:12
	ds_read_b128 v[24:27], v52
	ds_read_b128 v[28:31], v52 offset:96
	ds_read_b128 v[32:35], v52 offset:192
	;; [unrolled: 1-line block ×7, first 2 shown]
	s_add_i32 s18, s18, 2
	s_add_i32 s17, s17, 16
	v_add_u32_e32 v19, 0xc0, v19
	s_waitcnt lgkmcnt(7)
	v_fma_f64 v[10:11], -v[20:21], v[24:25], v[10:11]
	s_waitcnt lgkmcnt(6)
	v_fma_f64 v[12:13], -v[20:21], v[28:29], v[12:13]
	;; [unrolled: 2-line block ×8, first 2 shown]
	s_cmp_lg_u32 s8, s18
	v_fma_f64 v[10:11], -v[22:23], v[26:27], v[10:11]
	v_fma_f64 v[12:13], -v[22:23], v[30:31], v[12:13]
	;; [unrolled: 1-line block ×8, first 2 shown]
	s_cbranch_scc1 .LBB77_26
	s_branch .LBB77_28
.LBB77_27:
	s_mov_b32 s8, 0
.LBB77_28:
	s_bitcmp0_b32 s9, 0
	s_cbranch_scc1 .LBB77_30
; %bb.29:
	s_mul_i32 s9, s8, 12
	v_add_lshl_u32 v19, s9, v0, 3
	s_add_i32 s9, s16, s8
	s_lshl_b32 s9, s9, 3
	s_add_i32 s8, s13, s8
	v_mov_b32_e32 v34, s9
	s_lshl_b32 s8, s8, 3
	ds_read2_b64 v[20:23], v34 offset1:12
	ds_read2_b64 v[24:27], v34 offset0:24 offset1:36
	ds_read2_b64 v[28:31], v34 offset0:48 offset1:60
	ds_read_b64 v[32:33], v19 offset:1152
	v_mov_b32_e32 v19, s8
	ds_read_b64 v[34:35], v34 offset:576
	ds_read_b64 v[36:37], v19
	s_waitcnt lgkmcnt(2)
	v_fma_f64 v[10:11], -v[32:33], v[20:21], v[10:11]
	v_fma_f64 v[12:13], -v[32:33], v[22:23], v[12:13]
	;; [unrolled: 1-line block ×6, first 2 shown]
	s_waitcnt lgkmcnt(1)
	v_fma_f64 v[16:17], -v[32:33], v[34:35], v[16:17]
	s_waitcnt lgkmcnt(0)
	v_fma_f64 v[14:15], -v[32:33], v[36:37], v[14:15]
.LBB77_30:
	s_mul_i32 s8, s12, 0x68
	v_mov_b32_e32 v34, s8
	ds_read2_b64 v[20:23], v34 offset1:26
	s_add_i32 s8, s16, 12
	s_add_i32 s9, s8, s12
	s_lshl_b32 s9, s9, 3
	v_add_u32_e32 v18, 0x480, v18
	v_mov_b32_e32 v19, s9
	s_waitcnt lgkmcnt(0)
	v_mul_f64 v[28:29], v[10:11], v[20:21]
	ds_write_b64 v18, v[28:29]
	ds_read_b128 v[18:21], v19
	s_add_i32 s9, s16, 24
	s_add_i32 s17, s9, s12
	s_lshl_b32 s17, s17, 3
	v_mov_b32_e32 v10, s17
	ds_read_b128 v[24:27], v10
	s_waitcnt lgkmcnt(1)
	v_fma_f64 v[10:11], -v[28:29], v[18:19], v[12:13]
	v_mul_f64 v[30:31], v[10:11], v[20:21]
	v_add_lshl_u32 v10, s8, v0, 3
	s_add_i32 s8, s16, 36
	s_add_i32 s17, s8, s12
	s_lshl_b32 s17, s17, 3
	v_mov_b32_e32 v18, s17
	ds_write_b64 v10, v[30:31] offset:1152
	ds_read_b128 v[10:13], v18
	s_waitcnt lgkmcnt(2)
	v_fma_f64 v[6:7], -v[28:29], v[24:25], v[6:7]
	ds_read_b128 v[18:21], v18 offset:16
	v_fma_f64 v[6:7], -v[30:31], v[26:27], v[6:7]
	v_mul_f64 v[22:23], v[6:7], v[22:23]
	v_add_lshl_u32 v6, s9, v0, 3
	ds_write_b64 v6, v[22:23] offset:1152
	s_waitcnt lgkmcnt(2)
	v_fma_f64 v[6:7], -v[28:29], v[10:11], v[8:9]
	s_add_i32 s9, s16, 48
	v_fma_f64 v[6:7], -v[30:31], v[12:13], v[6:7]
	s_or_b32 s17, s9, s12
	s_waitcnt lgkmcnt(1)
	v_fma_f64 v[10:11], -v[22:23], v[18:19], v[6:7]
	s_lshl_b32 s17, s17, 3
	v_add_lshl_u32 v18, s8, v0, 3
	s_add_i32 s8, s16, 60
	v_mov_b32_e32 v12, s17
	s_add_i32 s17, s8, s12
	ds_read_b128 v[6:9], v12
	s_lshl_b32 s17, s17, 3
	v_mul_f64 v[24:25], v[10:11], v[20:21]
	v_mov_b32_e32 v32, s17
	ds_write_b64 v18, v[24:25] offset:1152
	ds_read_b128 v[18:21], v32 offset:16
	ds_read_b128 v[10:13], v12 offset:16
	s_waitcnt lgkmcnt(3)
	v_fma_f64 v[2:3], -v[28:29], v[6:7], v[2:3]
	v_fma_f64 v[2:3], -v[30:31], v[8:9], v[2:3]
	ds_read2_b64 v[6:9], v34 offset0:52 offset1:78
	s_add_i32 s13, s13, s12
	s_waitcnt lgkmcnt(1)
	v_fma_f64 v[2:3], -v[22:23], v[10:11], v[2:3]
	v_fma_f64 v[2:3], -v[24:25], v[12:13], v[2:3]
	ds_read_b128 v[10:13], v32
	s_waitcnt lgkmcnt(1)
	v_mul_f64 v[26:27], v[2:3], v[6:7]
	v_add_lshl_u32 v2, s9, v0, 3
	ds_write_b64 v2, v[26:27] offset:1152
	s_add_i32 s9, s16, 0x48
	s_waitcnt lgkmcnt(1)
	v_fma_f64 v[2:3], -v[28:29], v[10:11], v[4:5]
	v_fma_f64 v[2:3], -v[30:31], v[12:13], v[2:3]
	;; [unrolled: 1-line block ×4, first 2 shown]
	ds_read_b128 v[2:5], v32 offset:32
	s_add_i32 s16, s9, s12
	s_lshl_b32 s16, s16, 3
	v_mov_b32_e32 v18, s16
	ds_read_b128 v[10:13], v18
	s_waitcnt lgkmcnt(1)
	v_fma_f64 v[2:3], -v[26:27], v[2:3], v[6:7]
	v_mul_f64 v[32:33], v[2:3], v[4:5]
	ds_read_b128 v[2:5], v18 offset:16
	v_add_lshl_u32 v6, s8, v0, 3
	ds_read_b128 v[18:21], v18 offset:32
	ds_write_b64 v6, v[32:33] offset:1152
	s_waitcnt lgkmcnt(3)
	v_fma_f64 v[6:7], -v[28:29], v[10:11], v[16:17]
	v_fma_f64 v[6:7], -v[30:31], v[12:13], v[6:7]
	s_waitcnt lgkmcnt(2)
	v_fma_f64 v[2:3], -v[22:23], v[2:3], v[6:7]
	v_fma_f64 v[2:3], -v[24:25], v[4:5], v[2:3]
	s_waitcnt lgkmcnt(1)
	v_fma_f64 v[2:3], -v[26:27], v[18:19], v[2:3]
	s_lshl_b32 s8, s13, 3
	v_fma_f64 v[2:3], -v[32:33], v[20:21], v[2:3]
	v_mov_b32_e32 v18, s8
	v_mul_f64 v[16:17], v[2:3], v[8:9]
	ds_read_b128 v[2:5], v18
	v_add_lshl_u32 v6, s9, v0, 3
	ds_write_b64 v6, v[16:17] offset:1152
	ds_read_b128 v[6:9], v18 offset:16
	ds_read_b128 v[10:13], v18 offset:32
	ds_read_b64 v[18:19], v18 offset:48
	s_add_i32 s12, s12, 8
	s_waitcnt lgkmcnt(4)
	v_fma_f64 v[2:3], -v[28:29], v[2:3], v[14:15]
	v_fma_f64 v[2:3], -v[30:31], v[4:5], v[2:3]
	s_waitcnt lgkmcnt(2)
	v_fma_f64 v[2:3], -v[22:23], v[6:7], v[2:3]
	ds_read_b64 v[4:5], v34 offset:728
	v_fma_f64 v[2:3], -v[24:25], v[8:9], v[2:3]
	s_waitcnt lgkmcnt(2)
	v_fma_f64 v[2:3], -v[26:27], v[10:11], v[2:3]
	v_fma_f64 v[2:3], -v[32:33], v[12:13], v[2:3]
	s_waitcnt lgkmcnt(1)
	v_fma_f64 v[2:3], -v[16:17], v[18:19], v[2:3]
	s_waitcnt lgkmcnt(0)
	v_mul_f64 v[2:3], v[2:3], v[4:5]
	ds_write_b64 v1, v[2:3] offset:1152
.LBB77_31:
	s_cmp_ge_i32 s12, s30
	s_cbranch_scc1 .LBB77_42
; %bb.32:
	v_mov_b32_e32 v1, 0x480
	s_add_i32 s8, s12, -1
	s_mul_i32 s9, s12, 0x60
	v_lshl_or_b32 v1, v0, 3, v1
	s_mov_b32 s13, 0
	s_mov_b32 s16, s12
	s_branch .LBB77_34
.LBB77_33:                              ;   in Loop: Header=BB77_34 Depth=1
	s_mul_i32 s17, s12, 0x68
	v_mov_b32_e32 v5, s17
	ds_read_b64 v[6:7], v5
	s_add_i32 s12, s12, 1
	s_add_i32 s13, s13, 1
	s_addk_i32 s9, 0x60
	v_add_u16_e64 v5, s16, 1
	v_add_u32_e32 v4, 0x480, v4
	s_waitcnt lgkmcnt(0)
	v_mul_f64 v[2:3], v[2:3], v[6:7]
	s_cmp_ge_i32 s12, s30
	v_readfirstlane_b32 s16, v5
	ds_write_b64 v4, v[2:3]
	s_cbranch_scc1 .LBB77_42
.LBB77_34:                              ; =>This Loop Header: Depth=1
                                        ;     Child Loop BB77_37 Depth 2
                                        ;     Child Loop BB77_41 Depth 2
	s_mul_i32 s17, s12, 12
	v_add_lshl_u32 v4, s17, v0, 3
	ds_read_b64 v[2:3], v4 offset:1152
	s_cmp_eq_u32 s12, 0
	s_cbranch_scc1 .LBB77_33
; %bb.35:                               ;   in Loop: Header=BB77_34 Depth=1
	s_add_i32 s17, s8, s13
	s_cmp_lt_u32 s17, 7
	s_cbranch_scc1 .LBB77_39
; %bb.36:                               ;   in Loop: Header=BB77_34 Depth=1
	s_and_b32 s17, s12, -8
	s_mov_b32 s18, 0
	v_mov_b32_e32 v5, v1
	s_mov_b32 s19, s9
.LBB77_37:                              ;   Parent Loop BB77_34 Depth=1
                                        ; =>  This Inner Loop Header: Depth=2
	ds_read2_b64 v[6:9], v5 offset1:12
	v_mov_b32_e32 v34, s19
	ds_read2_b64 v[10:13], v5 offset0:24 offset1:36
	ds_read2_b64 v[14:17], v5 offset0:48 offset1:60
	;; [unrolled: 1-line block ×3, first 2 shown]
	ds_read_b128 v[22:25], v34
	ds_read_b128 v[26:29], v34 offset:16
	ds_read_b128 v[30:33], v34 offset:32
	ds_read_b128 v[34:37], v34 offset:48
	s_add_i32 s18, s18, 8
	s_waitcnt lgkmcnt(3)
	v_fma_f64 v[2:3], -v[6:7], v[22:23], v[2:3]
	v_fma_f64 v[2:3], -v[8:9], v[24:25], v[2:3]
	s_waitcnt lgkmcnt(2)
	v_fma_f64 v[2:3], -v[10:11], v[26:27], v[2:3]
	v_fma_f64 v[2:3], -v[12:13], v[28:29], v[2:3]
	s_waitcnt lgkmcnt(1)
	v_fma_f64 v[2:3], -v[14:15], v[30:31], v[2:3]
	v_fma_f64 v[2:3], -v[16:17], v[32:33], v[2:3]
	s_add_i32 s19, s19, 64
	s_waitcnt lgkmcnt(0)
	v_fma_f64 v[2:3], -v[18:19], v[34:35], v[2:3]
	v_add_u32_e32 v5, 0x300, v5
	s_cmp_lg_u32 s17, s18
	v_fma_f64 v[2:3], -v[20:21], v[36:37], v[2:3]
	s_cbranch_scc1 .LBB77_37
; %bb.38:                               ;   in Loop: Header=BB77_34 Depth=1
	s_and_b32 s18, s12, 7
	s_cmp_eq_u32 s18, 0
	s_cbranch_scc0 .LBB77_40
	s_branch .LBB77_33
.LBB77_39:                              ;   in Loop: Header=BB77_34 Depth=1
	s_mov_b32 s17, 0
	s_and_b32 s18, s12, 7
	s_cmp_eq_u32 s18, 0
	s_cbranch_scc1 .LBB77_33
.LBB77_40:                              ;   in Loop: Header=BB77_34 Depth=1
	s_lshl_b32 s19, s17, 3
	s_mulk_i32 s17, 0x60
	s_and_b32 s18, s16, 7
	v_add_u32_e32 v5, s17, v1
.LBB77_41:                              ;   Parent Loop BB77_34 Depth=1
                                        ; =>  This Inner Loop Header: Depth=2
	s_add_i32 s17, s9, s19
	v_mov_b32_e32 v8, s17
	ds_read_b64 v[6:7], v5
	ds_read_b64 v[8:9], v8
	s_add_i32 s19, s19, 8
	s_add_i32 s18, s18, -1
	v_add_u32_e32 v5, 0x60, v5
	s_cmp_lg_u32 s18, 0
	s_waitcnt lgkmcnt(0)
	v_fma_f64 v[2:3], -v[6:7], v[8:9], v[2:3]
	s_cbranch_scc1 .LBB77_41
	s_branch .LBB77_33
.LBB77_42:
	s_mov_b64 s[8:9], 0
.LBB77_43:
	s_and_b64 vcc, exec, s[8:9]
	s_cbranch_vccz .LBB77_65
; %bb.44:
	s_cmp_gt_i32 s10, 11
	s_cbranch_scc0 .LBB77_46
; %bb.45:
	s_mul_i32 s8, s31, 12
	s_mul_i32 s25, s30, 12
	v_add_lshl_u32 v1, s8, v0, 3
	s_sub_i32 s24, s25, 24
	s_sub_i32 s23, s25, 36
	;; [unrolled: 1-line block ×4, first 2 shown]
	s_add_i32 s17, s25, 0xffffffb8
	s_add_i32 s16, s25, 0xffffffac
	s_add_i32 s13, s25, 0xffffffa0
	s_add_i32 s12, s25, 0xffffff94
	s_add_i32 s9, s25, 0xffffff88
	s_add_i32 s8, s25, 0xffffff7c
	s_add_i32 s26, s25, 0xffffff70
	s_add_i32 s25, s25, -12
	v_add_lshl_u32 v16, s24, v0, 3
	v_add_lshl_u32 v27, s23, v0, 3
	;; [unrolled: 1-line block ×3, first 2 shown]
	ds_read_b64 v[8:9], v1 offset:1152
	ds_read_b64 v[10:11], v16 offset:1152
	;; [unrolled: 1-line block ×4, first 2 shown]
	v_add_lshl_u32 v1, s26, v0, 3
	s_add_i32 s26, s30, s25
	s_lshl_b32 s26, s26, 3
	s_add_i32 s26, s26, -16
	v_add_lshl_u32 v48, s18, v0, 3
	v_add_lshl_u32 v58, s12, v0, 3
	v_mov_b32_e32 v4, s26
	v_add_lshl_u32 v49, s17, v0, 3
	v_add_lshl_u32 v50, s16, v0, 3
	;; [unrolled: 1-line block ×3, first 2 shown]
	ds_read_b64 v[38:39], v48 offset:1152
	ds_read_b64 v[44:45], v49 offset:1152
	ds_read_b64 v[46:47], v50 offset:1152
	ds_read_b64 v[24:25], v51 offset:1152
	v_add_lshl_u32 v59, s9, v0, 3
	v_add_lshl_u32 v26, s8, v0, 3
	ds_read_b64 v[22:23], v58 offset:1152
	ds_read_b64 v[18:19], v59 offset:1152
	;; [unrolled: 1-line block ×4, first 2 shown]
	ds_read2_b64 v[4:7], v4 offset1:1
	s_mul_i32 s26, s31, 0x68
	s_add_i32 s27, s26, 0xffffff98
	v_mov_b32_e32 v14, s27
	ds_read_b64 v[14:15], v14
	s_add_i32 s27, s30, -4
	s_add_i32 s28, s27, s25
	s_waitcnt lgkmcnt(1)
	v_mul_f64 v[6:7], v[8:9], v[6:7]
	v_add_lshl_u32 v8, s25, v0, 3
	s_lshl_b32 s28, s28, 3
	ds_write_b64 v8, v[6:7] offset:1152
	v_mov_b32_e32 v8, s28
	s_add_i32 s28, s27, s24
	s_add_i32 s27, s27, s23
	v_fma_f64 v[4:5], -v[6:7], v[4:5], v[10:11]
	s_lshl_b32 s27, s27, 3
	s_waitcnt lgkmcnt(1)
	v_mul_f64 v[4:5], v[4:5], v[14:15]
	s_lshl_b32 s28, s28, 3
	v_mov_b32_e32 v10, s27
	ds_write_b64 v16, v[4:5] offset:1152
	ds_read2_b64 v[14:17], v8 offset1:1
	ds_read2_b64 v[32:35], v10 offset1:1
	v_mov_b32_e32 v8, s28
	ds_read2_b64 v[28:31], v8 offset1:1
	s_add_i32 s27, s26, 0xfffffec8
	v_mov_b32_e32 v10, s27
	ds_read_b64 v[10:11], v10
	s_add_i32 s27, s30, -6
	s_waitcnt lgkmcnt(3)
	v_fma_f64 v[8:9], -v[6:7], v[16:17], v[20:21]
	s_add_i32 s28, s27, s25
	s_waitcnt lgkmcnt(1)
	v_fma_f64 v[8:9], -v[4:5], v[30:31], v[8:9]
	s_lshl_b32 s28, s28, 3
	v_mul_f64 v[8:9], v[8:9], v[34:35]
	v_mov_b32_e32 v16, s28
	s_add_i32 s28, s27, s24
	ds_write_b64 v27, v[8:9] offset:1152
	v_fma_f64 v[14:15], -v[6:7], v[14:15], v[36:37]
	s_lshl_b32 s28, s28, 3
	v_fma_f64 v[14:15], -v[4:5], v[28:29], v[14:15]
	v_mov_b32_e32 v17, s28
	ds_read2_b64 v[28:31], v16 offset1:1
	ds_read2_b64 v[34:37], v17 offset1:1
	s_add_i32 s28, s27, s23
	s_lshl_b32 s28, s28, 3
	v_mov_b32_e32 v16, s28
	s_add_i32 s28, s27, s19
	v_fma_f64 v[14:15], -v[8:9], v[32:33], v[14:15]
	s_lshl_b32 s28, s28, 3
	s_add_i32 s27, s27, s18
	s_waitcnt lgkmcnt(3)
	v_mul_f64 v[10:11], v[14:15], v[10:11]
	s_waitcnt lgkmcnt(1)
	v_fma_f64 v[14:15], -v[6:7], v[30:31], v[38:39]
	ds_read2_b64 v[30:33], v16 offset1:1
	v_mov_b32_e32 v16, s28
	s_lshl_b32 s27, s27, 3
	s_waitcnt lgkmcnt(1)
	v_fma_f64 v[14:15], -v[4:5], v[36:37], v[14:15]
	ds_read2_b64 v[36:39], v16 offset1:1
	v_mov_b32_e32 v16, s27
	ds_write_b64 v40, v[10:11] offset:1152
	ds_read2_b64 v[40:43], v16 offset1:1
	s_add_i32 s27, s26, 0xfffffdf8
	v_mov_b32_e32 v16, s27
	s_add_i32 s27, s30, -8
	s_add_i32 s28, s27, s25
	s_waitcnt lgkmcnt(3)
	v_fma_f64 v[14:15], -v[8:9], v[32:33], v[14:15]
	s_lshl_b32 s28, s28, 3
	s_waitcnt lgkmcnt(2)
	v_fma_f64 v[14:15], -v[10:11], v[38:39], v[14:15]
	v_mov_b32_e32 v27, s28
	s_add_i32 s28, s27, s24
	s_waitcnt lgkmcnt(0)
	v_mul_f64 v[14:15], v[14:15], v[42:43]
	v_fma_f64 v[20:21], -v[6:7], v[28:29], v[44:45]
	s_lshl_b32 s28, s28, 3
	ds_read_b64 v[16:17], v16
	ds_write_b64 v48, v[14:15] offset:1152
	v_fma_f64 v[20:21], -v[4:5], v[34:35], v[20:21]
	v_mov_b32_e32 v32, s28
	v_fma_f64 v[20:21], -v[8:9], v[30:31], v[20:21]
	ds_read2_b64 v[28:31], v27 offset1:1
	ds_read2_b64 v[32:35], v32 offset1:1
	s_add_i32 s28, s27, s23
	s_lshl_b32 s28, s28, 3
	v_fma_f64 v[20:21], -v[10:11], v[36:37], v[20:21]
	v_mov_b32_e32 v27, s28
	s_add_i32 s28, s27, s19
	v_fma_f64 v[20:21], -v[14:15], v[40:41], v[20:21]
	s_lshl_b32 s28, s28, 3
	s_waitcnt lgkmcnt(3)
	v_mul_f64 v[16:17], v[20:21], v[16:17]
	s_waitcnt lgkmcnt(1)
	v_fma_f64 v[20:21], -v[6:7], v[30:31], v[46:47]
	v_mov_b32_e32 v30, s28
	s_add_i32 s28, s27, s18
	ds_write_b64 v49, v[16:17] offset:1152
	s_lshl_b32 s28, s28, 3
	s_waitcnt lgkmcnt(1)
	v_fma_f64 v[20:21], -v[4:5], v[34:35], v[20:21]
	ds_read2_b64 v[34:37], v27 offset1:1
	ds_read2_b64 v[38:41], v30 offset1:1
	v_mov_b32_e32 v27, s28
	s_add_i32 s28, s27, s17
	s_lshl_b32 s28, s28, 3
	v_mov_b32_e32 v30, s28
	s_add_i32 s28, s26, 0xfffffd90
	ds_read2_b64 v[42:45], v27 offset1:1
	ds_read2_b64 v[46:49], v30 offset1:1
	v_mov_b32_e32 v27, s28
	ds_read_b64 v[30:31], v27
	s_add_i32 s27, s27, s16
	s_waitcnt lgkmcnt(4)
	v_fma_f64 v[20:21], -v[8:9], v[36:37], v[20:21]
	s_lshl_b32 s27, s27, 3
	s_waitcnt lgkmcnt(3)
	v_fma_f64 v[20:21], -v[10:11], v[40:41], v[20:21]
	v_mov_b32_e32 v27, s27
	s_add_i32 s27, s26, 0xfffffd28
	s_waitcnt lgkmcnt(2)
	v_fma_f64 v[20:21], -v[14:15], v[44:45], v[20:21]
	v_fma_f64 v[24:25], -v[6:7], v[28:29], v[24:25]
	ds_read_b64 v[28:29], v27
	v_mov_b32_e32 v27, s27
	s_add_i32 s27, s30, -10
	s_waitcnt lgkmcnt(2)
	v_fma_f64 v[20:21], -v[16:17], v[48:49], v[20:21]
	v_fma_f64 v[24:25], -v[4:5], v[32:33], v[24:25]
	s_add_i32 s28, s27, s25
	s_waitcnt lgkmcnt(1)
	v_mul_f64 v[20:21], v[20:21], v[30:31]
	v_fma_f64 v[24:25], -v[8:9], v[34:35], v[24:25]
	ds_read_b64 v[30:31], v27
	s_lshl_b32 s28, s28, 3
	v_fma_f64 v[24:25], -v[10:11], v[38:39], v[24:25]
	v_mov_b32_e32 v27, s28
	s_add_i32 s28, s27, s24
	v_fma_f64 v[24:25], -v[14:15], v[42:43], v[24:25]
	s_lshl_b32 s28, s28, 3
	v_fma_f64 v[24:25], -v[16:17], v[46:47], v[24:25]
	v_mov_b32_e32 v32, s28
	s_add_i32 s28, s27, s23
	ds_write_b64 v50, v[20:21] offset:1152
	s_waitcnt lgkmcnt(2)
	v_fma_f64 v[24:25], -v[20:21], v[28:29], v[24:25]
	s_lshl_b32 s28, s28, 3
	s_waitcnt lgkmcnt(1)
	v_mul_f64 v[24:25], v[24:25], v[30:31]
	ds_read2_b64 v[28:31], v27 offset1:1
	ds_read2_b64 v[32:35], v32 offset1:1
	v_mov_b32_e32 v27, s28
	s_add_i32 s28, s27, s19
	s_lshl_b32 s28, s28, 3
	v_mov_b32_e32 v40, s28
	s_add_i32 s28, s27, s18
	ds_read2_b64 v[36:39], v27 offset1:1
	ds_read2_b64 v[40:43], v40 offset1:1
	s_lshl_b32 s28, s28, 3
	v_mov_b32_e32 v27, s28
	s_add_i32 s28, s27, s17
	s_waitcnt lgkmcnt(3)
	v_fma_f64 v[22:23], -v[6:7], v[30:31], v[22:23]
	s_lshl_b32 s28, s28, 3
	s_waitcnt lgkmcnt(2)
	v_fma_f64 v[22:23], -v[4:5], v[34:35], v[22:23]
	v_mov_b32_e32 v30, s28
	s_add_i32 s28, s27, s16
	ds_write_b64 v51, v[24:25] offset:1152
	s_waitcnt lgkmcnt(2)
	v_fma_f64 v[22:23], -v[8:9], v[38:39], v[22:23]
	s_lshl_b32 s28, s28, 3
	s_waitcnt lgkmcnt(1)
	v_fma_f64 v[22:23], -v[10:11], v[42:43], v[22:23]
	ds_read2_b64 v[42:45], v27 offset1:1
	ds_read2_b64 v[46:49], v30 offset1:1
	v_mov_b32_e32 v27, s28
	s_add_i32 s28, s27, s13
	s_lshl_b32 s28, s28, 3
	v_mov_b32_e32 v30, s28
	s_add_i32 s28, s26, 0xfffffcc0
	ds_read2_b64 v[50:53], v27 offset1:1
	ds_read2_b64 v[54:57], v30 offset1:1
	v_mov_b32_e32 v27, s28
	ds_read_b64 v[30:31], v27
	s_add_i32 s27, s27, s12
	s_waitcnt lgkmcnt(4)
	v_fma_f64 v[22:23], -v[14:15], v[44:45], v[22:23]
	v_fma_f64 v[18:19], -v[6:7], v[28:29], v[18:19]
	s_lshl_b32 s27, s27, 3
	s_waitcnt lgkmcnt(3)
	v_fma_f64 v[22:23], -v[16:17], v[48:49], v[22:23]
	v_fma_f64 v[18:19], -v[4:5], v[32:33], v[18:19]
	v_mov_b32_e32 v27, s27
	s_addk_i32 s26, 0xfc58
	s_waitcnt lgkmcnt(2)
	v_fma_f64 v[22:23], -v[20:21], v[52:53], v[22:23]
	v_fma_f64 v[18:19], -v[8:9], v[36:37], v[18:19]
	ds_read_b64 v[36:37], v27
	v_mov_b32_e32 v27, s26
	s_add_i32 s26, s30, -12
	s_waitcnt lgkmcnt(2)
	v_fma_f64 v[22:23], -v[24:25], v[56:57], v[22:23]
	s_add_i32 s25, s26, s25
	s_add_i32 s24, s26, s24
	s_waitcnt lgkmcnt(1)
	v_mul_f64 v[22:23], v[22:23], v[30:31]
	s_lshl_b32 s25, s25, 3
	s_lshl_b32 s24, s24, 3
	ds_write_b64 v58, v[22:23] offset:1152
	ds_read_b64 v[38:39], v27
	v_mov_b32_e32 v27, s25
	v_mov_b32_e32 v32, s24
	v_fma_f64 v[18:19], -v[10:11], v[40:41], v[18:19]
	ds_read2_b64 v[28:31], v27 offset1:1
	ds_read2_b64 v[32:35], v32 offset1:1
	v_fma_f64 v[18:19], -v[14:15], v[42:43], v[18:19]
	v_fma_f64 v[18:19], -v[16:17], v[46:47], v[18:19]
	s_add_i32 s23, s26, s23
	v_fma_f64 v[18:19], -v[20:21], v[50:51], v[18:19]
	s_lshl_b32 s23, s23, 3
	s_add_i32 s19, s26, s19
	v_fma_f64 v[18:19], -v[24:25], v[54:55], v[18:19]
	s_waitcnt lgkmcnt(1)
	v_fma_f64 v[12:13], -v[6:7], v[30:31], v[12:13]
	v_mov_b32_e32 v27, s23
	s_lshl_b32 s19, s19, 3
	v_fma_f64 v[18:19], -v[22:23], v[36:37], v[18:19]
	s_waitcnt lgkmcnt(0)
	v_fma_f64 v[12:13], -v[4:5], v[34:35], v[12:13]
	ds_read2_b64 v[34:37], v27 offset1:1
	v_mov_b32_e32 v27, s19
	s_add_i32 s18, s26, s18
	v_mul_f64 v[18:19], v[18:19], v[38:39]
	ds_read2_b64 v[38:41], v27 offset1:1
	s_lshl_b32 s18, s18, 3
	s_add_i32 s17, s26, s17
	ds_write_b64 v59, v[18:19] offset:1152
	v_mov_b32_e32 v27, s18
	s_lshl_b32 s17, s17, 3
	s_add_i32 s16, s26, s16
	v_mov_b32_e32 v30, s17
	ds_read2_b64 v[42:45], v27 offset1:1
	ds_read2_b64 v[46:49], v30 offset1:1
	s_lshl_b32 s16, s16, 3
	s_add_i32 s13, s26, s13
	v_mov_b32_e32 v27, s16
	s_lshl_b32 s13, s13, 3
	s_waitcnt lgkmcnt(4)
	v_fma_f64 v[12:13], -v[8:9], v[36:37], v[12:13]
	v_mov_b32_e32 v30, s13
	ds_read2_b64 v[50:53], v27 offset1:1
	ds_read2_b64 v[54:57], v30 offset1:1
	s_waitcnt lgkmcnt(5)
	v_fma_f64 v[12:13], -v[10:11], v[40:41], v[12:13]
	s_waitcnt lgkmcnt(3)
	v_fma_f64 v[12:13], -v[14:15], v[44:45], v[12:13]
	s_add_i32 s12, s26, s12
	s_waitcnt lgkmcnt(2)
	v_fma_f64 v[12:13], -v[16:17], v[48:49], v[12:13]
	s_lshl_b32 s12, s12, 3
	s_add_i32 s9, s26, s9
	s_waitcnt lgkmcnt(1)
	v_fma_f64 v[12:13], -v[20:21], v[52:53], v[12:13]
	v_mov_b32_e32 v27, s12
	s_lshl_b32 s9, s9, 3
	s_waitcnt lgkmcnt(0)
	v_fma_f64 v[12:13], -v[24:25], v[56:57], v[12:13]
	ds_read2_b64 v[56:59], v27 offset1:1
	v_mov_b32_e32 v27, s9
	ds_read2_b64 v[60:63], v27 offset1:1
	v_fma_f64 v[2:3], -v[6:7], v[28:29], v[2:3]
	s_add_i32 s8, s26, s8
	v_fma_f64 v[2:3], -v[4:5], v[32:33], v[2:3]
	s_lshl_b32 s8, s8, 3
	v_fma_f64 v[2:3], -v[8:9], v[34:35], v[2:3]
	v_mov_b32_e32 v27, s8
	v_fma_f64 v[2:3], -v[10:11], v[38:39], v[2:3]
	s_waitcnt lgkmcnt(1)
	v_fma_f64 v[12:13], -v[22:23], v[58:59], v[12:13]
	ds_read2_b64 v[28:31], v27 offset1:1
	s_mul_i32 s8, s26, 0x68
	v_fma_f64 v[2:3], -v[14:15], v[42:43], v[2:3]
	s_waitcnt lgkmcnt(1)
	v_fma_f64 v[6:7], -v[18:19], v[62:63], v[12:13]
	v_mov_b32_e32 v12, s8
	ds_read_b64 v[12:13], v12
	v_fma_f64 v[2:3], -v[16:17], v[46:47], v[2:3]
	v_fma_f64 v[2:3], -v[20:21], v[50:51], v[2:3]
	;; [unrolled: 1-line block ×4, first 2 shown]
	s_waitcnt lgkmcnt(1)
	v_mul_f64 v[6:7], v[6:7], v[30:31]
	v_fma_f64 v[2:3], -v[18:19], v[60:61], v[2:3]
	v_fma_f64 v[2:3], -v[6:7], v[28:29], v[2:3]
	s_waitcnt lgkmcnt(0)
	v_mul_f64 v[2:3], v[2:3], v[12:13]
	s_add_i32 s8, s30, -13
	ds_write_b64 v26, v[6:7] offset:1152
	ds_write_b64 v1, v[2:3] offset:1152
	s_cmp_gt_i32 s8, -1
	s_cbranch_scc1 .LBB77_47
	s_branch .LBB77_65
.LBB77_46:
	s_mov_b32 s8, s31
	s_cmp_gt_i32 s8, -1
	s_cbranch_scc0 .LBB77_65
.LBB77_47:
	s_cmp_lt_u32 s8, 7
	s_cbranch_scc1 .LBB77_52
; %bb.48:
	s_mul_i32 s12, s8, 12
	v_add_lshl_u32 v1, s12, v0, 3
	s_add_i32 s9, s12, -12
	v_add_lshl_u32 v20, s9, v0, 3
	ds_read2_b64 v[10:13], v1 offset0:108 offset1:120
	ds_read2_b64 v[6:9], v1 offset0:84 offset1:96
	ds_read_b64 v[18:19], v1 offset:1152
	ds_read_b64 v[14:15], v20 offset:1152
	ds_read2_b64 v[2:5], v1 offset0:60 offset1:72
	s_waitcnt lgkmcnt(4)
	v_mov_b32_e32 v16, v12
	v_mov_b32_e32 v17, v13
	s_cmp_le_i32 s31, s8
	s_cbranch_scc1 .LBB77_51
; %bb.49:
	s_mul_i32 s16, s30, 0x60
	s_lshl_b32 s13, s8, 3
	s_add_i32 s13, s16, s13
	v_lshl_add_u32 v12, v0, 3, s16
	s_addk_i32 s13, 0xff68
	v_add_u32_e32 v12, 0x420, v12
	s_mov_b32 s16, s31
.LBB77_50:                              ; =>This Inner Loop Header: Depth=1
	v_mov_b32_e32 v13, s13
	ds_read_b64 v[38:39], v12
	ds_read2_b64 v[22:25], v13 offset0:6 offset1:7
	ds_read2_b64 v[26:29], v13 offset0:4 offset1:5
	;; [unrolled: 1-line block ×3, first 2 shown]
	ds_read2_b64 v[34:37], v13 offset1:1
	s_add_i32 s16, s16, -1
	s_addk_i32 s13, 0xffa0
	v_add_u32_e32 v12, 0xffffffa0, v12
	s_cmp_gt_i32 s16, s8
	s_waitcnt lgkmcnt(3)
	v_fma_f64 v[18:19], -v[38:39], v[24:25], v[18:19]
	v_fma_f64 v[14:15], -v[38:39], v[22:23], v[14:15]
	s_waitcnt lgkmcnt(2)
	v_fma_f64 v[16:17], -v[38:39], v[28:29], v[16:17]
	v_fma_f64 v[10:11], -v[38:39], v[26:27], v[10:11]
	;; [unrolled: 3-line block ×4, first 2 shown]
	s_cbranch_scc1 .LBB77_50
.LBB77_51:
	s_mul_i32 s13, s8, 0x68
	s_add_i32 s16, s13, -8
	v_mov_b32_e32 v12, s16
	ds_read2_b64 v[22:25], v12 offset1:1
	s_add_i32 s16, s13, 0xffffff98
	v_mov_b32_e32 v12, s16
	ds_read_b64 v[26:27], v12
	s_add_i32 s16, s8, -3
	s_waitcnt lgkmcnt(1)
	v_mul_f64 v[12:13], v[18:19], v[24:25]
	v_fma_f64 v[14:15], -v[12:13], v[22:23], v[14:15]
	s_add_i32 s17, s16, s12
	v_add_u32_e32 v21, 0x480, v1
	v_add_u32_e32 v1, 0x480, v20
	s_waitcnt lgkmcnt(0)
	v_mul_f64 v[14:15], v[14:15], v[26:27]
	s_lshl_b32 s17, s17, 3
	ds_write_b64 v1, v[14:15]
	v_mov_b32_e32 v1, s17
	s_add_i32 s17, s16, s9
	s_lshl_b32 s17, s17, 3
	ds_write_b64 v21, v[12:13]
	ds_read2_b64 v[18:21], v1 offset1:1
	v_mov_b32_e32 v1, s17
	s_add_i32 s17, s9, -12
	s_add_i32 s16, s16, s17
	s_lshl_b32 s16, s16, 3
	ds_read2_b64 v[22:25], v1 offset1:1
	v_mov_b32_e32 v1, s16
	ds_read2_b64 v[26:29], v1 offset1:1
	s_waitcnt lgkmcnt(2)
	v_fma_f64 v[16:17], -v[12:13], v[20:21], v[16:17]
	s_add_i32 s16, s13, 0xfffffec8
	s_add_i32 s18, s8, -5
	s_waitcnt lgkmcnt(1)
	v_fma_f64 v[16:17], -v[14:15], v[24:25], v[16:17]
	v_mov_b32_e32 v1, s16
	s_add_i32 s19, s18, s12
	ds_read_b64 v[24:25], v1
	s_waitcnt lgkmcnt(1)
	v_mul_f64 v[30:31], v[16:17], v[28:29]
	v_add_lshl_u32 v1, s17, v0, 3
	s_lshl_b32 s19, s19, 3
	ds_write_b64 v1, v[30:31] offset:1152
	v_mov_b32_e32 v1, s19
	s_add_i32 s19, s18, s9
	s_lshl_b32 s19, s19, 3
	v_fma_f64 v[10:11], -v[12:13], v[18:19], v[10:11]
	v_mov_b32_e32 v20, s19
	v_fma_f64 v[10:11], -v[14:15], v[22:23], v[10:11]
	ds_read2_b64 v[16:19], v1 offset1:1
	ds_read2_b64 v[20:23], v20 offset1:1
	v_fma_f64 v[10:11], -v[30:31], v[26:27], v[10:11]
	s_sub_i32 s16, s9, 24
	s_add_i32 s19, s18, s17
	s_waitcnt lgkmcnt(3)
	v_mul_f64 v[32:33], v[10:11], v[24:25]
	v_add_lshl_u32 v1, s16, v0, 3
	s_lshl_b32 s19, s19, 3
	ds_write_b64 v1, v[32:33] offset:1152
	v_mov_b32_e32 v1, s19
	s_add_i32 s19, s18, s16
	s_waitcnt lgkmcnt(2)
	v_fma_f64 v[8:9], -v[12:13], v[18:19], v[8:9]
	s_lshl_b32 s19, s19, 3
	s_waitcnt lgkmcnt(1)
	v_fma_f64 v[18:19], -v[14:15], v[22:23], v[8:9]
	ds_read2_b64 v[8:11], v1 offset1:1
	v_mov_b32_e32 v1, s19
	s_sub_i32 s19, s9, 36
	s_add_i32 s18, s18, s19
	s_lshl_b32 s18, s18, 3
	ds_read2_b64 v[22:25], v1 offset1:1
	v_mov_b32_e32 v1, s18
	ds_read2_b64 v[26:29], v1 offset1:1
	s_waitcnt lgkmcnt(2)
	v_fma_f64 v[10:11], -v[30:31], v[10:11], v[18:19]
	s_add_i32 s18, s13, 0xfffffdf8
	s_add_i32 s23, s8, -7
	s_waitcnt lgkmcnt(1)
	v_fma_f64 v[10:11], -v[32:33], v[24:25], v[10:11]
	v_mov_b32_e32 v1, s18
	s_add_i32 s12, s23, s12
	ds_read_b64 v[24:25], v1
	s_waitcnt lgkmcnt(1)
	v_mul_f64 v[34:35], v[10:11], v[28:29]
	v_add_lshl_u32 v1, s19, v0, 3
	v_fma_f64 v[6:7], -v[12:13], v[16:17], v[6:7]
	s_lshl_b32 s12, s12, 3
	ds_write_b64 v1, v[34:35] offset:1152
	v_fma_f64 v[6:7], -v[14:15], v[20:21], v[6:7]
	v_mov_b32_e32 v1, s12
	s_add_i32 s12, s23, s9
	v_fma_f64 v[6:7], -v[30:31], v[8:9], v[6:7]
	s_lshl_b32 s12, s12, 3
	v_fma_f64 v[6:7], -v[32:33], v[22:23], v[6:7]
	v_mov_b32_e32 v16, s12
	v_fma_f64 v[10:11], -v[34:35], v[26:27], v[6:7]
	ds_read2_b64 v[6:9], v1 offset1:1
	ds_read2_b64 v[16:19], v16 offset1:1
	s_sub_i32 s18, s9, 48
	s_add_i32 s12, s23, s17
	s_waitcnt lgkmcnt(3)
	v_mul_f64 v[36:37], v[10:11], v[24:25]
	v_add_lshl_u32 v1, s18, v0, 3
	s_lshl_b32 s12, s12, 3
	ds_write_b64 v1, v[36:37] offset:1152
	v_mov_b32_e32 v1, s12
	s_add_i32 s12, s23, s16
	s_waitcnt lgkmcnt(2)
	v_fma_f64 v[4:5], -v[12:13], v[8:9], v[4:5]
	ds_read2_b64 v[8:11], v1 offset1:1
	s_lshl_b32 s12, s12, 3
	v_mov_b32_e32 v1, s12
	s_add_i32 s12, s23, s19
	s_lshl_b32 s12, s12, 3
	s_waitcnt lgkmcnt(2)
	v_fma_f64 v[4:5], -v[14:15], v[18:19], v[4:5]
	ds_read2_b64 v[18:21], v1 offset1:1
	v_mov_b32_e32 v1, s12
	s_add_i32 s12, s23, s18
	s_lshl_b32 s12, s12, 3
	s_waitcnt lgkmcnt(1)
	v_fma_f64 v[4:5], -v[30:31], v[10:11], v[4:5]
	v_mov_b32_e32 v10, s12
	s_add_i32 s12, s13, 0xfffffd90
	s_sub_i32 s9, s9, 60
	ds_read2_b64 v[22:25], v1 offset1:1
	ds_read2_b64 v[26:29], v10 offset1:1
	v_mov_b32_e32 v1, s12
	s_add_i32 s23, s23, s9
	ds_read_b64 v[10:11], v1
	v_add_lshl_u32 v1, s9, v0, 3
	v_fma_f64 v[2:3], -v[12:13], v[6:7], v[2:3]
	s_lshl_b32 s9, s23, 3
	v_fma_f64 v[2:3], -v[14:15], v[16:17], v[2:3]
	v_mov_b32_e32 v6, s9
	s_add_i32 s9, s13, 0xfffffd28
	v_fma_f64 v[2:3], -v[30:31], v[8:9], v[2:3]
	ds_read_b64 v[6:7], v6
	v_mov_b32_e32 v8, s9
	s_waitcnt lgkmcnt(4)
	v_fma_f64 v[4:5], -v[32:33], v[20:21], v[4:5]
	ds_read_b64 v[8:9], v8
	s_waitcnt lgkmcnt(4)
	v_fma_f64 v[4:5], -v[34:35], v[24:25], v[4:5]
	v_fma_f64 v[2:3], -v[32:33], v[18:19], v[2:3]
	s_waitcnt lgkmcnt(3)
	v_fma_f64 v[4:5], -v[36:37], v[28:29], v[4:5]
	v_fma_f64 v[2:3], -v[34:35], v[22:23], v[2:3]
	s_waitcnt lgkmcnt(2)
	v_mul_f64 v[4:5], v[4:5], v[10:11]
	v_fma_f64 v[2:3], -v[36:37], v[26:27], v[2:3]
	s_waitcnt lgkmcnt(1)
	v_fma_f64 v[2:3], -v[4:5], v[6:7], v[2:3]
	s_waitcnt lgkmcnt(0)
	v_mul_f64 v[2:3], v[2:3], v[8:9]
	s_add_i32 s8, s8, -8
	ds_write2_b64 v1, v[2:3], v[4:5] offset0:132 offset1:144
.LBB77_52:
	s_cmp_lt_i32 s8, 0
	s_cbranch_scc1 .LBB77_65
; %bb.53:
	s_bitcmp1_b32 s8, 0
	s_cselect_b64 s[12:13], -1, 0
	s_and_b64 vcc, exec, s[12:13]
	s_mov_b32 s9, s8
	s_cbranch_vccnz .LBB77_58
; %bb.54:
	s_mul_i32 s9, s8, 12
	v_add_lshl_u32 v1, s9, v0, 3
	ds_read_b64 v[2:3], v1 offset:1152
	s_cmp_le_i32 s31, s8
	s_cbranch_scc1 .LBB77_57
; %bb.55:
	s_mul_i32 s12, s30, 0x60
	s_lshl_b32 s9, s8, 3
	s_add_i32 s9, s12, s9
	v_lshl_add_u32 v4, v0, 3, s12
	s_addk_i32 s9, 0xffa0
	v_add_u32_e32 v4, 0x420, v4
	s_mov_b32 s12, s31
.LBB77_56:                              ; =>This Inner Loop Header: Depth=1
	v_mov_b32_e32 v5, s9
	ds_read_b64 v[6:7], v4
	ds_read_b64 v[8:9], v5
	s_add_i32 s12, s12, -1
	s_addk_i32 s9, 0xffa0
	v_add_u32_e32 v4, 0xffffffa0, v4
	s_cmp_gt_i32 s12, s8
	s_waitcnt lgkmcnt(0)
	v_fma_f64 v[2:3], -v[6:7], v[8:9], v[2:3]
	s_cbranch_scc1 .LBB77_56
.LBB77_57:
	s_mul_i32 s9, s8, 0x68
	v_mov_b32_e32 v4, s9
	ds_read_b64 v[4:5], v4
	v_add_u32_e32 v1, 0x480, v1
	s_add_i32 s9, s8, -1
	s_waitcnt lgkmcnt(0)
	v_mul_f64 v[2:3], v[2:3], v[4:5]
	ds_write_b64 v1, v[2:3]
.LBB77_58:
	s_cmp_eq_u32 s8, 0
	s_cbranch_scc1 .LBB77_65
; %bb.59:
	s_mul_i32 s12, s30, 0x60
	s_lshl_b32 s8, s9, 3
	s_add_i32 s13, s12, s8
	v_lshl_add_u32 v1, v0, 3, s12
	s_add_i32 s8, s13, 0xffffffa0
	v_add_u32_e32 v1, 0x420, v1
	s_add_i32 s12, s13, 0xffffff98
	s_branch .LBB77_61
.LBB77_60:                              ;   in Loop: Header=BB77_61 Depth=1
	s_addk_i32 s13, 0xff98
	v_mov_b32_e32 v2, s13
	ds_read_b64 v[2:3], v2
	s_add_i32 s13, s9, -2
	s_add_i32 s8, s8, -16
	;; [unrolled: 1-line block ×3, first 2 shown]
	s_cmp_lt_i32 s9, 2
	s_waitcnt lgkmcnt(0)
	v_mul_f64 v[2:3], v[4:5], v[2:3]
	s_mov_b32 s9, s13
	ds_write_b64 v6, v[2:3]
	s_cbranch_scc1 .LBB77_65
.LBB77_61:                              ; =>This Loop Header: Depth=1
                                        ;     Child Loop BB77_62 Depth 2
                                        ;     Child Loop BB77_64 Depth 2
	s_mul_i32 s13, s9, 12
	v_add_lshl_u32 v4, s13, v0, 3
	ds_read_b64 v[2:3], v4 offset:1152
	s_cmp_le_i32 s31, s9
	v_mov_b32_e32 v5, v1
	s_mov_b32 s13, s8
	s_mov_b32 s16, s31
	s_cbranch_scc1 .LBB77_63
.LBB77_62:                              ;   Parent Loop BB77_61 Depth=1
                                        ; =>  This Inner Loop Header: Depth=2
	v_mov_b32_e32 v8, s13
	ds_read_b64 v[6:7], v5
	ds_read_b64 v[8:9], v8
	s_add_i32 s16, s16, -1
	s_addk_i32 s13, 0xffa0
	v_add_u32_e32 v5, 0xffffffa0, v5
	s_cmp_gt_i32 s16, s9
	s_waitcnt lgkmcnt(0)
	v_fma_f64 v[2:3], -v[6:7], v[8:9], v[2:3]
	s_cbranch_scc1 .LBB77_62
.LBB77_63:                              ;   in Loop: Header=BB77_61 Depth=1
	s_mul_i32 s13, s9, 0x68
	v_add_u32_e32 v8, 0x480, v4
	v_mov_b32_e32 v4, s13
	ds_read_b64 v[10:11], v4
	v_add_u32_e32 v6, 0xffffffa0, v8
	ds_read_b64 v[4:5], v6
	s_cmp_lt_i32 s31, s9
	v_mov_b32_e32 v7, v1
	s_waitcnt lgkmcnt(1)
	v_mul_f64 v[2:3], v[2:3], v[10:11]
	s_mov_b32 s16, s12
	s_mov_b32 s17, s30
	ds_write_b64 v8, v[2:3]
	s_cbranch_scc1 .LBB77_60
.LBB77_64:                              ;   Parent Loop BB77_61 Depth=1
                                        ; =>  This Inner Loop Header: Depth=2
	v_mov_b32_e32 v8, s16
	ds_read_b64 v[2:3], v7
	ds_read_b64 v[8:9], v8
	s_add_i32 s17, s17, -1
	s_addk_i32 s16, 0xffa0
	v_add_u32_e32 v7, 0xffffffa0, v7
	s_cmp_gt_i32 s17, s9
	s_waitcnt lgkmcnt(0)
	v_fma_f64 v[4:5], -v[2:3], v[8:9], v[4:5]
	s_cbranch_scc1 .LBB77_64
	s_branch .LBB77_60
.LBB77_65:
	s_waitcnt lgkmcnt(0)
	; wave barrier
	s_waitcnt lgkmcnt(0)
	s_and_saveexec_b64 s[8:9], s[14:15]
	s_cbranch_execz .LBB77_73
; %bb.66:
	s_cmp_lt_i32 s10, 8
	s_mov_b32 s9, 0
	s_cbranch_scc1 .LBB77_70
; %bb.67:
	v_mad_i64_i32 v[2:3], s[8:9], s20, v0, 0
	v_lshlrev_b64 v[2:3], 3, v[2:3]
	v_mov_b32_e32 v4, s22
	v_add_co_u32_e32 v1, vcc, s11, v2
	v_addc_co_u32_e32 v2, vcc, v4, v3, vcc
	v_mov_b32_e32 v3, 0x480
	s_lshl_b32 s8, s30, 3
	v_lshl_or_b32 v3, v0, 3, v3
	s_and_b32 s10, s8, 64
	s_mov_b64 s[8:9], 0
.LBB77_68:                              ; =>This Inner Loop Header: Depth=1
	ds_read2_b64 v[4:7], v3 offset1:12
	ds_read2_b64 v[8:11], v3 offset0:24 offset1:36
	ds_read2_b64 v[12:15], v3 offset0:48 offset1:60
	;; [unrolled: 1-line block ×3, first 2 shown]
	v_add_co_u32_e32 v20, vcc, s8, v1
	s_add_u32 s8, s8, 64
	v_mov_b32_e32 v21, s9
	s_addc_u32 s9, s9, 0
	v_add_u32_e32 v3, 0x300, v3
	v_addc_co_u32_e32 v21, vcc, v2, v21, vcc
	s_cmp_lg_u32 s10, s8
	s_waitcnt lgkmcnt(3)
	global_store_dwordx4 v[20:21], v[4:7], off
	s_waitcnt lgkmcnt(2)
	global_store_dwordx4 v[20:21], v[8:11], off offset:16
	s_waitcnt lgkmcnt(1)
	global_store_dwordx4 v[20:21], v[12:15], off offset:32
	;; [unrolled: 2-line block ×3, first 2 shown]
	s_cbranch_scc1 .LBB77_68
; %bb.69:
	s_mov_b32 s9, 8
.LBB77_70:
	s_and_b32 s8, s30, 7
	s_cmp_eq_u32 s8, 0
	s_cbranch_scc1 .LBB77_73
; %bb.71:
	s_lshl_b64 s[6:7], s[6:7], 3
	v_lshlrev_b32_e32 v1, 3, v0
	v_add_co_u32_e32 v1, vcc, s6, v1
	s_lshl_b32 s6, s9, 3
	s_add_u32 s2, s2, s6
	s_addc_u32 s3, s3, 0
	s_add_u32 s2, s2, s4
	s_addc_u32 s3, s3, s5
	s_add_u32 s0, s2, s0
	v_mov_b32_e32 v2, s7
	s_addc_u32 s1, s3, s1
	v_addc_co_u32_e32 v4, vcc, 0, v2, vcc
	v_pk_mov_b32 v[2:3], s[0:1], s[0:1] op_sel:[0,1]
	v_mad_u64_u32 v[2:3], s[0:1], v1, s20, v[2:3]
	s_mul_i32 s0, s9, 0x60
	v_mul_lo_u32 v1, v1, s21
	v_mul_lo_u32 v4, v4, s20
	v_lshl_add_u32 v0, v0, 3, s0
	v_add3_u32 v3, v4, v3, v1
	v_add_u32_e32 v0, 0x480, v0
.LBB77_72:                              ; =>This Inner Loop Header: Depth=1
	ds_read_b64 v[4:5], v0
	s_add_i32 s8, s8, -1
	v_add_u32_e32 v0, 0x60, v0
	s_cmp_lg_u32 s8, 0
	s_waitcnt lgkmcnt(0)
	global_store_dwordx2 v[2:3], v[4:5], off
	v_add_co_u32_e32 v2, vcc, 8, v2
	v_addc_co_u32_e32 v3, vcc, 0, v3, vcc
	s_cbranch_scc1 .LBB77_72
.LBB77_73:
	s_endpgm
	.section	.rodata,"a",@progbits
	.p2align	6, 0x0
	.amdhsa_kernel _ZL38rocblas_trsm_small_left_device_sharedBILi12ELi12ELb0EddPKdPdEv13rocblas_fill_18rocblas_operation_17rocblas_diagonal_iiT3_T4_lilT5_lili
		.amdhsa_group_segment_fixed_size 2304
		.amdhsa_private_segment_fixed_size 0
		.amdhsa_kernarg_size 360
		.amdhsa_user_sgpr_count 6
		.amdhsa_user_sgpr_private_segment_buffer 1
		.amdhsa_user_sgpr_dispatch_ptr 0
		.amdhsa_user_sgpr_queue_ptr 0
		.amdhsa_user_sgpr_kernarg_segment_ptr 1
		.amdhsa_user_sgpr_dispatch_id 0
		.amdhsa_user_sgpr_flat_scratch_init 0
		.amdhsa_user_sgpr_kernarg_preload_length 0
		.amdhsa_user_sgpr_kernarg_preload_offset 0
		.amdhsa_user_sgpr_private_segment_size 0
		.amdhsa_uses_dynamic_stack 0
		.amdhsa_system_sgpr_private_segment_wavefront_offset 0
		.amdhsa_system_sgpr_workgroup_id_x 1
		.amdhsa_system_sgpr_workgroup_id_y 0
		.amdhsa_system_sgpr_workgroup_id_z 1
		.amdhsa_system_sgpr_workgroup_info 0
		.amdhsa_system_vgpr_workitem_id 0
		.amdhsa_next_free_vgpr 64
		.amdhsa_next_free_sgpr 37
		.amdhsa_accum_offset 64
		.amdhsa_reserve_vcc 1
		.amdhsa_reserve_flat_scratch 0
		.amdhsa_float_round_mode_32 0
		.amdhsa_float_round_mode_16_64 0
		.amdhsa_float_denorm_mode_32 3
		.amdhsa_float_denorm_mode_16_64 3
		.amdhsa_dx10_clamp 1
		.amdhsa_ieee_mode 1
		.amdhsa_fp16_overflow 0
		.amdhsa_tg_split 0
		.amdhsa_exception_fp_ieee_invalid_op 0
		.amdhsa_exception_fp_denorm_src 0
		.amdhsa_exception_fp_ieee_div_zero 0
		.amdhsa_exception_fp_ieee_overflow 0
		.amdhsa_exception_fp_ieee_underflow 0
		.amdhsa_exception_fp_ieee_inexact 0
		.amdhsa_exception_int_div_zero 0
	.end_amdhsa_kernel
	.section	.text._ZL38rocblas_trsm_small_left_device_sharedBILi12ELi12ELb0EddPKdPdEv13rocblas_fill_18rocblas_operation_17rocblas_diagonal_iiT3_T4_lilT5_lili,"axG",@progbits,_ZL38rocblas_trsm_small_left_device_sharedBILi12ELi12ELb0EddPKdPdEv13rocblas_fill_18rocblas_operation_17rocblas_diagonal_iiT3_T4_lilT5_lili,comdat
.Lfunc_end77:
	.size	_ZL38rocblas_trsm_small_left_device_sharedBILi12ELi12ELb0EddPKdPdEv13rocblas_fill_18rocblas_operation_17rocblas_diagonal_iiT3_T4_lilT5_lili, .Lfunc_end77-_ZL38rocblas_trsm_small_left_device_sharedBILi12ELi12ELb0EddPKdPdEv13rocblas_fill_18rocblas_operation_17rocblas_diagonal_iiT3_T4_lilT5_lili
                                        ; -- End function
	.section	.AMDGPU.csdata,"",@progbits
; Kernel info:
; codeLenInByte = 8508
; NumSgprs: 41
; NumVgprs: 64
; NumAgprs: 0
; TotalNumVgprs: 64
; ScratchSize: 0
; MemoryBound: 0
; FloatMode: 240
; IeeeMode: 1
; LDSByteSize: 2304 bytes/workgroup (compile time only)
; SGPRBlocks: 5
; VGPRBlocks: 7
; NumSGPRsForWavesPerEU: 41
; NumVGPRsForWavesPerEU: 64
; AccumOffset: 64
; Occupancy: 7
; WaveLimiterHint : 0
; COMPUTE_PGM_RSRC2:SCRATCH_EN: 0
; COMPUTE_PGM_RSRC2:USER_SGPR: 6
; COMPUTE_PGM_RSRC2:TRAP_HANDLER: 0
; COMPUTE_PGM_RSRC2:TGID_X_EN: 1
; COMPUTE_PGM_RSRC2:TGID_Y_EN: 0
; COMPUTE_PGM_RSRC2:TGID_Z_EN: 1
; COMPUTE_PGM_RSRC2:TIDIG_COMP_CNT: 0
; COMPUTE_PGM_RSRC3_GFX90A:ACCUM_OFFSET: 15
; COMPUTE_PGM_RSRC3_GFX90A:TG_SPLIT: 0
	.section	.text._ZL30rocblas_trsm_small_left_deviceILi12ELi12ELb0EddPKdPdEv13rocblas_fill_18rocblas_operation_17rocblas_diagonal_iiT3_T4_lilT5_lili,"axG",@progbits,_ZL30rocblas_trsm_small_left_deviceILi12ELi12ELb0EddPKdPdEv13rocblas_fill_18rocblas_operation_17rocblas_diagonal_iiT3_T4_lilT5_lili,comdat
	.globl	_ZL30rocblas_trsm_small_left_deviceILi12ELi12ELb0EddPKdPdEv13rocblas_fill_18rocblas_operation_17rocblas_diagonal_iiT3_T4_lilT5_lili ; -- Begin function _ZL30rocblas_trsm_small_left_deviceILi12ELi12ELb0EddPKdPdEv13rocblas_fill_18rocblas_operation_17rocblas_diagonal_iiT3_T4_lilT5_lili
	.p2align	8
	.type	_ZL30rocblas_trsm_small_left_deviceILi12ELi12ELb0EddPKdPdEv13rocblas_fill_18rocblas_operation_17rocblas_diagonal_iiT3_T4_lilT5_lili,@function
_ZL30rocblas_trsm_small_left_deviceILi12ELi12ELb0EddPKdPdEv13rocblas_fill_18rocblas_operation_17rocblas_diagonal_iiT3_T4_lilT5_lili: ; @_ZL30rocblas_trsm_small_left_deviceILi12ELi12ELb0EddPKdPdEv13rocblas_fill_18rocblas_operation_17rocblas_diagonal_iiT3_T4_lilT5_lili
; %bb.0:
	s_load_dwordx4 s[12:15], s[4:5], 0x4
	s_load_dwordx4 s[0:3], s[4:5], 0x18
	s_load_dwordx2 s[24:25], s[4:5], 0x28
	s_load_dwordx4 s[8:11], s[4:5], 0x38
	s_load_dwordx2 s[20:21], s[4:5], 0x48
	s_waitcnt lgkmcnt(0)
	s_min_i32 s16, s14, 12
	s_mov_b32 s17, 0
	s_add_i32 s18, s16, -1
	v_cmp_gt_i32_e32 vcc, s16, v0
	s_and_saveexec_b64 s[22:23], vcc
	s_cbranch_execz .LBB78_10
; %bb.1:
	s_load_dword s26, s[4:5], 0x30
	s_mul_i32 s9, s7, s9
	s_mul_hi_u32 s19, s7, s8
	s_add_i32 s9, s19, s9
	s_mul_i32 s8, s7, s8
	s_waitcnt lgkmcnt(0)
	s_ashr_i32 s27, s26, 31
	s_cmp_lt_u32 s18, 3
	v_lshlrev_b32_e32 v1, 3, v0
	s_cbranch_scc1 .LBB78_4
; %bb.2:
	s_lshl_b64 s[28:29], s[8:9], 3
	s_add_u32 s17, s2, s28
	s_addc_u32 s19, s3, s29
	s_lshl_b64 s[28:29], s[24:25], 3
	s_add_u32 s17, s17, s28
	s_addc_u32 s19, s19, s29
	v_mov_b32_e32 v3, s19
	v_add_co_u32_e32 v2, vcc, s17, v1
	s_mul_hi_i32 s36, s26, 24
	s_lshl_b64 s[28:29], s[26:27], 5
	s_lshl_b64 s[30:31], s[26:27], 4
	;; [unrolled: 1-line block ×3, first 2 shown]
	v_addc_co_u32_e32 v3, vcc, 0, v3, vcc
	s_and_b32 s17, s16, -4
	s_mul_i32 s19, s26, 24
	s_mov_b32 s33, 0
	v_mov_b32_e32 v4, s35
	v_mov_b32_e32 v5, s31
	;; [unrolled: 1-line block ×5, first 2 shown]
.LBB78_3:                               ; =>This Inner Loop Header: Depth=1
	v_add_co_u32_e32 v12, vcc, s34, v2
	v_addc_co_u32_e32 v13, vcc, v3, v4, vcc
	v_add_co_u32_e32 v14, vcc, s30, v2
	v_addc_co_u32_e32 v15, vcc, v3, v5, vcc
	v_add_co_u32_e32 v16, vcc, s19, v2
	global_load_dwordx2 v[10:11], v[2:3], off
	v_addc_co_u32_e32 v17, vcc, v3, v6, vcc
	global_load_dwordx2 v[18:19], v[12:13], off
	global_load_dwordx2 v[20:21], v[14:15], off
	;; [unrolled: 1-line block ×3, first 2 shown]
	s_add_i32 s33, s33, 4
	v_add_co_u32_e32 v2, vcc, s28, v2
	v_addc_co_u32_e32 v3, vcc, v3, v7, vcc
	s_cmp_eq_u32 s17, s33
	s_waitcnt vmcnt(2)
	ds_write2_b64 v8, v[10:11], v[18:19] offset1:12
	s_waitcnt vmcnt(0)
	ds_write2_b64 v8, v[20:21], v[22:23] offset0:24 offset1:36
	v_add_u32_e32 v8, 0x180, v8
	s_cbranch_scc0 .LBB78_3
.LBB78_4:
	s_and_b32 s19, s16, 3
	s_cmp_eq_u32 s19, 0
	s_cbranch_scc1 .LBB78_7
; %bb.5:
	s_mul_i32 s28, s17, 0x60
	v_lshl_add_u32 v4, v0, 3, s28
	s_mul_i32 s28, s27, s17
	s_mul_hi_u32 s29, s26, s17
	s_add_i32 s29, s29, s28
	s_mul_i32 s28, s26, s17
	s_lshl_b64 s[8:9], s[8:9], 3
	s_lshl_b64 s[28:29], s[28:29], 3
	s_add_u32 s17, s8, s28
	s_addc_u32 s28, s9, s29
	s_lshl_b64 s[8:9], s[24:25], 3
	s_add_u32 s8, s17, s8
	s_addc_u32 s9, s28, s9
	s_add_u32 s2, s2, s8
	s_addc_u32 s3, s3, s9
	v_mov_b32_e32 v3, s3
	v_add_co_u32_e32 v2, vcc, s2, v1
	s_lshl_b64 s[2:3], s[26:27], 3
	v_addc_co_u32_e32 v3, vcc, 0, v3, vcc
	v_mov_b32_e32 v1, s3
.LBB78_6:                               ; =>This Inner Loop Header: Depth=1
	global_load_dwordx2 v[6:7], v[2:3], off
	v_add_co_u32_e32 v2, vcc, s2, v2
	s_add_i32 s19, s19, -1
	v_addc_co_u32_e32 v3, vcc, v3, v1, vcc
	s_cmp_lg_u32 s19, 0
	s_waitcnt vmcnt(0)
	ds_write_b64 v4, v[6:7]
	v_add_u32_e32 v4, 0x60, v4
	s_cbranch_scc1 .LBB78_6
.LBB78_7:
	v_mul_u32_u24_e32 v1, 13, v0
	v_mov_b32_e32 v2, 0
	s_cmpk_lg_i32 s13, 0x84
	v_lshlrev_b32_e32 v1, 3, v1
	v_mov_b32_e32 v3, 0x3ff00000
	s_cbranch_scc0 .LBB78_9
; %bb.8:
	ds_read_b64 v[2:3], v1
	s_waitcnt lgkmcnt(0)
	v_div_scale_f64 v[4:5], s[2:3], v[2:3], v[2:3], 1.0
	v_rcp_f64_e32 v[6:7], v[4:5]
	v_div_scale_f64 v[8:9], vcc, 1.0, v[2:3], 1.0
	v_fma_f64 v[10:11], -v[4:5], v[6:7], 1.0
	v_fmac_f64_e32 v[6:7], v[6:7], v[10:11]
	v_fma_f64 v[10:11], -v[4:5], v[6:7], 1.0
	v_fmac_f64_e32 v[6:7], v[6:7], v[10:11]
	v_mul_f64 v[10:11], v[8:9], v[6:7]
	v_fma_f64 v[4:5], -v[4:5], v[10:11], v[8:9]
	v_div_fmas_f64 v[4:5], v[4:5], v[6:7], v[10:11]
	v_div_fixup_f64 v[2:3], v[4:5], v[2:3], 1.0
.LBB78_9:
	ds_write_b64 v1, v[2:3]
.LBB78_10:
	s_or_b64 exec, exec, s[22:23]
	s_load_dword s2, s[4:5], 0x68
	s_mul_i32 s3, s6, -12
	s_add_i32 s3, s3, s15
	s_waitcnt lgkmcnt(0)
	; wave barrier
	s_waitcnt lgkmcnt(0)
	s_add_i32 s2, s2, -1
	s_cmp_ge_u32 s6, s2
	s_cselect_b32 s2, s3, 12
	v_cmp_gt_i32_e32 vcc, s2, v0
	s_and_saveexec_b64 s[2:3], vcc
	s_cbranch_execz .LBB78_56
; %bb.11:
	s_load_dwordx2 s[2:3], s[4:5], 0x58
	s_load_dword s8, s[4:5], 0x50
	s_waitcnt lgkmcnt(0)
	s_mul_i32 s3, s7, s3
	s_mul_hi_u32 s4, s7, s2
	s_mul_i32 s2, s7, s2
	s_add_i32 s3, s4, s3
	s_lshl_b64 s[2:3], s[2:3], 3
	s_add_u32 s7, s10, s2
	s_addc_u32 s9, s11, s3
	s_lshl_b64 s[4:5], s[20:21], 3
	s_add_u32 s13, s7, s4
	v_mad_u64_u32 v[0:1], s[6:7], s6, 12, v[0:1]
	v_mad_i64_i32 v[0:1], s[6:7], s8, v0, 0
	s_addc_u32 s9, s9, s5
	v_lshlrev_b64 v[22:23], 3, v[0:1]
	v_mov_b32_e32 v0, s9
	v_add_co_u32_e32 v20, vcc, s13, v22
	v_addc_co_u32_e32 v21, vcc, v0, v23, vcc
	s_cmpk_eq_i32 s12, 0x6f
	s_mov_b64 s[6:7], -1
	s_cbranch_scc1 .LBB78_34
; %bb.12:
	s_cmp_gt_i32 s14, 11
	s_cselect_b64 s[8:9], -1, 0
	s_and_b64 vcc, exec, s[8:9]
	s_cbranch_vccz .LBB78_14
; %bb.13:
	global_load_dwordx4 v[16:19], v[20:21], off
	global_load_dwordx4 v[24:27], v[20:21], off offset:16
	global_load_dwordx4 v[28:31], v[20:21], off offset:32
	global_load_dwordx4 v[32:35], v[20:21], off offset:48
	v_mov_b32_e32 v14, 0
	ds_read2_b64 v[2:5], v14 offset1:26
	ds_read_b128 v[36:39], v14 offset:96
	ds_read_b128 v[6:9], v14 offset:192
	;; [unrolled: 1-line block ×6, first 2 shown]
	s_mov_b32 s6, 12
	s_waitcnt vmcnt(3)
	v_mul_f64 v[0:1], v[16:17], s[0:1]
	s_waitcnt lgkmcnt(6)
	v_mul_f64 v[0:1], v[0:1], v[2:3]
	s_waitcnt lgkmcnt(5)
	v_mul_f64 v[2:3], v[0:1], v[36:37]
	v_fma_f64 v[2:3], v[18:19], s[0:1], -v[2:3]
	s_waitcnt lgkmcnt(2)
	v_mul_f64 v[16:17], v[0:1], v[40:41]
	s_waitcnt lgkmcnt(1)
	v_mul_f64 v[18:19], v[0:1], v[44:45]
	s_waitcnt vmcnt(1)
	v_fma_f64 v[36:37], v[28:29], s[0:1], -v[16:17]
	v_fma_f64 v[40:41], v[30:31], s[0:1], -v[18:19]
	global_load_dwordx4 v[28:31], v[20:21], off offset:64
	v_mul_f64 v[6:7], v[0:1], v[6:7]
	v_fma_f64 v[6:7], v[24:25], s[0:1], -v[6:7]
	v_mul_f64 v[2:3], v[2:3], v[38:39]
	v_fma_f64 v[38:39], -v[2:3], v[8:9], v[6:7]
	global_load_dwordx4 v[6:9], v[20:21], off offset:80
	s_waitcnt lgkmcnt(0)
	v_mul_f64 v[16:17], v[0:1], v[48:49]
	s_waitcnt vmcnt(2)
	v_fma_f64 v[44:45], v[32:33], s[0:1], -v[16:17]
	ds_read_b128 v[16:19], v14 offset:672
	v_mul_f64 v[10:11], v[0:1], v[10:11]
	v_fma_f64 v[10:11], v[26:27], s[0:1], -v[10:11]
	ds_read_b128 v[24:27], v14 offset:768
	v_fma_f64 v[48:49], -v[2:3], v[12:13], v[10:11]
	s_waitcnt lgkmcnt(1)
	v_mul_f64 v[16:17], v[0:1], v[16:17]
	v_fma_f64 v[16:17], v[34:35], s[0:1], -v[16:17]
	ds_read_b128 v[32:35], v14 offset:864
	s_waitcnt lgkmcnt(1)
	v_mul_f64 v[24:25], v[0:1], v[24:25]
	v_fma_f64 v[52:53], -v[2:3], v[42:43], v[36:37]
	v_fma_f64 v[46:47], -v[2:3], v[46:47], v[40:41]
	ds_read_b128 v[40:43], v14 offset:880
	ds_read_b128 v[10:13], v14 offset:304
	v_fma_f64 v[44:45], -v[2:3], v[50:51], v[44:45]
	v_fma_f64 v[50:51], -v[2:3], v[18:19], v[16:17]
	ds_read_b128 v[16:19], v14 offset:496
	v_mul_f64 v[36:37], v[38:39], v[4:5]
	s_waitcnt vmcnt(1)
	v_fma_f64 v[24:25], v[28:29], s[0:1], -v[24:25]
	s_waitcnt lgkmcnt(3)
	v_mul_f64 v[28:29], v[0:1], v[32:33]
	v_fma_f64 v[32:33], v[30:31], s[0:1], -v[28:29]
	ds_read_b128 v[28:31], v14 offset:400
	s_waitcnt lgkmcnt(2)
	v_fma_f64 v[4:5], -v[36:37], v[10:11], v[48:49]
	v_mul_f64 v[38:39], v[4:5], v[12:13]
	v_fma_f64 v[54:55], -v[2:3], v[26:27], v[24:25]
	ds_read_b128 v[24:27], v14 offset:688
	ds_read_b128 v[10:13], v14 offset:592
	s_waitcnt lgkmcnt(2)
	v_fma_f64 v[4:5], -v[36:37], v[28:29], v[52:53]
	v_fma_f64 v[4:5], -v[38:39], v[30:31], v[4:5]
	ds_read_b128 v[28:31], v14 offset:512
	v_fma_f64 v[16:17], -v[36:37], v[16:17], v[46:47]
	v_fma_f64 v[46:47], -v[38:39], v[18:19], v[16:17]
	ds_read2_b64 v[16:19], v14 offset0:52 offset1:78
	v_fma_f64 v[56:57], -v[2:3], v[34:35], v[32:33]
	ds_read_b128 v[32:35], v14 offset:784
	s_waitcnt lgkmcnt(3)
	v_fma_f64 v[10:11], -v[36:37], v[10:11], v[44:45]
	v_fma_f64 v[24:25], -v[36:37], v[24:25], v[50:51]
	s_waitcnt lgkmcnt(1)
	v_mul_f64 v[44:45], v[4:5], v[16:17]
	v_fma_f64 v[48:49], -v[38:39], v[12:13], v[10:11]
	ds_read_b128 v[10:13], v14 offset:608
	v_fma_f64 v[50:51], -v[38:39], v[26:27], v[24:25]
	ds_read_b128 v[24:27], v14 offset:704
	v_fma_f64 v[4:5], -v[44:45], v[28:29], v[46:47]
	v_fma_f64 v[40:41], -v[36:37], v[40:41], v[56:57]
	v_mul_f64 v[46:47], v[4:5], v[30:31]
	ds_read_b128 v[28:31], v14 offset:816
	s_waitcnt lgkmcnt(3)
	v_fma_f64 v[32:33], -v[36:37], v[32:33], v[54:55]
	v_fma_f64 v[52:53], -v[38:39], v[34:35], v[32:33]
	ds_read_b128 v[32:35], v14 offset:720
	v_fma_f64 v[54:55], -v[38:39], v[42:43], v[40:41]
	ds_read_b128 v[40:43], v14 offset:800
	s_waitcnt lgkmcnt(3)
	v_fma_f64 v[16:17], -v[44:45], v[24:25], v[50:51]
	v_fma_f64 v[56:57], -v[46:47], v[26:27], v[16:17]
	ds_read_b128 v[24:27], v14 offset:896
	v_fma_f64 v[4:5], -v[44:45], v[10:11], v[48:49]
	s_waitcnt lgkmcnt(1)
	v_fma_f64 v[16:17], -v[44:45], v[40:41], v[52:53]
	v_fma_f64 v[52:53], -v[46:47], v[42:43], v[16:17]
	ds_read_b128 v[40:43], v14 offset:912
	v_fma_f64 v[4:5], -v[46:47], v[12:13], v[4:5]
	ds_read2_b64 v[10:13], v14 offset0:104 offset1:130
	v_mul_f64 v[16:17], v[4:5], v[18:19]
	ds_read_b128 v[48:51], v14 offset:928
	s_waitcnt lgkmcnt(3)
	v_fma_f64 v[4:5], -v[44:45], v[24:25], v[54:55]
	v_fma_f64 v[18:19], -v[16:17], v[32:33], v[56:57]
	;; [unrolled: 1-line block ×3, first 2 shown]
	v_mul_f64 v[18:19], v[18:19], v[34:35]
	v_fma_f64 v[4:5], -v[46:47], v[26:27], v[4:5]
	global_store_dwordx4 v[20:21], v[0:3], off
	global_store_dwordx4 v[20:21], v[36:39], off offset:16
	v_fma_f64 v[24:25], -v[18:19], v[30:31], v[24:25]
	s_waitcnt lgkmcnt(2)
	v_fma_f64 v[4:5], -v[16:17], v[40:41], v[4:5]
	s_waitcnt lgkmcnt(1)
	v_mul_f64 v[24:25], v[24:25], v[10:11]
	v_fma_f64 v[4:5], -v[18:19], v[42:43], v[4:5]
	ds_read_b128 v[28:31], v14 offset:960
	s_waitcnt lgkmcnt(1)
	v_fma_f64 v[4:5], -v[24:25], v[48:49], v[4:5]
	v_mul_f64 v[26:27], v[4:5], v[50:51]
	global_store_dwordx4 v[20:21], v[44:47], off offset:32
	global_store_dwordx4 v[20:21], v[16:19], off offset:48
	;; [unrolled: 1-line block ×3, first 2 shown]
	ds_read_b128 v[32:35], v14 offset:976
	ds_read_b128 v[40:43], v14 offset:992
	s_waitcnt lgkmcnt(2)
	v_mul_f64 v[4:5], v[0:1], v[28:29]
	s_waitcnt vmcnt(5)
	v_fma_f64 v[4:5], v[6:7], s[0:1], -v[4:5]
	v_fma_f64 v[4:5], -v[2:3], v[30:31], v[4:5]
	s_waitcnt lgkmcnt(1)
	v_fma_f64 v[10:11], -v[36:37], v[32:33], v[4:5]
	ds_read_b128 v[4:7], v14 offset:1008
	ds_read_b128 v[28:31], v14 offset:1024
	v_fma_f64 v[10:11], -v[38:39], v[34:35], v[10:11]
	s_waitcnt lgkmcnt(2)
	v_fma_f64 v[10:11], -v[44:45], v[40:41], v[10:11]
	v_fma_f64 v[10:11], -v[46:47], v[42:43], v[10:11]
	s_waitcnt lgkmcnt(1)
	v_fma_f64 v[4:5], -v[16:17], v[4:5], v[10:11]
	v_fma_f64 v[10:11], -v[18:19], v[6:7], v[4:5]
	ds_read_b128 v[4:7], v14 offset:1056
	s_waitcnt lgkmcnt(1)
	v_fma_f64 v[10:11], -v[24:25], v[28:29], v[10:11]
	v_fma_f64 v[10:11], -v[26:27], v[30:31], v[10:11]
	ds_read_b128 v[28:31], v14 offset:1072
	ds_read_b128 v[32:35], v14 offset:1088
	s_waitcnt lgkmcnt(2)
	v_mul_f64 v[0:1], v[0:1], v[4:5]
	v_fma_f64 v[0:1], v[8:9], s[0:1], -v[0:1]
	v_fma_f64 v[0:1], -v[2:3], v[6:7], v[0:1]
	s_waitcnt lgkmcnt(1)
	v_fma_f64 v[0:1], -v[36:37], v[28:29], v[0:1]
	v_fma_f64 v[4:5], -v[38:39], v[30:31], v[0:1]
	ds_read_b128 v[0:3], v14 offset:1104
	s_waitcnt lgkmcnt(1)
	v_fma_f64 v[8:9], -v[44:45], v[32:33], v[4:5]
	ds_read_b128 v[4:7], v14 offset:1120
	v_mul_f64 v[10:11], v[10:11], v[12:13]
	v_fma_f64 v[8:9], -v[46:47], v[34:35], v[8:9]
	ds_read_b128 v[12:15], v14 offset:1136
	s_waitcnt lgkmcnt(2)
	v_fma_f64 v[0:1], -v[16:17], v[0:1], v[8:9]
	v_fma_f64 v[0:1], -v[18:19], v[2:3], v[0:1]
	s_waitcnt lgkmcnt(1)
	v_fma_f64 v[0:1], -v[24:25], v[4:5], v[0:1]
	v_fma_f64 v[0:1], -v[26:27], v[6:7], v[0:1]
	s_waitcnt lgkmcnt(0)
	v_fma_f64 v[0:1], -v[10:11], v[12:13], v[0:1]
	v_mul_f64 v[12:13], v[0:1], v[14:15]
	global_store_dwordx4 v[20:21], v[10:13], off offset:80
	s_cmp_lt_i32 s6, s16
	s_cbranch_scc1 .LBB78_15
	s_branch .LBB78_33
.LBB78_14:
	s_mov_b32 s6, 0
	s_cmp_lt_i32 s6, s16
	s_cbranch_scc0 .LBB78_33
.LBB78_15:
	s_add_i32 s7, s6, 7
	s_cmp_ge_u32 s7, s16
	s_cbranch_scc1 .LBB78_22
; %bb.16:
	s_lshl_b32 s7, s6, 3
	v_add_co_u32_e32 v4, vcc, s7, v20
	v_addc_co_u32_e32 v5, vcc, 0, v21, vcc
	global_load_dwordx4 v[0:3], v[4:5], off
	global_load_dwordx4 v[6:9], v[4:5], off offset:16
	global_load_dwordx4 v[26:29], v[4:5], off offset:32
	;; [unrolled: 1-line block ×3, first 2 shown]
	s_andn2_b64 vcc, exec, s[8:9]
	s_waitcnt vmcnt(3)
	v_mul_f64 v[24:25], v[0:1], s[0:1]
	v_mul_f64 v[18:19], v[2:3], s[0:1]
	s_waitcnt vmcnt(2)
	v_mul_f64 v[16:17], v[6:7], s[0:1]
	v_mul_f64 v[14:15], v[8:9], s[0:1]
	s_waitcnt vmcnt(1)
	v_mul_f64 v[12:13], v[26:27], s[0:1]
	v_mul_f64 v[10:11], v[28:29], s[0:1]
	s_waitcnt vmcnt(0)
	v_mul_f64 v[8:9], v[30:31], s[0:1]
	v_mul_f64 v[6:7], v[32:33], s[0:1]
	s_cbranch_vccnz .LBB78_21
; %bb.17:
	s_max_u32 s8, s6, 1
	s_and_b32 s9, s8, 12
	s_mul_i32 s7, s6, 0x60
	v_pk_mov_b32 v[26:27], v[20:21], v[20:21] op_sel:[0,1]
.LBB78_18:                              ; =>This Inner Loop Header: Depth=1
	global_load_dwordx4 v[0:3], v[26:27], off
	global_load_dwordx4 v[28:31], v[26:27], off offset:16
	v_mov_b32_e32 v62, s7
	ds_read_b128 v[32:35], v62
	ds_read_b128 v[36:39], v62 offset:16
	ds_read_b128 v[40:43], v62 offset:192
	;; [unrolled: 1-line block ×5, first 2 shown]
	v_add_co_u32_e32 v26, vcc, 32, v26
	s_add_i32 s7, s7, 32
	s_add_i32 s9, s9, -4
	v_addc_co_u32_e32 v27, vcc, 0, v27, vcc
	s_cmp_lg_u32 s9, 0
	s_waitcnt vmcnt(1) lgkmcnt(5)
	v_fma_f64 v[24:25], -v[0:1], v[32:33], v[24:25]
	s_waitcnt lgkmcnt(1)
	v_fma_f64 v[18:19], -v[0:1], v[48:49], v[18:19]
	v_fma_f64 v[16:17], -v[0:1], v[40:41], v[16:17]
	;; [unrolled: 1-line block ×3, first 2 shown]
	ds_read_b128 v[32:35], v62 offset:480
	v_fma_f64 v[56:57], -v[2:3], v[50:51], v[18:19]
	ds_read_b128 v[48:51], v62 offset:576
	v_fma_f64 v[58:59], -v[2:3], v[42:43], v[16:17]
	;; [unrolled: 2-line block ×3, first 2 shown]
	s_waitcnt lgkmcnt(3)
	v_fma_f64 v[12:13], -v[0:1], v[52:53], v[12:13]
	s_waitcnt lgkmcnt(2)
	v_fma_f64 v[10:11], -v[0:1], v[32:33], v[10:11]
	;; [unrolled: 2-line block ×4, first 2 shown]
	s_waitcnt vmcnt(0)
	v_fma_f64 v[16:17], -v[28:29], v[36:37], v[24:25]
	v_fma_f64 v[60:61], -v[2:3], v[46:47], v[14:15]
	ds_read_b128 v[40:43], v62 offset:112
	v_fma_f64 v[52:53], -v[2:3], v[54:55], v[12:13]
	ds_read_b128 v[12:15], v62 offset:208
	;; [unrolled: 2-line block ×5, first 2 shown]
	ds_read_b128 v[44:47], v62 offset:592
	v_fma_f64 v[24:25], -v[30:31], v[38:39], v[16:17]
	ds_read_b128 v[36:39], v62 offset:688
	s_waitcnt lgkmcnt(6)
	v_fma_f64 v[16:17], -v[28:29], v[40:41], v[56:57]
	s_waitcnt lgkmcnt(5)
	v_fma_f64 v[12:13], -v[28:29], v[12:13], v[58:59]
	;; [unrolled: 2-line block ×7, first 2 shown]
	v_fma_f64 v[18:19], -v[30:31], v[42:43], v[16:17]
	v_fma_f64 v[16:17], -v[30:31], v[14:15], v[12:13]
	;; [unrolled: 1-line block ×7, first 2 shown]
	s_cbranch_scc1 .LBB78_18
; %bb.19:
	s_and_b32 s8, s8, 1
	s_cmp_eq_u32 s8, 0
	s_cbranch_scc1 .LBB78_21
.LBB78_20:                              ; =>This Inner Loop Header: Depth=1
	global_load_dwordx2 v[40:41], v[26:27], off
	v_mov_b32_e32 v36, s7
	ds_read2_b64 v[0:3], v36 offset1:12
	ds_read2_b64 v[28:31], v36 offset0:24 offset1:36
	ds_read2_b64 v[32:35], v36 offset0:48 offset1:60
	;; [unrolled: 1-line block ×3, first 2 shown]
	s_add_i32 s7, s7, 8
	v_add_co_u32_e32 v26, vcc, 8, v26
	s_add_i32 s8, s8, -1
	v_addc_co_u32_e32 v27, vcc, 0, v27, vcc
	s_cmp_lg_u32 s8, 0
	s_waitcnt vmcnt(0) lgkmcnt(3)
	v_fma_f64 v[24:25], -v[40:41], v[0:1], v[24:25]
	v_fma_f64 v[18:19], -v[40:41], v[2:3], v[18:19]
	s_waitcnt lgkmcnt(2)
	v_fma_f64 v[16:17], -v[40:41], v[28:29], v[16:17]
	v_fma_f64 v[14:15], -v[40:41], v[30:31], v[14:15]
	s_waitcnt lgkmcnt(1)
	;; [unrolled: 3-line block ×3, first 2 shown]
	v_fma_f64 v[8:9], -v[40:41], v[36:37], v[8:9]
	v_fma_f64 v[6:7], -v[40:41], v[38:39], v[6:7]
	s_cbranch_scc1 .LBB78_20
.LBB78_21:
	s_mul_i32 s7, s6, 0x68
	v_mov_b32_e32 v40, s7
	s_or_b32 s7, s6, 1
	s_mul_i32 s7, s7, 12
	s_add_i32 s8, s7, s6
	s_lshl_b32 s8, s8, 3
	ds_read2_b64 v[0:3], v40 offset1:26
	v_mov_b32_e32 v38, s8
	ds_read_b128 v[26:29], v38
	ds_read_b128 v[30:33], v38 offset:96
	ds_read_b128 v[34:37], v38 offset:192
	s_waitcnt lgkmcnt(3)
	v_mul_f64 v[24:25], v[24:25], v[0:1]
	s_add_i32 s7, s7, 36
	s_waitcnt lgkmcnt(2)
	v_fma_f64 v[0:1], -v[24:25], v[26:27], v[18:19]
	v_mul_f64 v[26:27], v[0:1], v[28:29]
	s_waitcnt lgkmcnt(1)
	v_fma_f64 v[0:1], -v[24:25], v[30:31], v[16:17]
	ds_read_b128 v[16:19], v38 offset:208
	s_or_b32 s8, s7, s6
	v_fma_f64 v[0:1], -v[26:27], v[32:33], v[0:1]
	s_lshl_b32 s8, s8, 3
	v_mul_f64 v[0:1], v[0:1], v[2:3]
	s_waitcnt lgkmcnt(1)
	v_fma_f64 v[2:3], -v[24:25], v[34:35], v[14:15]
	v_mov_b32_e32 v14, s8
	ds_read_b128 v[28:31], v14
	v_fma_f64 v[2:3], -v[26:27], v[36:37], v[2:3]
	s_waitcnt lgkmcnt(1)
	v_fma_f64 v[2:3], -v[0:1], v[16:17], v[2:3]
	ds_read_b128 v[14:17], v14 offset:16
	s_add_i32 s7, s7, s6
	s_lshl_b32 s7, s7, 3
	s_waitcnt lgkmcnt(1)
	v_fma_f64 v[12:13], -v[24:25], v[28:29], v[12:13]
	v_mov_b32_e32 v41, s7
	ds_read_b128 v[32:35], v41 offset:96
	v_fma_f64 v[12:13], -v[26:27], v[30:31], v[12:13]
	v_mul_f64 v[2:3], v[2:3], v[18:19]
	s_waitcnt lgkmcnt(1)
	v_fma_f64 v[12:13], -v[0:1], v[14:15], v[12:13]
	v_fma_f64 v[16:17], -v[2:3], v[16:17], v[12:13]
	ds_read_b128 v[12:15], v41 offset:112
	ds_read_b128 v[36:39], v41 offset:128
	s_waitcnt lgkmcnt(2)
	v_fma_f64 v[10:11], -v[24:25], v[32:33], v[10:11]
	ds_read2_b64 v[28:31], v40 offset0:52 offset1:78
	v_fma_f64 v[10:11], -v[26:27], v[34:35], v[10:11]
	s_waitcnt lgkmcnt(2)
	v_fma_f64 v[10:11], -v[0:1], v[12:13], v[10:11]
	v_fma_f64 v[14:15], -v[2:3], v[14:15], v[10:11]
	ds_read_b128 v[10:13], v41 offset:192
	ds_read_b128 v[32:35], v41 offset:208
	s_waitcnt lgkmcnt(2)
	v_mul_f64 v[16:17], v[16:17], v[28:29]
	v_fma_f64 v[14:15], -v[16:17], v[36:37], v[14:15]
	v_mul_f64 v[18:19], v[14:15], v[38:39]
	s_waitcnt lgkmcnt(1)
	v_fma_f64 v[14:15], -v[24:25], v[10:11], v[8:9]
	ds_read_b128 v[8:11], v41 offset:224
	v_fma_f64 v[12:13], -v[26:27], v[12:13], v[14:15]
	s_waitcnt lgkmcnt(1)
	v_fma_f64 v[12:13], -v[0:1], v[32:33], v[12:13]
	v_fma_f64 v[28:29], -v[2:3], v[34:35], v[12:13]
	ds_read_b128 v[12:15], v41 offset:288
	s_waitcnt lgkmcnt(1)
	v_fma_f64 v[8:9], -v[16:17], v[8:9], v[28:29]
	v_fma_f64 v[28:29], -v[18:19], v[10:11], v[8:9]
	ds_read_b128 v[8:11], v41 offset:304
	global_store_dwordx4 v[4:5], v[24:27], off
	s_waitcnt lgkmcnt(1)
	v_fma_f64 v[6:7], -v[24:25], v[12:13], v[6:7]
	v_fma_f64 v[6:7], -v[26:27], v[14:15], v[6:7]
	ds_read_b128 v[12:15], v41 offset:320
	global_store_dwordx4 v[4:5], v[0:3], off offset:16
	global_store_dwordx4 v[4:5], v[16:19], off offset:32
	s_waitcnt lgkmcnt(1)
	v_fma_f64 v[0:1], -v[0:1], v[8:9], v[6:7]
	ds_read_b64 v[6:7], v41 offset:336
	ds_read_b64 v[8:9], v40 offset:728
	v_fma_f64 v[0:1], -v[2:3], v[10:11], v[0:1]
	s_waitcnt lgkmcnt(2)
	v_fma_f64 v[0:1], -v[16:17], v[12:13], v[0:1]
	v_mul_f64 v[28:29], v[28:29], v[30:31]
	v_fma_f64 v[0:1], -v[18:19], v[14:15], v[0:1]
	s_waitcnt lgkmcnt(1)
	v_fma_f64 v[0:1], -v[28:29], v[6:7], v[0:1]
	s_waitcnt lgkmcnt(0)
	v_mul_f64 v[30:31], v[0:1], v[8:9]
	s_add_i32 s6, s6, 8
	global_store_dwordx4 v[4:5], v[28:31], off offset:48
.LBB78_22:
	s_cmp_ge_i32 s6, s16
	s_cbranch_scc1 .LBB78_33
; %bb.23:
	s_add_i32 s12, s6, -1
	s_add_u32 s7, s10, s4
	s_addc_u32 s8, s11, s5
	s_add_u32 s7, s7, s2
	s_addc_u32 s8, s8, s3
	v_mov_b32_e32 v0, s8
	v_add_co_u32_e32 v8, vcc, s7, v22
	v_addc_co_u32_e32 v9, vcc, v0, v23, vcc
	v_add_co_u32_e32 v0, vcc, 56, v8
	s_mul_i32 s13, s6, 0x60
	v_addc_co_u32_e32 v1, vcc, 0, v9, vcc
	s_mov_b32 s9, 0
	s_mov_b32 s17, s6
	;; [unrolled: 1-line block ×3, first 2 shown]
	s_branch .LBB78_25
.LBB78_24:                              ;   in Loop: Header=BB78_25 Depth=1
	s_mul_i32 s7, s6, 0x68
	v_mov_b32_e32 v6, s7
	ds_read_b64 v[6:7], v6
	s_add_i32 s6, s6, 1
	s_add_i32 s15, s15, 1
	s_addk_i32 s13, 0x60
	v_add_u16_e64 v10, s17, 1
	s_waitcnt lgkmcnt(0)
	v_mul_f64 v[4:5], v[4:5], v[6:7]
	s_cmp_ge_i32 s6, s16
	v_readfirstlane_b32 s17, v10
	global_store_dwordx2 v[2:3], v[4:5], off
	s_cbranch_scc1 .LBB78_33
.LBB78_25:                              ; =>This Loop Header: Depth=1
                                        ;     Child Loop BB78_28 Depth 2
                                        ;     Child Loop BB78_32 Depth 2
	s_ashr_i32 s7, s6, 31
	s_lshl_b64 s[20:21], s[6:7], 3
	v_mov_b32_e32 v3, s21
	v_add_co_u32_e32 v2, vcc, s20, v20
	v_addc_co_u32_e32 v3, vcc, v21, v3, vcc
	global_load_dwordx2 v[4:5], v[2:3], off
	s_cmp_eq_u32 s6, 0
	s_waitcnt vmcnt(0)
	v_mul_f64 v[4:5], v[4:5], s[0:1]
	s_cbranch_scc1 .LBB78_24
; %bb.26:                               ;   in Loop: Header=BB78_25 Depth=1
	s_add_i32 s7, s12, s15
	s_cmp_lt_u32 s7, 7
	s_cbranch_scc1 .LBB78_30
; %bb.27:                               ;   in Loop: Header=BB78_25 Depth=1
	s_and_b32 s8, s6, -8
	s_mov_b32 s7, 0
	v_pk_mov_b32 v[6:7], v[0:1], v[0:1] op_sel:[0,1]
	s_mov_b32 s19, s13
.LBB78_28:                              ;   Parent Loop BB78_25 Depth=1
                                        ; =>  This Inner Loop Header: Depth=2
	global_load_dwordx4 v[10:13], v[6:7], off offset:-56
	global_load_dwordx4 v[14:17], v[6:7], off offset:-40
	;; [unrolled: 1-line block ×4, first 2 shown]
	v_mov_b32_e32 v18, s19
	ds_read_b128 v[32:35], v18
	ds_read_b128 v[36:39], v18 offset:16
	ds_read_b128 v[40:43], v18 offset:32
	;; [unrolled: 1-line block ×3, first 2 shown]
	s_add_i32 s7, s7, 8
	s_add_i32 s19, s19, 64
	v_add_co_u32_e32 v6, vcc, 64, v6
	v_addc_co_u32_e32 v7, vcc, 0, v7, vcc
	s_cmp_lg_u32 s8, s7
	s_waitcnt vmcnt(3) lgkmcnt(3)
	v_fma_f64 v[4:5], -v[10:11], v[32:33], v[4:5]
	v_fma_f64 v[4:5], -v[12:13], v[34:35], v[4:5]
	s_waitcnt vmcnt(2) lgkmcnt(2)
	v_fma_f64 v[4:5], -v[14:15], v[36:37], v[4:5]
	v_fma_f64 v[4:5], -v[16:17], v[38:39], v[4:5]
	;; [unrolled: 3-line block ×4, first 2 shown]
	s_cbranch_scc1 .LBB78_28
; %bb.29:                               ;   in Loop: Header=BB78_25 Depth=1
	s_and_b32 s7, s6, 7
	s_cmp_eq_u32 s7, 0
	s_cbranch_scc0 .LBB78_31
	s_branch .LBB78_24
.LBB78_30:                              ;   in Loop: Header=BB78_25 Depth=1
	s_mov_b32 s8, 0
	s_and_b32 s7, s6, 7
	s_cmp_eq_u32 s7, 0
	s_cbranch_scc1 .LBB78_24
.LBB78_31:                              ;   in Loop: Header=BB78_25 Depth=1
	s_lshl_b64 s[20:21], s[8:9], 3
	v_mov_b32_e32 v7, s21
	v_add_co_u32_e32 v6, vcc, s20, v8
	s_and_b32 s7, s17, 7
	s_lshl_b32 s19, s8, 3
	v_addc_co_u32_e32 v7, vcc, v9, v7, vcc
.LBB78_32:                              ;   Parent Loop BB78_25 Depth=1
                                        ; =>  This Inner Loop Header: Depth=2
	global_load_dwordx2 v[10:11], v[6:7], off
	s_add_i32 s8, s13, s19
	v_mov_b32_e32 v12, s8
	ds_read_b64 v[12:13], v12
	s_add_i32 s19, s19, 8
	v_add_co_u32_e32 v6, vcc, 8, v6
	s_add_i32 s7, s7, -1
	v_addc_co_u32_e32 v7, vcc, 0, v7, vcc
	s_cmp_lg_u32 s7, 0
	s_waitcnt vmcnt(0) lgkmcnt(0)
	v_fma_f64 v[4:5], -v[10:11], v[12:13], v[4:5]
	s_cbranch_scc1 .LBB78_32
	s_branch .LBB78_24
.LBB78_33:
	s_mov_b64 s[6:7], 0
.LBB78_34:
	s_and_b64 vcc, exec, s[6:7]
	s_cbranch_vccz .LBB78_56
; %bb.35:
	s_cmp_gt_i32 s14, 11
	s_cbranch_scc0 .LBB78_37
; %bb.36:
	s_ashr_i32 s19, s18, 31
	s_lshl_b64 s[6:7], s[18:19], 3
	v_mov_b32_e32 v0, s7
	v_add_co_u32_e32 v24, vcc, s6, v20
	v_addc_co_u32_e32 v25, vcc, v21, v0, vcc
	s_mov_b32 s17, 0
	global_load_dwordx2 v[12:13], v[24:25], off
	s_lshl_b64 s[6:7], s[16:17], 3
	v_mov_b32_e32 v0, s7
	v_add_co_u32_e32 v26, vcc, s6, v20
	v_addc_co_u32_e32 v27, vcc, v21, v0, vcc
	global_load_dwordx4 v[4:7], v[26:27], off offset:-32
	global_load_dwordx4 v[8:11], v[26:27], off offset:-48
	global_load_dwordx2 v[14:15], v[26:27], off offset:-16
	global_load_dwordx4 v[30:33], v[26:27], off offset:-64
	global_load_dwordx4 v[16:19], v[26:27], off offset:-80
	;; [unrolled: 1-line block ×3, first 2 shown]
	s_mul_i32 s7, s18, 0x68
	s_mul_i32 s6, s18, 12
	s_add_i32 s8, s16, -4
	s_add_i32 s9, s16, -6
	s_add_i32 s12, s16, s6
	s_add_i32 s13, s7, 0xffffff98
	;; [unrolled: 1-line block ×3, first 2 shown]
	s_add_i32 s15, s6, -12
	s_sub_i32 s17, s6, 24
	s_add_i32 s19, s7, 0xfffffec8
	s_add_i32 s20, s9, s6
	s_lshl_b32 s12, s12, 3
	v_mov_b32_e32 v28, s13
	s_lshl_b32 s13, s14, 3
	s_add_i32 s14, s8, s15
	s_add_i32 s8, s8, s17
	;; [unrolled: 1-line block ×3, first 2 shown]
	v_mov_b32_e32 v50, s19
	s_lshl_b32 s19, s20, 3
	s_add_i32 s12, s12, -16
	v_mov_b32_e32 v38, s13
	s_lshl_b32 s13, s14, 3
	s_lshl_b32 s8, s8, 3
	;; [unrolled: 1-line block ×3, first 2 shown]
	v_mov_b32_e32 v51, s19
	v_mov_b32_e32 v26, s12
	v_mov_b32_e32 v27, s13
	v_mov_b32_e32 v46, s8
	v_mov_b32_e32 v54, s14
	s_add_i32 s9, s9, s17
	ds_read2_b64 v[34:37], v26 offset1:1
	ds_read_b64 v[28:29], v28
	ds_read2_b64 v[38:41], v38 offset1:1
	ds_read2_b64 v[42:45], v27 offset1:1
	;; [unrolled: 1-line block ×3, first 2 shown]
	ds_read_b64 v[58:59], v50
	ds_read2_b64 v[50:53], v51 offset1:1
	ds_read2_b64 v[54:57], v54 offset1:1
	s_lshl_b32 s9, s9, 3
	v_mov_b32_e32 v61, s9
	s_add_i32 s8, s9, 0xffffffa0
	s_add_i32 s21, s7, 0xfffffdf8
	s_addk_i32 s9, 0xff40
	v_mov_b32_e32 v62, s8
	v_mov_b32_e32 v60, s21
	;; [unrolled: 1-line block ×3, first 2 shown]
	s_sub_i32 s8, s6, 60
	s_add_i32 s9, s16, s8
	s_lshl_b32 s9, s9, 3
	s_addk_i32 s7, 0xfd90
	s_ashr_i32 s17, s16, 31
	s_waitcnt vmcnt(6)
	v_mul_f64 v[12:13], v[12:13], s[0:1]
	s_waitcnt lgkmcnt(7)
	v_mul_f64 v[26:27], v[12:13], v[36:37]
	v_mul_f64 v[12:13], v[26:27], v[34:35]
	s_waitcnt lgkmcnt(5)
	v_mul_f64 v[34:35], v[26:27], v[40:41]
	v_mul_f64 v[36:37], v[26:27], v[38:39]
	s_waitcnt vmcnt(5)
	v_fma_f64 v[6:7], v[6:7], s[0:1], -v[34:35]
	v_fma_f64 v[4:5], v[4:5], s[0:1], -v[36:37]
	s_waitcnt vmcnt(3)
	v_fma_f64 v[12:13], v[14:15], s[0:1], -v[12:13]
	ds_read2_b64 v[34:37], v61 offset1:1
	ds_read2_b64 v[38:41], v62 offset1:1
	v_mul_f64 v[28:29], v[12:13], v[28:29]
	s_waitcnt lgkmcnt(3)
	v_mul_f64 v[52:53], v[26:27], v[52:53]
	v_mul_f64 v[50:51], v[26:27], v[50:51]
	v_fma_f64 v[6:7], -v[28:29], v[44:45], v[6:7]
	v_fma_f64 v[52:53], v[10:11], s[0:1], -v[52:53]
	v_fma_f64 v[50:51], v[8:9], s[0:1], -v[50:51]
	ds_read2_b64 v[8:11], v63 offset1:1
	ds_read_b64 v[60:61], v60
	v_fma_f64 v[4:5], -v[28:29], v[42:43], v[4:5]
	v_mul_f64 v[6:7], v[6:7], v[48:49]
	s_waitcnt lgkmcnt(4)
	v_fma_f64 v[12:13], -v[28:29], v[56:57], v[52:53]
	v_fma_f64 v[4:5], -v[6:7], v[46:47], v[4:5]
	v_fma_f64 v[14:15], -v[28:29], v[54:55], v[50:51]
	s_waitcnt lgkmcnt(3)
	v_fma_f64 v[12:13], -v[6:7], v[36:37], v[12:13]
	v_mul_f64 v[4:5], v[4:5], v[58:59]
	v_fma_f64 v[14:15], -v[6:7], v[34:35], v[14:15]
	s_waitcnt lgkmcnt(2)
	v_fma_f64 v[12:13], -v[4:5], v[40:41], v[12:13]
	s_waitcnt lgkmcnt(1)
	v_mul_f64 v[10:11], v[12:13], v[10:11]
	v_fma_f64 v[12:13], -v[4:5], v[38:39], v[14:15]
	v_mov_b32_e32 v50, s9
	v_fma_f64 v[8:9], -v[10:11], v[8:9], v[12:13]
	ds_read2_b64 v[12:15], v50 offset0:52 offset1:53
	ds_read2_b64 v[34:37], v50 offset0:40 offset1:41
	s_sub_i32 s9, s9, 64
	v_mov_b32_e32 v38, s9
	ds_read2_b64 v[38:41], v38 offset1:1
	ds_read2_b64 v[42:45], v50 offset0:28 offset1:29
	s_waitcnt lgkmcnt(3)
	v_mul_f64 v[14:15], v[26:27], v[14:15]
	s_waitcnt vmcnt(2)
	v_fma_f64 v[14:15], v[32:33], s[0:1], -v[14:15]
	v_mov_b32_e32 v32, s7
	s_add_i32 s7, s16, -9
	s_add_i32 s9, s8, s7
	s_lshl_b32 s9, s9, 3
	ds_read2_b64 v[46:49], v50 offset0:16 offset1:17
	ds_read2_b64 v[50:53], v50 offset0:4 offset1:5
	v_mul_f64 v[12:13], v[26:27], v[12:13]
	s_addk_i32 s9, 0xffa0
	v_fma_f64 v[12:13], v[30:31], s[0:1], -v[12:13]
	v_mov_b32_e32 v30, s9
	s_add_i32 s9, s6, 0xffffffac
	s_waitcnt lgkmcnt(4)
	v_fma_f64 v[14:15], -v[28:29], v[36:37], v[14:15]
	ds_read_b64 v[32:33], v32
	s_add_i32 s7, s7, s9
	s_waitcnt lgkmcnt(3)
	v_fma_f64 v[14:15], -v[6:7], v[44:45], v[14:15]
	s_lshl_b32 s7, s7, 3
	s_waitcnt lgkmcnt(2)
	v_fma_f64 v[14:15], -v[4:5], v[48:49], v[14:15]
	v_fma_f64 v[12:13], -v[28:29], v[34:35], v[12:13]
	v_mov_b32_e32 v34, s7
	s_add_i32 s7, s16, -10
	v_mul_f64 v[8:9], v[8:9], v[60:61]
	s_waitcnt lgkmcnt(1)
	v_fma_f64 v[14:15], -v[10:11], v[52:53], v[14:15]
	v_fma_f64 v[12:13], -v[6:7], v[42:43], v[12:13]
	s_add_i32 s9, s9, s7
	v_fma_f64 v[14:15], -v[8:9], v[40:41], v[14:15]
	v_fma_f64 v[12:13], -v[4:5], v[46:47], v[12:13]
	s_lshl_b32 s9, s9, 3
	s_waitcnt lgkmcnt(0)
	v_mul_f64 v[14:15], v[14:15], v[32:33]
	v_fma_f64 v[12:13], -v[10:11], v[50:51], v[12:13]
	ds_read2_b64 v[30:33], v30 offset1:1
	ds_read2_b64 v[34:37], v34 offset1:1
	v_mov_b32_e32 v58, s9
	v_fma_f64 v[12:13], -v[8:9], v[38:39], v[12:13]
	ds_read2_b64 v[38:41], v58 offset0:72 offset1:73
	ds_read2_b64 v[42:45], v58 offset0:60 offset1:61
	;; [unrolled: 1-line block ×3, first 2 shown]
	s_add_i32 s7, s7, s8
	s_lshl_b32 s7, s7, 3
	s_waitcnt lgkmcnt(4)
	v_fma_f64 v[12:13], -v[14:15], v[32:33], v[12:13]
	v_mov_b32_e32 v32, s7
	ds_read2_b64 v[50:53], v32 offset1:1
	s_waitcnt lgkmcnt(1)
	v_mul_f64 v[32:33], v[26:27], v[48:49]
	ds_read2_b64 v[54:57], v58 offset0:48 offset1:49
	ds_read2_b64 v[58:61], v58 offset0:36 offset1:37
	s_waitcnt vmcnt(1)
	v_fma_f64 v[18:19], v[18:19], s[0:1], -v[32:33]
	v_fma_f64 v[18:19], -v[28:29], v[40:41], v[18:19]
	v_fma_f64 v[18:19], -v[6:7], v[44:45], v[18:19]
	s_waitcnt lgkmcnt(1)
	v_fma_f64 v[18:19], -v[4:5], v[56:57], v[18:19]
	s_waitcnt lgkmcnt(0)
	v_fma_f64 v[18:19], -v[10:11], v[60:61], v[18:19]
	v_fma_f64 v[18:19], -v[8:9], v[52:53], v[18:19]
	v_fma_f64 v[18:19], -v[14:15], v[30:31], v[18:19]
	v_mul_f64 v[12:13], v[12:13], v[36:37]
	v_fma_f64 v[52:53], -v[12:13], v[34:35], v[18:19]
	v_mul_f64 v[18:19], v[26:27], v[46:47]
	v_fma_f64 v[16:17], v[16:17], s[0:1], -v[18:19]
	v_fma_f64 v[16:17], -v[28:29], v[38:39], v[16:17]
	s_add_i32 s9, s16, -11
	v_fma_f64 v[16:17], -v[6:7], v[42:43], v[16:17]
	s_add_i32 s8, s8, s9
	v_fma_f64 v[16:17], -v[4:5], v[54:55], v[16:17]
	s_lshl_b32 s8, s8, 3
	v_fma_f64 v[16:17], -v[10:11], v[58:59], v[16:17]
	s_add_i32 s12, s8, 0xffffffa0
	v_fma_f64 v[34:35], -v[8:9], v[50:51], v[16:17]
	v_mov_b32_e32 v16, s12
	s_addk_i32 s6, 0xff94
	s_add_i32 s12, s16, -12
	s_add_i32 s12, s6, s12
	s_lshl_b32 s12, s12, 3
	ds_read2_b64 v[16:19], v16 offset1:1
	v_mov_b32_e32 v58, s12
	ds_read2_b64 v[30:33], v58 offset0:108 offset1:109
	s_mul_i32 s7, s16, 0x68
	s_add_i32 s13, s7, 0xfffffb88
	s_waitcnt lgkmcnt(1)
	v_fma_f64 v[54:55], -v[14:15], v[18:19], v[34:35]
	v_mov_b32_e32 v18, s13
	ds_read_b64 v[56:57], v18
	s_waitcnt lgkmcnt(1)
	v_mul_f64 v[18:19], v[26:27], v[32:33]
	ds_read2_b64 v[32:35], v58 offset0:96 offset1:97
	ds_read2_b64 v[36:39], v58 offset0:84 offset1:85
	;; [unrolled: 1-line block ×4, first 2 shown]
	s_waitcnt vmcnt(0)
	v_fma_f64 v[2:3], v[2:3], s[0:1], -v[18:19]
	s_waitcnt lgkmcnt(3)
	v_fma_f64 v[2:3], -v[28:29], v[34:35], v[2:3]
	s_waitcnt lgkmcnt(2)
	v_fma_f64 v[2:3], -v[6:7], v[38:39], v[2:3]
	;; [unrolled: 2-line block ×4, first 2 shown]
	ds_read2_b64 v[46:49], v58 offset0:48 offset1:49
	s_add_i32 s13, s8, 0xffffff40
	s_addk_i32 s8, 0xfee0
	v_mov_b32_e32 v34, s8
	s_add_i32 s8, s7, 0xfffffc58
	s_waitcnt lgkmcnt(0)
	v_fma_f64 v[2:3], -v[8:9], v[48:49], v[2:3]
	v_fma_f64 v[2:3], -v[14:15], v[16:17], v[2:3]
	v_mov_b32_e32 v16, s13
	ds_read2_b64 v[16:19], v16 offset1:1
	ds_read2_b64 v[48:51], v34 offset1:1
	s_add_i32 s9, s9, s6
	s_lshl_b32 s6, s9, 3
	global_store_dwordx2 v[24:25], v[26:27], off
	s_waitcnt lgkmcnt(1)
	v_fma_f64 v[2:3], -v[12:13], v[16:17], v[2:3]
	v_mov_b32_e32 v16, s8
	ds_read_b64 v[16:17], v16
	v_fma_f64 v[34:35], -v[12:13], v[18:19], v[54:55]
	v_mov_b32_e32 v24, s6
	s_lshl_b64 s[8:9], s[16:17], 3
	s_add_i32 s6, s12, 0xffffffa0
	s_waitcnt lgkmcnt(0)
	v_mul_f64 v[18:19], v[52:53], v[16:17]
	v_fma_f64 v[16:17], -v[18:19], v[50:51], v[34:35]
	v_fma_f64 v[2:3], -v[18:19], v[48:49], v[2:3]
	ds_read2_b64 v[48:51], v24 offset1:1
	v_mov_b32_e32 v24, s9
	v_add_co_u32_e32 v34, vcc, s8, v20
	v_addc_co_u32_e32 v35, vcc, v21, v24, vcc
	v_mul_f64 v[24:25], v[26:27], v[30:31]
	v_fma_f64 v[0:1], v[0:1], s[0:1], -v[24:25]
	s_waitcnt lgkmcnt(0)
	v_mul_f64 v[16:17], v[16:17], v[50:51]
	global_store_dwordx2 v[34:35], v[28:29], off offset:-16
	global_store_dwordx4 v[34:35], v[4:7], off offset:-32
	global_store_dwordx4 v[34:35], v[8:11], off offset:-48
	;; [unrolled: 1-line block ×4, first 2 shown]
	v_fma_f64 v[0:1], -v[28:29], v[32:33], v[0:1]
	ds_read2_b64 v[24:27], v58 offset0:24 offset1:36
	v_fma_f64 v[0:1], -v[6:7], v[36:37], v[0:1]
	v_fma_f64 v[0:1], -v[4:5], v[40:41], v[0:1]
	;; [unrolled: 1-line block ×3, first 2 shown]
	ds_read2_b64 v[4:7], v58 offset1:12
	v_fma_f64 v[0:1], -v[8:9], v[46:47], v[0:1]
	v_mov_b32_e32 v8, s6
	s_add_i32 s6, s7, 0xfffffb20
	ds_read_b64 v[8:9], v8
	v_mov_b32_e32 v10, s6
	s_waitcnt lgkmcnt(2)
	v_fma_f64 v[0:1], -v[14:15], v[26:27], v[0:1]
	ds_read_b64 v[10:11], v10
	v_fma_f64 v[0:1], -v[12:13], v[24:25], v[0:1]
	v_fma_f64 v[2:3], -v[16:17], v[48:49], v[2:3]
	s_waitcnt lgkmcnt(2)
	v_fma_f64 v[0:1], -v[18:19], v[6:7], v[0:1]
	v_mul_f64 v[2:3], v[2:3], v[56:57]
	v_fma_f64 v[0:1], -v[16:17], v[4:5], v[0:1]
	s_waitcnt lgkmcnt(1)
	v_fma_f64 v[0:1], -v[2:3], v[8:9], v[0:1]
	s_waitcnt lgkmcnt(0)
	v_mul_f64 v[0:1], v[0:1], v[10:11]
	s_add_i32 s6, s16, -13
	global_store_dwordx4 v[34:35], v[0:3], off offset:-96
	s_cmp_gt_i32 s6, -1
	s_cbranch_scc1 .LBB78_38
	s_branch .LBB78_56
.LBB78_37:
	s_mov_b32 s6, s18
	s_cmp_gt_i32 s6, -1
	s_cbranch_scc0 .LBB78_56
.LBB78_38:
	s_cmp_lt_u32 s6, 7
	s_cbranch_scc1 .LBB78_43
; %bb.39:
	s_mov_b32 s7, 0
	s_lshl_b64 s[8:9], s[6:7], 3
	v_mov_b32_e32 v0, s9
	v_add_co_u32_e32 v8, vcc, s8, v20
	v_addc_co_u32_e32 v9, vcc, v21, v0, vcc
	global_load_dwordx4 v[0:3], v[8:9], off offset:-8
	global_load_dwordx4 v[4:7], v[8:9], off offset:-24
	;; [unrolled: 1-line block ×4, first 2 shown]
	s_cmp_le_i32 s18, s6
	s_waitcnt vmcnt(3)
	v_mul_f64 v[10:11], v[2:3], s[0:1]
	v_mul_f64 v[12:13], v[0:1], s[0:1]
	s_waitcnt vmcnt(2)
	v_mul_f64 v[16:17], v[6:7], s[0:1]
	v_mul_f64 v[14:15], v[4:5], s[0:1]
	;; [unrolled: 3-line block ×4, first 2 shown]
	s_cbranch_scc1 .LBB78_42
; %bb.40:
	s_mul_i32 s7, s16, 0x60
	s_lshl_b32 s8, s6, 3
	s_add_i32 s7, s7, s8
	s_ashr_i32 s19, s18, 31
	s_addk_i32 s7, 0xff68
	s_lshl_b64 s[8:9], s[18:19], 3
	s_add_u32 s8, s10, s8
	s_addc_u32 s9, s11, s9
	s_add_u32 s8, s8, s4
	s_addc_u32 s9, s9, s5
	;; [unrolled: 2-line block ×3, first 2 shown]
	v_mov_b32_e32 v19, s9
	v_add_co_u32_e32 v18, vcc, s8, v22
	v_addc_co_u32_e32 v19, vcc, v19, v23, vcc
	s_mov_b32 s8, s18
.LBB78_41:                              ; =>This Inner Loop Header: Depth=1
	global_load_dwordx2 v[40:41], v[18:19], off
	v_mov_b32_e32 v36, s7
	ds_read2_b64 v[24:27], v36 offset0:6 offset1:7
	ds_read2_b64 v[28:31], v36 offset0:4 offset1:5
	;; [unrolled: 1-line block ×3, first 2 shown]
	ds_read2_b64 v[36:39], v36 offset1:1
	s_add_i32 s8, s8, -1
	s_addk_i32 s7, 0xffa0
	v_add_co_u32_e32 v18, vcc, -8, v18
	v_addc_co_u32_e32 v19, vcc, -1, v19, vcc
	s_cmp_gt_i32 s8, s6
	s_waitcnt vmcnt(0) lgkmcnt(3)
	v_fma_f64 v[10:11], -v[40:41], v[26:27], v[10:11]
	v_fma_f64 v[12:13], -v[40:41], v[24:25], v[12:13]
	s_waitcnt lgkmcnt(2)
	v_fma_f64 v[16:17], -v[40:41], v[30:31], v[16:17]
	v_fma_f64 v[14:15], -v[40:41], v[28:29], v[14:15]
	s_waitcnt lgkmcnt(1)
	;; [unrolled: 3-line block ×3, first 2 shown]
	v_fma_f64 v[2:3], -v[40:41], v[38:39], v[2:3]
	v_fma_f64 v[0:1], -v[40:41], v[36:37], v[0:1]
	s_cbranch_scc1 .LBB78_41
.LBB78_42:
	s_mul_i32 s8, s6, 0x68
	s_add_i32 s7, s8, -8
	v_mov_b32_e32 v18, s7
	ds_read2_b64 v[24:27], v18 offset1:1
	s_add_i32 s7, s8, 0xffffff98
	v_mov_b32_e32 v18, s7
	ds_read_b64 v[18:19], v18
	s_ashr_i32 s7, s6, 31
	s_waitcnt lgkmcnt(1)
	v_mul_f64 v[10:11], v[10:11], v[26:27]
	s_mul_i32 s9, s6, 12
	global_store_dwordx2 v[8:9], v[10:11], off
	v_fma_f64 v[8:9], -v[10:11], v[24:25], v[12:13]
	s_lshl_b64 s[12:13], s[6:7], 3
	s_add_i32 s7, s6, -3
	s_waitcnt lgkmcnt(0)
	v_mul_f64 v[12:13], v[8:9], v[18:19]
	v_add_co_u32_e32 v8, vcc, s12, v20
	s_add_i32 s12, s7, s9
	s_lshl_b32 s12, s12, 3
	v_mov_b32_e32 v18, s12
	s_add_i32 s12, s9, -12
	v_mov_b32_e32 v9, s13
	s_add_i32 s13, s7, s12
	s_lshl_b32 s13, s13, 3
	ds_read2_b64 v[24:27], v18 offset1:1
	v_mov_b32_e32 v18, s13
	ds_read2_b64 v[28:31], v18 offset1:1
	s_sub_i32 s13, s9, 24
	s_add_i32 s7, s7, s13
	s_lshl_b32 s7, s7, 3
	s_waitcnt lgkmcnt(1)
	v_fma_f64 v[26:27], -v[10:11], v[26:27], v[16:17]
	v_mov_b32_e32 v16, s7
	s_add_i32 s7, s8, 0xfffffec8
	s_waitcnt lgkmcnt(0)
	v_fma_f64 v[26:27], -v[12:13], v[30:31], v[26:27]
	v_mov_b32_e32 v30, s7
	s_add_i32 s7, s6, -5
	ds_read2_b64 v[16:19], v16 offset1:1
	ds_read_b64 v[32:33], v30
	s_add_i32 s14, s7, s9
	s_lshl_b32 s14, s14, 3
	v_fma_f64 v[14:15], -v[10:11], v[24:25], v[14:15]
	v_mov_b32_e32 v24, s14
	s_add_i32 s14, s7, s12
	v_addc_co_u32_e32 v9, vcc, v21, v9, vcc
	s_lshl_b32 s14, s14, 3
	global_store_dwordx2 v[8:9], v[12:13], off offset:-8
	v_fma_f64 v[14:15], -v[12:13], v[28:29], v[14:15]
	v_mov_b32_e32 v28, s14
	s_waitcnt lgkmcnt(1)
	v_mul_f64 v[18:19], v[26:27], v[18:19]
	ds_read2_b64 v[24:27], v24 offset1:1
	ds_read2_b64 v[28:31], v28 offset1:1
	s_add_i32 s14, s7, s13
	v_fma_f64 v[14:15], -v[18:19], v[16:17], v[14:15]
	s_lshl_b32 s14, s14, 3
	s_waitcnt lgkmcnt(2)
	v_mul_f64 v[16:17], v[14:15], v[32:33]
	v_mov_b32_e32 v14, s14
	s_sub_i32 s14, s9, 36
	s_add_i32 s15, s7, s14
	s_waitcnt lgkmcnt(1)
	v_fma_f64 v[6:7], -v[10:11], v[26:27], v[6:7]
	s_lshl_b32 s15, s15, 3
	s_waitcnt lgkmcnt(0)
	v_fma_f64 v[6:7], -v[12:13], v[30:31], v[6:7]
	ds_read2_b64 v[30:33], v14 offset1:1
	v_mov_b32_e32 v14, s15
	s_sub_i32 s15, s9, 48
	s_add_i32 s7, s7, s15
	s_lshl_b32 s7, s7, 3
	ds_read2_b64 v[34:37], v14 offset1:1
	v_mov_b32_e32 v14, s7
	s_add_i32 s7, s8, 0xfffffdf8
	ds_read2_b64 v[38:41], v14 offset1:1
	v_mov_b32_e32 v14, s7
	s_add_i32 s7, s6, -7
	s_add_i32 s9, s7, s9
	s_lshl_b32 s9, s9, 3
	v_fma_f64 v[4:5], -v[10:11], v[24:25], v[4:5]
	v_mov_b32_e32 v24, s9
	s_add_i32 s9, s7, s12
	ds_read_b64 v[14:15], v14
	s_lshl_b32 s9, s9, 3
	global_store_dwordx4 v[8:9], v[16:19], off offset:-24
	s_waitcnt lgkmcnt(3)
	v_fma_f64 v[6:7], -v[18:19], v[32:33], v[6:7]
	v_fma_f64 v[4:5], -v[12:13], v[28:29], v[4:5]
	v_mov_b32_e32 v28, s9
	s_waitcnt lgkmcnt(2)
	v_fma_f64 v[6:7], -v[16:17], v[36:37], v[6:7]
	v_fma_f64 v[4:5], -v[18:19], v[30:31], v[4:5]
	ds_read2_b64 v[24:27], v24 offset1:1
	ds_read2_b64 v[28:31], v28 offset1:1
	s_waitcnt lgkmcnt(3)
	v_mul_f64 v[6:7], v[6:7], v[40:41]
	v_fma_f64 v[4:5], -v[16:17], v[34:35], v[4:5]
	s_add_i32 s9, s7, s13
	v_fma_f64 v[4:5], -v[6:7], v[38:39], v[4:5]
	s_lshl_b32 s9, s9, 3
	s_waitcnt lgkmcnt(2)
	v_mul_f64 v[4:5], v[4:5], v[14:15]
	v_mov_b32_e32 v14, s9
	s_add_i32 s9, s7, s14
	s_add_i32 s7, s7, s15
	global_store_dwordx4 v[8:9], v[4:7], off offset:-40
	s_waitcnt lgkmcnt(1)
	v_fma_f64 v[2:3], -v[10:11], v[26:27], v[2:3]
	s_lshl_b32 s9, s9, 3
	s_lshl_b32 s7, s7, 3
	s_waitcnt lgkmcnt(0)
	v_fma_f64 v[2:3], -v[12:13], v[30:31], v[2:3]
	v_mov_b32_e32 v15, s9
	ds_read2_b64 v[30:33], v14 offset1:1
	ds_read2_b64 v[34:37], v15 offset1:1
	s_add_i32 s9, s7, 0xffffffa0
	v_mov_b32_e32 v14, s7
	v_mov_b32_e32 v15, s9
	s_add_i32 s9, s8, 0xfffffd90
	ds_read2_b64 v[38:41], v14 offset1:1
	ds_read2_b64 v[42:45], v15 offset1:1
	v_mov_b32_e32 v14, s9
	s_addk_i32 s7, 0xff40
	ds_read_b64 v[14:15], v14
	v_fma_f64 v[0:1], -v[10:11], v[24:25], v[0:1]
	v_mov_b32_e32 v10, s7
	s_add_i32 s7, s8, 0xfffffd28
	s_waitcnt lgkmcnt(4)
	v_fma_f64 v[2:3], -v[18:19], v[32:33], v[2:3]
	v_fma_f64 v[0:1], -v[12:13], v[28:29], v[0:1]
	v_mov_b32_e32 v12, s7
	s_waitcnt lgkmcnt(3)
	v_fma_f64 v[2:3], -v[16:17], v[36:37], v[2:3]
	v_fma_f64 v[0:1], -v[18:19], v[30:31], v[0:1]
	ds_read_b64 v[10:11], v10
	ds_read_b64 v[12:13], v12
	s_waitcnt lgkmcnt(4)
	v_fma_f64 v[2:3], -v[6:7], v[40:41], v[2:3]
	v_fma_f64 v[0:1], -v[16:17], v[34:35], v[0:1]
	s_waitcnt lgkmcnt(3)
	v_fma_f64 v[2:3], -v[4:5], v[44:45], v[2:3]
	v_fma_f64 v[0:1], -v[6:7], v[38:39], v[0:1]
	s_waitcnt lgkmcnt(2)
	v_mul_f64 v[2:3], v[2:3], v[14:15]
	v_fma_f64 v[0:1], -v[4:5], v[42:43], v[0:1]
	s_waitcnt lgkmcnt(1)
	v_fma_f64 v[0:1], -v[2:3], v[10:11], v[0:1]
	s_waitcnt lgkmcnt(0)
	v_mul_f64 v[0:1], v[0:1], v[12:13]
	s_add_i32 s6, s6, -8
	global_store_dwordx4 v[8:9], v[0:3], off offset:-56
.LBB78_43:
	s_cmp_lt_i32 s6, 0
	s_cbranch_scc1 .LBB78_56
; %bb.44:
	s_bitcmp1_b32 s6, 0
	s_cselect_b64 s[8:9], -1, 0
	s_and_b64 vcc, exec, s[8:9]
	s_mov_b32 s8, s6
	s_cbranch_vccnz .LBB78_49
; %bb.45:
	s_mov_b32 s7, 0
	s_lshl_b64 s[8:9], s[6:7], 3
	v_mov_b32_e32 v1, s9
	v_add_co_u32_e32 v0, vcc, s8, v20
	v_addc_co_u32_e32 v1, vcc, v21, v1, vcc
	global_load_dwordx2 v[2:3], v[0:1], off
	s_cmp_le_i32 s18, s6
	s_waitcnt vmcnt(0)
	v_mul_f64 v[2:3], v[2:3], s[0:1]
	s_cbranch_scc1 .LBB78_48
; %bb.46:
	s_mul_i32 s7, s16, 0x60
	s_lshl_b32 s8, s6, 3
	s_add_i32 s7, s7, s8
	s_ashr_i32 s19, s18, 31
	s_addk_i32 s7, 0xffa0
	s_lshl_b64 s[8:9], s[18:19], 3
	s_add_u32 s8, s10, s8
	s_addc_u32 s9, s11, s9
	s_add_u32 s8, s8, s4
	s_addc_u32 s9, s9, s5
	;; [unrolled: 2-line block ×3, first 2 shown]
	v_mov_b32_e32 v5, s9
	v_add_co_u32_e32 v4, vcc, s8, v22
	v_addc_co_u32_e32 v5, vcc, v5, v23, vcc
	s_mov_b32 s8, s18
.LBB78_47:                              ; =>This Inner Loop Header: Depth=1
	global_load_dwordx2 v[6:7], v[4:5], off
	v_mov_b32_e32 v8, s7
	ds_read_b64 v[8:9], v8
	s_add_i32 s8, s8, -1
	s_addk_i32 s7, 0xffa0
	v_add_co_u32_e32 v4, vcc, -8, v4
	v_addc_co_u32_e32 v5, vcc, -1, v5, vcc
	s_cmp_gt_i32 s8, s6
	s_waitcnt vmcnt(0) lgkmcnt(0)
	v_fma_f64 v[2:3], -v[6:7], v[8:9], v[2:3]
	s_cbranch_scc1 .LBB78_47
.LBB78_48:
	s_mul_i32 s7, s6, 0x68
	v_mov_b32_e32 v4, s7
	ds_read_b64 v[4:5], v4
	s_add_i32 s8, s6, -1
	s_waitcnt lgkmcnt(0)
	v_mul_f64 v[2:3], v[2:3], v[4:5]
	global_store_dwordx2 v[0:1], v[2:3], off
.LBB78_49:
	s_cmp_eq_u32 s6, 0
	s_mov_b32 s9, 0
	s_cbranch_scc1 .LBB78_56
; %bb.50:
	s_mul_i32 s6, s16, 0x60
	s_lshl_b32 s7, s8, 3
	s_add_i32 s7, s6, s7
	s_ashr_i32 s19, s18, 31
	s_add_i32 s6, s7, 0xffffffa0
	s_lshl_b64 s[12:13], s[18:19], 3
	s_add_u32 s10, s10, s12
	s_addc_u32 s11, s11, s13
	s_add_u32 s4, s10, s4
	s_addc_u32 s5, s11, s5
	;; [unrolled: 2-line block ×3, first 2 shown]
	v_mov_b32_e32 v1, s3
	v_add_co_u32_e32 v0, vcc, s2, v22
	v_addc_co_u32_e32 v1, vcc, v1, v23, vcc
	s_add_i32 s2, s7, 0xffffff98
	s_branch .LBB78_52
.LBB78_51:                              ;   in Loop: Header=BB78_52 Depth=1
	s_addk_i32 s3, 0xff98
	v_mov_b32_e32 v6, s3
	ds_read_b64 v[6:7], v6
	s_add_i32 s3, s8, -2
	s_add_i32 s6, s6, -16
	;; [unrolled: 1-line block ×3, first 2 shown]
	s_cmp_lt_i32 s8, 2
	s_waitcnt lgkmcnt(0)
	v_mul_f64 v[2:3], v[2:3], v[6:7]
	s_mov_b32 s8, s3
	global_store_dwordx2 v[4:5], v[2:3], off offset:-8
	s_cbranch_scc1 .LBB78_56
.LBB78_52:                              ; =>This Loop Header: Depth=1
                                        ;     Child Loop BB78_53 Depth 2
                                        ;     Child Loop BB78_55 Depth 2
	s_lshl_b64 s[4:5], s[8:9], 3
	v_mov_b32_e32 v3, s5
	v_add_co_u32_e32 v2, vcc, s4, v20
	v_addc_co_u32_e32 v3, vcc, v21, v3, vcc
	global_load_dwordx2 v[2:3], v[2:3], off
	v_pk_mov_b32 v[4:5], v[0:1], v[0:1] op_sel:[0,1]
	s_mov_b32 s3, s6
	s_cmp_le_i32 s18, s8
	s_mov_b32 s4, s18
	s_waitcnt vmcnt(0)
	v_mul_f64 v[2:3], v[2:3], s[0:1]
	s_cbranch_scc1 .LBB78_54
.LBB78_53:                              ;   Parent Loop BB78_52 Depth=1
                                        ; =>  This Inner Loop Header: Depth=2
	global_load_dwordx2 v[6:7], v[4:5], off
	v_mov_b32_e32 v8, s3
	ds_read_b64 v[8:9], v8
	s_add_i32 s4, s4, -1
	s_addk_i32 s3, 0xffa0
	v_add_co_u32_e32 v4, vcc, -8, v4
	v_addc_co_u32_e32 v5, vcc, -1, v5, vcc
	s_cmp_gt_i32 s4, s8
	s_waitcnt vmcnt(0) lgkmcnt(0)
	v_fma_f64 v[2:3], -v[6:7], v[8:9], v[2:3]
	s_cbranch_scc1 .LBB78_53
.LBB78_54:                              ;   in Loop: Header=BB78_52 Depth=1
	s_add_i32 s4, s8, -1
	s_mov_b32 s5, s9
	s_lshl_b64 s[4:5], s[4:5], 3
	v_mov_b32_e32 v5, s5
	v_add_co_u32_e32 v4, vcc, s4, v20
	v_addc_co_u32_e32 v5, vcc, v21, v5, vcc
	global_load_dwordx2 v[8:9], v[4:5], off
	s_mul_i32 s3, s8, 0x68
	v_mov_b32_e32 v4, s3
	ds_read_b64 v[10:11], v4
	s_ashr_i32 s11, s8, 31
	s_mov_b32 s10, s8
	s_lshl_b64 s[10:11], s[10:11], 3
	v_mov_b32_e32 v5, s11
	v_add_co_u32_e32 v4, vcc, s10, v20
	v_addc_co_u32_e32 v5, vcc, v21, v5, vcc
	s_waitcnt lgkmcnt(0)
	v_mul_f64 v[2:3], v[2:3], v[10:11]
	v_pk_mov_b32 v[6:7], v[0:1], v[0:1] op_sel:[0,1]
	s_mov_b32 s4, s2
	s_cmp_lt_i32 s18, s8
	global_store_dwordx2 v[4:5], v[2:3], off
	s_mov_b32 s5, s16
	s_waitcnt vmcnt(1)
	v_mul_f64 v[2:3], v[8:9], s[0:1]
	s_cbranch_scc1 .LBB78_51
.LBB78_55:                              ;   Parent Loop BB78_52 Depth=1
                                        ; =>  This Inner Loop Header: Depth=2
	global_load_dwordx2 v[8:9], v[6:7], off
	v_mov_b32_e32 v10, s4
	ds_read_b64 v[10:11], v10
	s_add_i32 s5, s5, -1
	s_addk_i32 s4, 0xffa0
	v_add_co_u32_e32 v6, vcc, -8, v6
	v_addc_co_u32_e32 v7, vcc, -1, v7, vcc
	s_cmp_gt_i32 s5, s8
	s_waitcnt vmcnt(0) lgkmcnt(0)
	v_fma_f64 v[2:3], -v[8:9], v[10:11], v[2:3]
	s_cbranch_scc1 .LBB78_55
	s_branch .LBB78_51
.LBB78_56:
	s_endpgm
	.section	.rodata,"a",@progbits
	.p2align	6, 0x0
	.amdhsa_kernel _ZL30rocblas_trsm_small_left_deviceILi12ELi12ELb0EddPKdPdEv13rocblas_fill_18rocblas_operation_17rocblas_diagonal_iiT3_T4_lilT5_lili
		.amdhsa_group_segment_fixed_size 1152
		.amdhsa_private_segment_fixed_size 0
		.amdhsa_kernarg_size 360
		.amdhsa_user_sgpr_count 6
		.amdhsa_user_sgpr_private_segment_buffer 1
		.amdhsa_user_sgpr_dispatch_ptr 0
		.amdhsa_user_sgpr_queue_ptr 0
		.amdhsa_user_sgpr_kernarg_segment_ptr 1
		.amdhsa_user_sgpr_dispatch_id 0
		.amdhsa_user_sgpr_flat_scratch_init 0
		.amdhsa_user_sgpr_kernarg_preload_length 0
		.amdhsa_user_sgpr_kernarg_preload_offset 0
		.amdhsa_user_sgpr_private_segment_size 0
		.amdhsa_uses_dynamic_stack 0
		.amdhsa_system_sgpr_private_segment_wavefront_offset 0
		.amdhsa_system_sgpr_workgroup_id_x 1
		.amdhsa_system_sgpr_workgroup_id_y 0
		.amdhsa_system_sgpr_workgroup_id_z 1
		.amdhsa_system_sgpr_workgroup_info 0
		.amdhsa_system_vgpr_workitem_id 0
		.amdhsa_next_free_vgpr 64
		.amdhsa_next_free_sgpr 37
		.amdhsa_accum_offset 64
		.amdhsa_reserve_vcc 1
		.amdhsa_reserve_flat_scratch 0
		.amdhsa_float_round_mode_32 0
		.amdhsa_float_round_mode_16_64 0
		.amdhsa_float_denorm_mode_32 3
		.amdhsa_float_denorm_mode_16_64 3
		.amdhsa_dx10_clamp 1
		.amdhsa_ieee_mode 1
		.amdhsa_fp16_overflow 0
		.amdhsa_tg_split 0
		.amdhsa_exception_fp_ieee_invalid_op 0
		.amdhsa_exception_fp_denorm_src 0
		.amdhsa_exception_fp_ieee_div_zero 0
		.amdhsa_exception_fp_ieee_overflow 0
		.amdhsa_exception_fp_ieee_underflow 0
		.amdhsa_exception_fp_ieee_inexact 0
		.amdhsa_exception_int_div_zero 0
	.end_amdhsa_kernel
	.section	.text._ZL30rocblas_trsm_small_left_deviceILi12ELi12ELb0EddPKdPdEv13rocblas_fill_18rocblas_operation_17rocblas_diagonal_iiT3_T4_lilT5_lili,"axG",@progbits,_ZL30rocblas_trsm_small_left_deviceILi12ELi12ELb0EddPKdPdEv13rocblas_fill_18rocblas_operation_17rocblas_diagonal_iiT3_T4_lilT5_lili,comdat
.Lfunc_end78:
	.size	_ZL30rocblas_trsm_small_left_deviceILi12ELi12ELb0EddPKdPdEv13rocblas_fill_18rocblas_operation_17rocblas_diagonal_iiT3_T4_lilT5_lili, .Lfunc_end78-_ZL30rocblas_trsm_small_left_deviceILi12ELi12ELb0EddPKdPdEv13rocblas_fill_18rocblas_operation_17rocblas_diagonal_iiT3_T4_lilT5_lili
                                        ; -- End function
	.section	.AMDGPU.csdata,"",@progbits
; Kernel info:
; codeLenInByte = 7784
; NumSgprs: 41
; NumVgprs: 64
; NumAgprs: 0
; TotalNumVgprs: 64
; ScratchSize: 0
; MemoryBound: 1
; FloatMode: 240
; IeeeMode: 1
; LDSByteSize: 1152 bytes/workgroup (compile time only)
; SGPRBlocks: 5
; VGPRBlocks: 7
; NumSGPRsForWavesPerEU: 41
; NumVGPRsForWavesPerEU: 64
; AccumOffset: 64
; Occupancy: 8
; WaveLimiterHint : 0
; COMPUTE_PGM_RSRC2:SCRATCH_EN: 0
; COMPUTE_PGM_RSRC2:USER_SGPR: 6
; COMPUTE_PGM_RSRC2:TRAP_HANDLER: 0
; COMPUTE_PGM_RSRC2:TGID_X_EN: 1
; COMPUTE_PGM_RSRC2:TGID_Y_EN: 0
; COMPUTE_PGM_RSRC2:TGID_Z_EN: 1
; COMPUTE_PGM_RSRC2:TIDIG_COMP_CNT: 0
; COMPUTE_PGM_RSRC3_GFX90A:ACCUM_OFFSET: 15
; COMPUTE_PGM_RSRC3_GFX90A:TG_SPLIT: 0
	.section	.text._ZL38rocblas_trsm_small_left_device_sharedBILi12ELi12ELb1EddPKdPdEv13rocblas_fill_18rocblas_operation_17rocblas_diagonal_iiT3_T4_lilT5_lili,"axG",@progbits,_ZL38rocblas_trsm_small_left_device_sharedBILi12ELi12ELb1EddPKdPdEv13rocblas_fill_18rocblas_operation_17rocblas_diagonal_iiT3_T4_lilT5_lili,comdat
	.globl	_ZL38rocblas_trsm_small_left_device_sharedBILi12ELi12ELb1EddPKdPdEv13rocblas_fill_18rocblas_operation_17rocblas_diagonal_iiT3_T4_lilT5_lili ; -- Begin function _ZL38rocblas_trsm_small_left_device_sharedBILi12ELi12ELb1EddPKdPdEv13rocblas_fill_18rocblas_operation_17rocblas_diagonal_iiT3_T4_lilT5_lili
	.p2align	8
	.type	_ZL38rocblas_trsm_small_left_device_sharedBILi12ELi12ELb1EddPKdPdEv13rocblas_fill_18rocblas_operation_17rocblas_diagonal_iiT3_T4_lilT5_lili,@function
_ZL38rocblas_trsm_small_left_device_sharedBILi12ELi12ELb1EddPKdPdEv13rocblas_fill_18rocblas_operation_17rocblas_diagonal_iiT3_T4_lilT5_lili: ; @_ZL38rocblas_trsm_small_left_device_sharedBILi12ELi12ELb1EddPKdPdEv13rocblas_fill_18rocblas_operation_17rocblas_diagonal_iiT3_T4_lilT5_lili
; %bb.0:
	s_load_dwordx4 s[8:11], s[4:5], 0x4
	s_load_dwordx4 s[12:15], s[4:5], 0x18
	s_load_dwordx2 s[20:21], s[4:5], 0x28
	s_load_dwordx4 s[0:3], s[4:5], 0x38
	s_load_dwordx2 s[16:17], s[4:5], 0x48
	s_waitcnt lgkmcnt(0)
	s_min_i32 s30, s10, 12
	s_mov_b32 s33, 0
	s_add_i32 s31, s30, -1
	v_cmp_gt_i32_e32 vcc, s30, v0
	s_and_saveexec_b64 s[18:19], vcc
	s_cbranch_execz .LBB79_10
; %bb.1:
	s_load_dword s22, s[4:5], 0x30
	s_mul_i32 s1, s7, s1
	s_mul_hi_u32 s24, s7, s0
	s_add_i32 s1, s24, s1
	s_mul_i32 s0, s7, s0
	s_waitcnt lgkmcnt(0)
	s_ashr_i32 s23, s22, 31
	s_cmp_lt_u32 s31, 3
	s_cbranch_scc1 .LBB79_4
; %bb.2:
	s_lshl_b64 s[24:25], s[0:1], 3
	s_add_u32 s26, s14, s24
	s_addc_u32 s27, s15, s25
	s_lshl_b64 s[24:25], s[20:21], 3
	s_add_u32 s24, s26, s24
	s_addc_u32 s25, s27, s25
	v_lshlrev_b32_e32 v1, 3, v0
	v_mov_b32_e32 v3, s25
	v_add_co_u32_e32 v2, vcc, s24, v1
	s_mul_hi_i32 s36, s22, 24
	s_lshl_b64 s[24:25], s[22:23], 5
	s_lshl_b64 s[26:27], s[22:23], 4
	;; [unrolled: 1-line block ×3, first 2 shown]
	v_addc_co_u32_e32 v3, vcc, 0, v3, vcc
	s_and_b32 s33, s30, -4
	s_mul_i32 s34, s22, 24
	s_mov_b32 s35, 0
	v_mov_b32_e32 v4, s29
	v_mov_b32_e32 v5, s27
	;; [unrolled: 1-line block ×4, first 2 shown]
.LBB79_3:                               ; =>This Inner Loop Header: Depth=1
	v_add_co_u32_e32 v10, vcc, s28, v2
	v_addc_co_u32_e32 v11, vcc, v3, v4, vcc
	v_add_co_u32_e32 v12, vcc, s26, v2
	v_addc_co_u32_e32 v13, vcc, v3, v5, vcc
	v_add_co_u32_e32 v14, vcc, s34, v2
	global_load_dwordx2 v[8:9], v[2:3], off
	v_addc_co_u32_e32 v15, vcc, v3, v6, vcc
	global_load_dwordx2 v[16:17], v[10:11], off
	global_load_dwordx2 v[18:19], v[12:13], off
	;; [unrolled: 1-line block ×3, first 2 shown]
	s_add_i32 s35, s35, 4
	v_add_co_u32_e32 v2, vcc, s24, v2
	v_addc_co_u32_e32 v3, vcc, v3, v7, vcc
	s_cmp_eq_u32 s33, s35
	s_waitcnt vmcnt(2)
	ds_write2_b64 v1, v[8:9], v[16:17] offset1:12
	s_waitcnt vmcnt(0)
	ds_write2_b64 v1, v[18:19], v[20:21] offset0:24 offset1:36
	v_add_u32_e32 v1, 0x180, v1
	s_cbranch_scc0 .LBB79_3
.LBB79_4:
	s_and_b32 s24, s30, 3
	s_cmp_eq_u32 s24, 0
	s_cbranch_scc1 .LBB79_7
; %bb.5:
	s_mul_i32 s25, s33, 0x60
	v_lshl_add_u32 v1, v0, 3, s25
	s_mul_i32 s25, s23, s33
	s_mul_hi_u32 s26, s22, s33
	s_add_i32 s27, s26, s25
	s_mul_i32 s26, s22, s33
	s_lshl_b64 s[0:1], s[0:1], 3
	s_lshl_b64 s[26:27], s[26:27], 3
	s_add_u32 s25, s0, s26
	s_addc_u32 s26, s1, s27
	s_lshl_b64 s[0:1], s[20:21], 3
	s_add_u32 s0, s25, s0
	s_addc_u32 s1, s26, s1
	s_add_u32 s0, s14, s0
	v_lshlrev_b32_e32 v2, 3, v0
	s_addc_u32 s1, s15, s1
	v_mov_b32_e32 v3, s1
	v_add_co_u32_e32 v2, vcc, s0, v2
	s_lshl_b64 s[0:1], s[22:23], 3
	v_addc_co_u32_e32 v3, vcc, 0, v3, vcc
	v_mov_b32_e32 v4, s1
.LBB79_6:                               ; =>This Inner Loop Header: Depth=1
	global_load_dwordx2 v[6:7], v[2:3], off
	v_add_co_u32_e32 v2, vcc, s0, v2
	s_add_i32 s24, s24, -1
	v_addc_co_u32_e32 v3, vcc, v3, v4, vcc
	s_cmp_lg_u32 s24, 0
	s_waitcnt vmcnt(0)
	ds_write_b64 v1, v[6:7]
	v_add_u32_e32 v1, 0x60, v1
	s_cbranch_scc1 .LBB79_6
.LBB79_7:
	v_mul_u32_u24_e32 v1, 13, v0
	v_mov_b32_e32 v2, 0
	s_cmpk_lg_i32 s9, 0x84
	v_lshlrev_b32_e32 v1, 3, v1
	v_mov_b32_e32 v3, 0x3ff00000
	s_cbranch_scc0 .LBB79_9
; %bb.8:
	ds_read_b64 v[2:3], v1
	s_waitcnt lgkmcnt(0)
	v_div_scale_f64 v[4:5], s[0:1], v[2:3], v[2:3], 1.0
	v_rcp_f64_e32 v[6:7], v[4:5]
	v_div_scale_f64 v[8:9], vcc, 1.0, v[2:3], 1.0
	v_fma_f64 v[10:11], -v[4:5], v[6:7], 1.0
	v_fmac_f64_e32 v[6:7], v[6:7], v[10:11]
	v_fma_f64 v[10:11], -v[4:5], v[6:7], 1.0
	v_fmac_f64_e32 v[6:7], v[6:7], v[10:11]
	v_mul_f64 v[10:11], v[8:9], v[6:7]
	v_fma_f64 v[4:5], -v[4:5], v[10:11], v[8:9]
	v_div_fmas_f64 v[4:5], v[4:5], v[6:7], v[10:11]
	v_div_fixup_f64 v[2:3], v[4:5], v[2:3], 1.0
.LBB79_9:
	ds_write_b64 v1, v[2:3]
.LBB79_10:
	s_or_b64 exec, exec, s[18:19]
	s_load_dword s9, s[4:5], 0x68
	s_load_dword s20, s[4:5], 0x50
	s_load_dwordx2 s[0:1], s[4:5], 0x58
	s_mov_b32 s18, 0
	s_waitcnt lgkmcnt(0)
	s_ashr_i32 s21, s20, 31
	s_mul_i32 s1, s7, s1
	s_mul_hi_u32 s4, s7, s0
	s_mul_i32 s0, s7, s0
	s_add_i32 s1, s4, s1
	s_lshl_b64 s[0:1], s[0:1], 3
	s_add_u32 s7, s2, s0
	s_addc_u32 s14, s3, s1
	s_lshl_b64 s[4:5], s[16:17], 3
	s_add_u32 s16, s7, s4
	s_mul_i32 s7, s6, -12
	s_addc_u32 s17, s14, s5
	s_add_i32 s9, s9, -1
	s_add_i32 s7, s7, s11
	s_cmp_ge_u32 s6, s9
	s_mul_i32 s6, s6, 12
	s_mul_hi_i32 s15, s20, s6
	s_mul_i32 s14, s20, s6
	s_cselect_b32 s9, s7, 12
	s_ashr_i32 s7, s6, 31
	s_lshl_b64 s[14:15], s[14:15], 3
	s_add_u32 s11, s16, s14
	s_addc_u32 s22, s17, s15
	s_cmp_gt_i32 s10, 0
	v_cmp_gt_i32_e32 vcc, s9, v0
	s_cselect_b64 s[14:15], -1, 0
	s_and_b64 s[14:15], vcc, s[14:15]
	s_and_saveexec_b64 s[16:17], s[14:15]
	s_cbranch_execz .LBB79_18
; %bb.11:
	s_cmp_lt_i32 s10, 8
	s_cbranch_scc1 .LBB79_15
; %bb.12:
	v_mad_i64_i32 v[2:3], s[18:19], s20, v0, 0
	v_lshlrev_b64 v[2:3], 3, v[2:3]
	v_mov_b32_e32 v4, s22
	v_add_co_u32_e32 v1, vcc, s11, v2
	v_addc_co_u32_e32 v2, vcc, v4, v3, vcc
	v_mov_b32_e32 v3, 0x480
	s_lshl_b32 s9, s30, 3
	v_lshl_or_b32 v3, v0, 3, v3
	s_and_b32 s9, s9, 64
	s_mov_b64 s[18:19], 0
.LBB79_13:                              ; =>This Inner Loop Header: Depth=1
	v_mov_b32_e32 v4, s19
	v_add_co_u32_e32 v20, vcc, s18, v1
	v_addc_co_u32_e32 v21, vcc, v2, v4, vcc
	global_load_dwordx4 v[4:7], v[20:21], off
	global_load_dwordx4 v[8:11], v[20:21], off offset:16
	global_load_dwordx4 v[12:15], v[20:21], off offset:32
	;; [unrolled: 1-line block ×3, first 2 shown]
	s_add_u32 s18, s18, 64
	s_addc_u32 s19, s19, 0
	s_cmp_lg_u32 s9, s18
	s_waitcnt vmcnt(3)
	v_mul_f64 v[4:5], v[4:5], s[12:13]
	v_mul_f64 v[6:7], v[6:7], s[12:13]
	s_waitcnt vmcnt(2)
	v_mul_f64 v[8:9], v[8:9], s[12:13]
	v_mul_f64 v[10:11], v[10:11], s[12:13]
	;; [unrolled: 3-line block ×4, first 2 shown]
	ds_write2_b64 v3, v[4:5], v[6:7] offset1:12
	ds_write2_b64 v3, v[8:9], v[10:11] offset0:24 offset1:36
	ds_write2_b64 v3, v[12:13], v[14:15] offset0:48 offset1:60
	;; [unrolled: 1-line block ×3, first 2 shown]
	v_add_u32_e32 v3, 0x300, v3
	s_cbranch_scc1 .LBB79_13
; %bb.14:
	s_mov_b32 s18, 8
.LBB79_15:
	s_and_b32 s9, s30, 7
	s_cmp_eq_u32 s9, 0
	s_cbranch_scc1 .LBB79_18
; %bb.16:
	s_mul_i32 s19, s18, 0x60
	s_lshl_b64 s[24:25], s[6:7], 3
	s_lshl_b32 s18, s18, 3
	s_add_u32 s18, s2, s18
	v_lshl_add_u32 v1, v0, 3, s19
	s_addc_u32 s19, s3, 0
	s_add_u32 s18, s18, s4
	s_addc_u32 s19, s19, s5
	v_lshlrev_b32_e32 v2, 3, v0
	s_add_u32 s18, s18, s0
	v_mov_b32_e32 v3, s25
	v_add_co_u32_e32 v4, vcc, s24, v2
	s_addc_u32 s19, s19, s1
	v_addc_co_u32_e32 v5, vcc, 0, v3, vcc
	v_pk_mov_b32 v[2:3], s[18:19], s[18:19] op_sel:[0,1]
	v_mad_u64_u32 v[2:3], s[18:19], v4, s20, v[2:3]
	v_mul_lo_u32 v4, v4, s21
	v_mul_lo_u32 v5, v5, s20
	v_add_u32_e32 v1, 0x480, v1
	v_add3_u32 v3, v5, v3, v4
.LBB79_17:                              ; =>This Inner Loop Header: Depth=1
	global_load_dwordx2 v[4:5], v[2:3], off
	v_add_co_u32_e32 v2, vcc, 8, v2
	s_add_i32 s9, s9, -1
	v_addc_co_u32_e32 v3, vcc, 0, v3, vcc
	s_cmp_lg_u32 s9, 0
	s_waitcnt vmcnt(0)
	v_mul_f64 v[4:5], v[4:5], s[12:13]
	ds_write_b64 v1, v[4:5]
	v_add_u32_e32 v1, 0x60, v1
	s_cbranch_scc1 .LBB79_17
.LBB79_18:
	s_or_b64 exec, exec, s[16:17]
	s_cmpk_eq_i32 s8, 0x6f
	s_mov_b64 s[8:9], -1
	s_waitcnt lgkmcnt(0)
	; wave barrier
	s_waitcnt lgkmcnt(0)
	s_cbranch_scc1 .LBB79_41
; %bb.19:
	s_cmp_gt_i32 s10, 11
	s_cbranch_scc0 .LBB79_21
; %bb.20:
	s_mul_i32 s8, s31, 12
	s_mul_i32 s18, s30, 12
	v_add_lshl_u32 v1, s8, v0, 3
	s_sub_i32 s8, s18, 24
	s_sub_i32 s24, s18, 60
	s_add_i32 s16, s18, 0xffffff94
	s_mul_i32 s12, s31, 0x68
	v_add_lshl_u32 v27, s8, v0, 3
	s_sub_i32 s19, s18, 36
	s_sub_i32 s23, s18, 48
	v_add_lshl_u32 v34, s24, v0, 3
	s_add_i32 s25, s18, 0xffffffb8
	s_add_i32 s26, s18, 0xffffffac
	;; [unrolled: 1-line block ×3, first 2 shown]
	v_add_lshl_u32 v45, s16, v0, 3
	s_add_i32 s13, s18, 0xffffff88
	s_add_i32 s9, s18, 0xffffff7c
	;; [unrolled: 1-line block ×3, first 2 shown]
	v_mov_b32_e32 v6, s12
	v_add_lshl_u32 v32, s19, v0, 3
	v_add_lshl_u32 v33, s23, v0, 3
	ds_read_b64 v[4:5], v1 offset:1152
	ds_read_b64 v[10:11], v27 offset:1152
	;; [unrolled: 1-line block ×4, first 2 shown]
	v_add_lshl_u32 v42, s25, v0, 3
	v_add_lshl_u32 v43, s26, v0, 3
	;; [unrolled: 1-line block ×3, first 2 shown]
	ds_read_b64 v[30:31], v34 offset:1152
	ds_read_b64 v[36:37], v42 offset:1152
	;; [unrolled: 1-line block ×4, first 2 shown]
	v_add_lshl_u32 v46, s13, v0, 3
	v_add_lshl_u32 v26, s9, v0, 3
	;; [unrolled: 1-line block ×3, first 2 shown]
	ds_read_b64 v[24:25], v45 offset:1152
	ds_read_b64 v[18:19], v46 offset:1152
	;; [unrolled: 1-line block ×4, first 2 shown]
	ds_read_b64 v[14:15], v6
	s_add_i32 s18, s18, -12
	s_add_i32 s27, s12, 0xffffff98
	s_add_i32 s19, s19, s31
	v_mov_b32_e32 v6, s27
	s_waitcnt lgkmcnt(0)
	v_mul_f64 v[4:5], v[4:5], v[14:15]
	v_add_lshl_u32 v14, s18, v0, 3
	s_lshl_b32 s18, s19, 3
	ds_read2_b64 v[6:9], v6 offset1:1
	ds_write_b64 v14, v[4:5] offset:1152
	v_mov_b32_e32 v14, s18
	s_add_i32 s18, s12, 0xffffff30
	v_mov_b32_e32 v15, s18
	ds_read_b64 v[22:23], v14
	ds_read2_b64 v[14:17], v15 offset1:1
	s_add_i32 s23, s23, s31
	s_waitcnt lgkmcnt(3)
	v_fma_f64 v[8:9], -v[4:5], v[8:9], v[10:11]
	s_lshl_b32 s18, s23, 3
	v_mul_f64 v[6:7], v[8:9], v[6:7]
	s_waitcnt lgkmcnt(1)
	v_fma_f64 v[8:9], -v[4:5], v[22:23], v[20:21]
	s_add_i32 s18, s18, -8
	s_waitcnt lgkmcnt(0)
	v_fma_f64 v[8:9], -v[6:7], v[16:17], v[8:9]
	v_mov_b32_e32 v10, s18
	v_mul_f64 v[8:9], v[8:9], v[14:15]
	ds_read2_b64 v[14:17], v10 offset1:1
	s_add_i32 s18, s12, 0xfffffec8
	v_mov_b32_e32 v10, s18
	s_add_i32 s24, s24, s31
	ds_read2_b64 v[20:23], v10 offset1:1
	s_waitcnt lgkmcnt(1)
	v_fma_f64 v[10:11], -v[4:5], v[16:17], v[28:29]
	s_lshl_b32 s18, s24, 3
	v_fma_f64 v[10:11], -v[6:7], v[14:15], v[10:11]
	v_mov_b32_e32 v14, s18
	s_add_i32 s18, s18, -16
	ds_write_b64 v27, v[6:7] offset:1152
	ds_write_b64 v32, v[8:9] offset:1152
	v_mov_b32_e32 v15, s18
	ds_read_b64 v[28:29], v14
	ds_read2_b64 v[14:17], v15 offset1:1
	s_waitcnt lgkmcnt(4)
	v_fma_f64 v[10:11], -v[8:9], v[22:23], v[10:11]
	v_mul_f64 v[10:11], v[10:11], v[20:21]
	s_add_i32 s18, s12, 0xfffffe60
	s_waitcnt lgkmcnt(1)
	v_fma_f64 v[20:21], -v[4:5], v[28:29], v[30:31]
	s_waitcnt lgkmcnt(0)
	v_fma_f64 v[16:17], -v[6:7], v[16:17], v[20:21]
	v_fma_f64 v[28:29], -v[8:9], v[14:15], v[16:17]
	v_mov_b32_e32 v14, s18
	ds_read2_b64 v[14:17], v14 offset1:1
	s_add_i32 s25, s25, s31
	s_lshl_b32 s18, s25, 3
	s_add_i32 s19, s18, -8
	v_mov_b32_e32 v20, s19
	ds_read2_b64 v[20:23], v20 offset1:1
	s_waitcnt lgkmcnt(1)
	v_fma_f64 v[16:17], -v[10:11], v[16:17], v[28:29]
	s_sub_i32 s18, s18, 24
	v_mul_f64 v[14:15], v[16:17], v[14:15]
	v_mov_b32_e32 v16, s18
	s_add_i32 s18, s12, 0xfffffdf8
	ds_read2_b64 v[28:31], v16 offset1:1
	v_mov_b32_e32 v16, s18
	ds_write_b64 v33, v[10:11] offset:1152
	ds_write_b64 v34, v[14:15] offset:1152
	ds_read2_b64 v[32:35], v16 offset1:1
	s_waitcnt lgkmcnt(4)
	v_fma_f64 v[16:17], -v[4:5], v[22:23], v[36:37]
	v_fma_f64 v[16:17], -v[6:7], v[20:21], v[16:17]
	s_waitcnt lgkmcnt(3)
	v_fma_f64 v[16:17], -v[8:9], v[30:31], v[16:17]
	v_fma_f64 v[16:17], -v[10:11], v[28:29], v[16:17]
	s_add_i32 s26, s26, s31
	s_waitcnt lgkmcnt(0)
	v_fma_f64 v[16:17], -v[14:15], v[34:35], v[16:17]
	s_lshl_b32 s18, s26, 3
	v_mul_f64 v[16:17], v[16:17], v[32:33]
	s_add_i32 s19, s18, -8
	ds_write_b64 v42, v[16:17] offset:1152
	v_mov_b32_e32 v20, s19
	s_sub_i32 s19, s18, 24
	v_mov_b32_e32 v27, s19
	ds_read2_b64 v[20:23], v20 offset1:1
	ds_read2_b64 v[28:31], v27 offset1:1
	s_sub_i32 s18, s18, 40
	v_mov_b32_e32 v27, s18
	ds_read2_b64 v[32:35], v27 offset1:1
	s_waitcnt lgkmcnt(2)
	v_fma_f64 v[22:23], -v[4:5], v[22:23], v[38:39]
	s_add_i32 s17, s17, s31
	v_fma_f64 v[20:21], -v[6:7], v[20:21], v[22:23]
	s_add_i32 s18, s12, 0xfffffd90
	s_lshl_b32 s17, s17, 3
	s_waitcnt lgkmcnt(1)
	v_fma_f64 v[20:21], -v[8:9], v[30:31], v[20:21]
	v_mov_b32_e32 v22, s18
	s_add_i32 s18, s17, -16
	v_fma_f64 v[20:21], -v[10:11], v[28:29], v[20:21]
	ds_read_b64 v[22:23], v22
	v_mov_b32_e32 v27, s17
	v_mov_b32_e32 v28, s18
	s_waitcnt lgkmcnt(1)
	v_fma_f64 v[20:21], -v[14:15], v[34:35], v[20:21]
	ds_read_b64 v[34:35], v27
	ds_read2_b64 v[28:31], v28 offset1:1
	v_fma_f64 v[20:21], -v[16:17], v[32:33], v[20:21]
	s_waitcnt lgkmcnt(2)
	v_mul_f64 v[20:21], v[20:21], v[22:23]
	s_sub_i32 s18, s17, 32
	s_waitcnt lgkmcnt(1)
	v_fma_f64 v[22:23], -v[4:5], v[34:35], v[40:41]
	s_sub_i32 s17, s17, 48
	ds_write_b64 v43, v[20:21] offset:1152
	s_waitcnt lgkmcnt(1)
	v_fma_f64 v[22:23], -v[6:7], v[30:31], v[22:23]
	v_mov_b32_e32 v27, s18
	v_mov_b32_e32 v32, s17
	v_fma_f64 v[22:23], -v[8:9], v[28:29], v[22:23]
	ds_read2_b64 v[28:31], v27 offset1:1
	ds_read2_b64 v[32:35], v32 offset1:1
	s_add_i32 s16, s16, s31
	s_add_i32 s17, s12, 0xfffffd28
	s_lshl_b32 s16, s16, 3
	v_mov_b32_e32 v27, s17
	s_add_i32 s17, s16, -8
	ds_read_b64 v[36:37], v27
	s_waitcnt lgkmcnt(2)
	v_fma_f64 v[22:23], -v[10:11], v[30:31], v[22:23]
	v_mov_b32_e32 v27, s17
	v_fma_f64 v[22:23], -v[14:15], v[28:29], v[22:23]
	ds_read2_b64 v[28:31], v27 offset1:1
	s_sub_i32 s17, s16, 24
	s_waitcnt lgkmcnt(2)
	v_fma_f64 v[22:23], -v[16:17], v[34:35], v[22:23]
	v_mov_b32_e32 v27, s17
	v_fma_f64 v[22:23], -v[20:21], v[32:33], v[22:23]
	ds_read2_b64 v[32:35], v27 offset1:1
	s_sub_i32 s17, s16, 40
	;; [unrolled: 6-line block ×3, first 2 shown]
	v_mov_b32_e32 v27, s16
	s_waitcnt lgkmcnt(1)
	v_fma_f64 v[24:25], -v[8:9], v[34:35], v[24:25]
	s_add_i32 s13, s13, s31
	v_mul_f64 v[22:23], v[22:23], v[36:37]
	ds_read2_b64 v[36:39], v27 offset1:1
	v_fma_f64 v[24:25], -v[10:11], v[32:33], v[24:25]
	s_add_i32 s16, s12, 0xfffffcc0
	s_lshl_b32 s13, s13, 3
	s_waitcnt lgkmcnt(1)
	v_fma_f64 v[24:25], -v[14:15], v[30:31], v[24:25]
	v_mov_b32_e32 v27, s16
	s_add_i32 s16, s13, -16
	ds_write_b64 v44, v[22:23] offset:1152
	v_fma_f64 v[24:25], -v[16:17], v[28:29], v[24:25]
	ds_read_b64 v[32:33], v27
	v_mov_b32_e32 v27, s13
	v_mov_b32_e32 v28, s16
	ds_read_b64 v[34:35], v27
	ds_read2_b64 v[28:31], v28 offset1:1
	s_waitcnt lgkmcnt(4)
	v_fma_f64 v[24:25], -v[20:21], v[38:39], v[24:25]
	v_fma_f64 v[24:25], -v[22:23], v[36:37], v[24:25]
	s_sub_i32 s16, s13, 32
	s_waitcnt lgkmcnt(2)
	v_mul_f64 v[24:25], v[24:25], v[32:33]
	s_waitcnt lgkmcnt(1)
	v_fma_f64 v[18:19], -v[4:5], v[34:35], v[18:19]
	v_mov_b32_e32 v27, s16
	s_sub_i32 s16, s13, 48
	ds_write_b64 v45, v[24:25] offset:1152
	s_waitcnt lgkmcnt(1)
	v_fma_f64 v[18:19], -v[6:7], v[30:31], v[18:19]
	v_mov_b32_e32 v32, s16
	v_fma_f64 v[18:19], -v[8:9], v[28:29], v[18:19]
	ds_read2_b64 v[28:31], v27 offset1:1
	ds_read2_b64 v[32:35], v32 offset1:1
	s_sub_i32 s13, s13, 64
	s_add_i32 s9, s9, s31
	v_mov_b32_e32 v27, s13
	s_waitcnt lgkmcnt(1)
	v_fma_f64 v[18:19], -v[10:11], v[30:31], v[18:19]
	v_fma_f64 v[18:19], -v[14:15], v[28:29], v[18:19]
	s_addk_i32 s12, 0xfc58
	s_lshl_b32 s9, s9, 3
	ds_read2_b64 v[36:39], v27 offset1:1
	s_waitcnt lgkmcnt(1)
	v_fma_f64 v[18:19], -v[16:17], v[34:35], v[18:19]
	v_mov_b32_e32 v27, s12
	s_add_i32 s12, s9, -16
	v_fma_f64 v[18:19], -v[20:21], v[32:33], v[18:19]
	ds_read_b64 v[32:33], v27
	v_mov_b32_e32 v27, s9
	v_mov_b32_e32 v28, s12
	ds_read_b64 v[34:35], v27
	ds_read2_b64 v[28:31], v28 offset1:1
	s_waitcnt lgkmcnt(3)
	v_fma_f64 v[18:19], -v[22:23], v[38:39], v[18:19]
	s_sub_i32 s13, s9, 32
	v_fma_f64 v[18:19], -v[24:25], v[36:37], v[18:19]
	s_waitcnt lgkmcnt(1)
	v_fma_f64 v[12:13], -v[4:5], v[34:35], v[12:13]
	v_mov_b32_e32 v27, s13
	v_mul_f64 v[18:19], v[18:19], v[32:33]
	s_waitcnt lgkmcnt(0)
	v_fma_f64 v[12:13], -v[6:7], v[30:31], v[12:13]
	ds_read2_b64 v[30:33], v27 offset1:1
	s_sub_i32 s13, s9, 48
	v_mov_b32_e32 v27, s13
	v_fma_f64 v[12:13], -v[8:9], v[28:29], v[12:13]
	ds_read2_b64 v[34:37], v27 offset1:1
	s_sub_i32 s9, s9, 64
	s_waitcnt lgkmcnt(1)
	v_fma_f64 v[12:13], -v[10:11], v[32:33], v[12:13]
	v_mov_b32_e32 v27, s9
	v_fma_f64 v[12:13], -v[14:15], v[30:31], v[12:13]
	ds_read2_b64 v[28:31], v27 offset1:1
	s_mul_i32 s12, s30, 0x68
	s_add_i32 s8, s8, s31
	s_add_i32 s9, s12, 0xfffffb88
	s_waitcnt lgkmcnt(1)
	v_fma_f64 v[12:13], -v[16:17], v[36:37], v[12:13]
	s_lshl_b32 s8, s8, 3
	v_mov_b32_e32 v27, s9
	v_fma_f64 v[12:13], -v[20:21], v[34:35], v[12:13]
	s_add_i32 s9, s8, -8
	ds_read2_b64 v[38:41], v27 offset1:1
	s_waitcnt lgkmcnt(1)
	v_fma_f64 v[12:13], -v[22:23], v[30:31], v[12:13]
	v_mov_b32_e32 v27, s9
	v_fma_f64 v[12:13], -v[24:25], v[28:29], v[12:13]
	s_sub_i32 s9, s8, 24
	ds_read2_b64 v[28:31], v27 offset1:1
	v_mov_b32_e32 v27, s9
	ds_read2_b64 v[32:35], v27 offset1:1
	s_sub_i32 s9, s8, 40
	s_waitcnt lgkmcnt(2)
	v_fma_f64 v[12:13], -v[18:19], v[40:41], v[12:13]
	s_waitcnt lgkmcnt(1)
	v_fma_f64 v[2:3], -v[4:5], v[30:31], v[2:3]
	v_fma_f64 v[2:3], -v[6:7], v[28:29], v[2:3]
	s_waitcnt lgkmcnt(0)
	v_fma_f64 v[6:7], -v[8:9], v[34:35], v[2:3]
	v_mov_b32_e32 v2, s9
	ds_read2_b64 v[2:5], v2 offset1:1
	s_sub_i32 s9, s8, 56
	v_fma_f64 v[10:11], -v[10:11], v[32:33], v[6:7]
	v_mov_b32_e32 v6, s9
	ds_read2_b64 v[6:9], v6 offset1:1
	s_waitcnt lgkmcnt(1)
	v_fma_f64 v[4:5], -v[14:15], v[4:5], v[10:11]
	s_addk_i32 s8, 0xffb8
	v_fma_f64 v[14:15], -v[16:17], v[2:3], v[4:5]
	v_mov_b32_e32 v2, s8
	s_add_i32 s8, s12, 0xfffffb20
	ds_read2_b64 v[2:5], v2 offset1:1
	v_mov_b32_e32 v10, s8
	v_mul_f64 v[36:37], v[12:13], v[38:39]
	ds_read2_b64 v[10:13], v10 offset1:1
	s_waitcnt lgkmcnt(2)
	v_fma_f64 v[8:9], -v[20:21], v[8:9], v[14:15]
	v_fma_f64 v[6:7], -v[22:23], v[6:7], v[8:9]
	s_waitcnt lgkmcnt(1)
	v_fma_f64 v[4:5], -v[24:25], v[4:5], v[6:7]
	v_fma_f64 v[2:3], -v[18:19], v[2:3], v[4:5]
	s_waitcnt lgkmcnt(0)
	v_fma_f64 v[2:3], -v[36:37], v[12:13], v[2:3]
	v_mul_f64 v[2:3], v[2:3], v[10:11]
	s_add_i32 s8, s30, -13
	ds_write_b64 v46, v[18:19] offset:1152
	ds_write_b64 v26, v[36:37] offset:1152
	;; [unrolled: 1-line block ×3, first 2 shown]
	s_cmp_gt_i32 s8, -1
	s_cbranch_scc1 .LBB79_22
	s_branch .LBB79_40
.LBB79_21:
	s_mov_b32 s8, s31
	s_cmp_gt_i32 s8, -1
	s_cbranch_scc0 .LBB79_40
.LBB79_22:
	s_cmp_lt_u32 s8, 7
	s_cbranch_scc1 .LBB79_27
; %bb.23:
	s_mul_i32 s12, s8, 12
	s_sub_i32 s13, s12, 24
	v_add_lshl_u32 v2, s13, v0, 3
	s_sub_i32 s13, s12, 36
	v_add_lshl_u32 v1, s12, v0, 3
	s_add_i32 s9, s12, -12
	v_add_lshl_u32 v3, s13, v0, 3
	s_sub_i32 s13, s12, 48
	v_add_lshl_u32 v18, s9, v0, 3
	ds_read_b64 v[16:17], v1 offset:1152
	ds_read_b64 v[14:15], v18 offset:1152
	;; [unrolled: 1-line block ×4, first 2 shown]
	v_add_lshl_u32 v2, s13, v0, 3
	s_sub_i32 s13, s12, 60
	v_add_lshl_u32 v3, s13, v0, 3
	s_add_i32 s13, s12, 0xffffffb8
	v_add_lshl_u32 v4, s13, v0, 3
	s_addk_i32 s12, 0xffac
	v_add_lshl_u32 v19, s12, v0, 3
	ds_read_b64 v[8:9], v2 offset:1152
	ds_read_b64 v[6:7], v3 offset:1152
	;; [unrolled: 1-line block ×4, first 2 shown]
	s_cmp_le_i32 s31, s8
	s_cbranch_scc1 .LBB79_26
; %bb.24:
	s_mul_i32 s12, s8, 0x60
	s_lshl_b32 s13, s30, 3
	s_add_i32 s12, s12, s13
	s_mul_i32 s13, s30, 0x60
	v_lshl_add_u32 v19, v0, 3, s13
	s_addk_i32 s12, 0xfd58
	v_add_u32_e32 v19, 0x420, v19
	s_mov_b32 s13, s31
.LBB79_25:                              ; =>This Inner Loop Header: Depth=1
	v_mov_b32_e32 v32, s12
	ds_read_b64 v[36:37], v19
	ds_read2_b64 v[20:23], v32 offset0:72 offset1:84
	ds_read2_b64 v[24:27], v32 offset0:48 offset1:60
	;; [unrolled: 1-line block ×3, first 2 shown]
	ds_read2_b64 v[32:35], v32 offset1:12
	s_add_i32 s13, s13, -1
	s_add_i32 s12, s12, -8
	v_add_u32_e32 v19, 0xffffffa0, v19
	s_cmp_gt_i32 s13, s8
	s_waitcnt lgkmcnt(3)
	v_fma_f64 v[16:17], -v[36:37], v[22:23], v[16:17]
	v_fma_f64 v[14:15], -v[36:37], v[20:21], v[14:15]
	s_waitcnt lgkmcnt(2)
	v_fma_f64 v[12:13], -v[36:37], v[26:27], v[12:13]
	v_fma_f64 v[10:11], -v[36:37], v[24:25], v[10:11]
	;; [unrolled: 3-line block ×4, first 2 shown]
	s_cbranch_scc1 .LBB79_25
.LBB79_26:
	s_mul_i32 s12, s8, 0x68
	v_add_u32_e32 v19, 0x480, v1
	v_add_u32_e32 v1, 0x480, v18
	v_mov_b32_e32 v18, s12
	ds_read_b64 v[24:25], v18
	s_add_i32 s13, s9, -12
	s_add_i32 s16, s12, 0xffffff98
	v_mov_b32_e32 v18, s16
	s_add_i32 s16, s13, s8
	s_lshl_b32 s16, s16, 3
	ds_read2_b64 v[20:23], v18 offset1:1
	s_waitcnt lgkmcnt(1)
	v_mul_f64 v[24:25], v[16:17], v[24:25]
	v_mov_b32_e32 v16, s16
	s_add_i32 s16, s12, 0xffffff30
	ds_write_b64 v19, v[24:25]
	v_mov_b32_e32 v17, s16
	ds_read_b64 v[26:27], v16
	ds_read2_b64 v[16:19], v17 offset1:1
	s_sub_i32 s16, s9, 24
	s_add_i32 s17, s16, s8
	s_waitcnt lgkmcnt(3)
	v_fma_f64 v[14:15], -v[24:25], v[22:23], v[14:15]
	s_lshl_b32 s17, s17, 3
	v_mul_f64 v[20:21], v[14:15], v[20:21]
	s_waitcnt lgkmcnt(1)
	v_fma_f64 v[12:13], -v[24:25], v[26:27], v[12:13]
	s_add_i32 s17, s17, -8
	ds_write_b64 v1, v[20:21]
	s_waitcnt lgkmcnt(1)
	v_fma_f64 v[12:13], -v[20:21], v[18:19], v[12:13]
	v_mov_b32_e32 v1, s17
	v_mul_f64 v[22:23], v[12:13], v[16:17]
	s_add_i32 s17, s12, 0xfffffec8
	ds_read2_b64 v[12:15], v1 offset1:1
	v_mov_b32_e32 v1, s17
	ds_read2_b64 v[16:19], v1 offset1:1
	v_add_lshl_u32 v1, s13, v0, 3
	s_sub_i32 s13, s9, 36
	s_add_i32 s17, s13, s8
	s_waitcnt lgkmcnt(1)
	v_fma_f64 v[10:11], -v[24:25], v[14:15], v[10:11]
	s_lshl_b32 s17, s17, 3
	ds_write_b64 v1, v[22:23] offset:1152
	v_fma_f64 v[10:11], -v[20:21], v[12:13], v[10:11]
	v_mov_b32_e32 v1, s17
	s_add_i32 s17, s17, -16
	s_waitcnt lgkmcnt(1)
	v_fma_f64 v[14:15], -v[22:23], v[18:19], v[10:11]
	v_mov_b32_e32 v10, s17
	ds_read_b64 v[18:19], v1
	ds_read2_b64 v[10:13], v10 offset1:1
	v_mul_f64 v[26:27], v[14:15], v[16:17]
	v_add_lshl_u32 v1, s16, v0, 3
	s_add_i32 s16, s12, 0xfffffe60
	s_waitcnt lgkmcnt(1)
	v_fma_f64 v[8:9], -v[24:25], v[18:19], v[8:9]
	ds_write_b64 v1, v[26:27] offset:1152
	s_waitcnt lgkmcnt(1)
	v_fma_f64 v[8:9], -v[20:21], v[12:13], v[8:9]
	v_mov_b32_e32 v1, s16
	v_fma_f64 v[16:17], -v[22:23], v[10:11], v[8:9]
	ds_read2_b64 v[8:11], v1 offset1:1
	s_sub_i32 s16, s9, 48
	s_add_i32 s17, s16, s8
	s_lshl_b32 s17, s17, 3
	s_add_i32 s18, s17, -8
	v_mov_b32_e32 v1, s18
	s_waitcnt lgkmcnt(0)
	v_fma_f64 v[10:11], -v[26:27], v[10:11], v[16:17]
	ds_read2_b64 v[12:15], v1 offset1:1
	v_mul_f64 v[28:29], v[10:11], v[8:9]
	v_add_lshl_u32 v1, s13, v0, 3
	s_sub_i32 s13, s17, 24
	ds_write_b64 v1, v[28:29] offset:1152
	v_mov_b32_e32 v1, s13
	s_add_i32 s13, s12, 0xfffffdf8
	ds_read2_b64 v[8:11], v1 offset1:1
	v_mov_b32_e32 v1, s13
	ds_read2_b64 v[16:19], v1 offset1:1
	s_waitcnt lgkmcnt(3)
	v_fma_f64 v[6:7], -v[24:25], v[14:15], v[6:7]
	v_fma_f64 v[6:7], -v[20:21], v[12:13], v[6:7]
	s_waitcnt lgkmcnt(1)
	v_fma_f64 v[6:7], -v[22:23], v[10:11], v[6:7]
	s_sub_i32 s13, s9, 60
	v_fma_f64 v[6:7], -v[26:27], v[8:9], v[6:7]
	v_add_lshl_u32 v1, s16, v0, 3
	s_add_i32 s16, s13, s8
	s_waitcnt lgkmcnt(0)
	v_fma_f64 v[6:7], -v[28:29], v[18:19], v[6:7]
	s_lshl_b32 s16, s16, 3
	v_mul_f64 v[18:19], v[6:7], v[16:17]
	s_add_i32 s17, s16, -8
	ds_write_b64 v1, v[18:19] offset:1152
	v_mov_b32_e32 v1, s17
	s_sub_i32 s17, s16, 24
	v_mov_b32_e32 v10, s17
	ds_read2_b64 v[6:9], v1 offset1:1
	ds_read2_b64 v[10:13], v10 offset1:1
	s_sub_i32 s16, s16, 40
	v_mov_b32_e32 v1, s16
	ds_read2_b64 v[14:17], v1 offset1:1
	s_waitcnt lgkmcnt(2)
	v_fma_f64 v[4:5], -v[24:25], v[8:9], v[4:5]
	v_fma_f64 v[4:5], -v[20:21], v[6:7], v[4:5]
	s_add_i32 s16, s12, 0xfffffd90
	s_addk_i32 s9, 0xffb8
	s_waitcnt lgkmcnt(1)
	v_fma_f64 v[4:5], -v[22:23], v[12:13], v[4:5]
	v_mov_b32_e32 v1, s16
	s_add_i32 s16, s9, s8
	v_fma_f64 v[4:5], -v[26:27], v[10:11], v[4:5]
	s_lshl_b32 s16, s16, 3
	s_waitcnt lgkmcnt(0)
	v_fma_f64 v[4:5], -v[28:29], v[16:17], v[4:5]
	ds_read_b64 v[10:11], v1
	s_add_i32 s17, s16, -16
	v_fma_f64 v[8:9], -v[18:19], v[14:15], v[4:5]
	v_mov_b32_e32 v1, s16
	v_mov_b32_e32 v4, s17
	ds_read_b64 v[12:13], v1
	ds_read2_b64 v[4:7], v4 offset1:1
	s_waitcnt lgkmcnt(2)
	v_mul_f64 v[10:11], v[8:9], v[10:11]
	v_add_lshl_u32 v1, s13, v0, 3
	s_sub_i32 s13, s16, 32
	ds_write_b64 v1, v[10:11] offset:1152
	s_waitcnt lgkmcnt(2)
	v_fma_f64 v[2:3], -v[24:25], v[12:13], v[2:3]
	v_mov_b32_e32 v1, s13
	s_sub_i32 s13, s16, 48
	s_waitcnt lgkmcnt(1)
	v_fma_f64 v[2:3], -v[20:21], v[6:7], v[2:3]
	v_mov_b32_e32 v6, s13
	v_fma_f64 v[12:13], -v[22:23], v[4:5], v[2:3]
	ds_read2_b64 v[2:5], v1 offset1:1
	ds_read2_b64 v[6:9], v6 offset1:1
	s_addk_i32 s12, 0xfd28
	v_mov_b32_e32 v1, s12
	ds_read_b64 v[14:15], v1
	s_waitcnt lgkmcnt(2)
	v_fma_f64 v[4:5], -v[26:27], v[4:5], v[12:13]
	v_fma_f64 v[2:3], -v[28:29], v[2:3], v[4:5]
	s_waitcnt lgkmcnt(1)
	v_fma_f64 v[2:3], -v[18:19], v[8:9], v[2:3]
	v_fma_f64 v[2:3], -v[10:11], v[6:7], v[2:3]
	s_waitcnt lgkmcnt(0)
	v_mul_f64 v[2:3], v[2:3], v[14:15]
	v_add_lshl_u32 v1, s9, v0, 3
	s_add_i32 s8, s8, -8
	ds_write_b64 v1, v[2:3] offset:1152
.LBB79_27:
	s_cmp_lt_i32 s8, 0
	s_cbranch_scc1 .LBB79_40
; %bb.28:
	s_bitcmp1_b32 s8, 0
	s_cselect_b64 s[12:13], -1, 0
	s_and_b64 vcc, exec, s[12:13]
	s_mov_b32 s9, s8
	s_cbranch_vccnz .LBB79_33
; %bb.29:
	s_mul_i32 s9, s8, 12
	v_add_lshl_u32 v1, s9, v0, 3
	ds_read_b64 v[2:3], v1 offset:1152
	s_cmp_le_i32 s31, s8
	s_cbranch_scc1 .LBB79_32
; %bb.30:
	s_mul_i32 s9, s8, 0x60
	s_lshl_b32 s12, s30, 3
	s_add_i32 s9, s9, s12
	s_mul_i32 s12, s30, 0x60
	v_lshl_add_u32 v4, v0, 3, s12
	s_add_i32 s9, s9, -8
	v_add_u32_e32 v4, 0x420, v4
	s_mov_b32 s12, s31
.LBB79_31:                              ; =>This Inner Loop Header: Depth=1
	v_mov_b32_e32 v5, s9
	ds_read_b64 v[6:7], v4
	ds_read_b64 v[8:9], v5
	s_add_i32 s12, s12, -1
	s_add_i32 s9, s9, -8
	v_add_u32_e32 v4, 0xffffffa0, v4
	s_cmp_gt_i32 s12, s8
	s_waitcnt lgkmcnt(0)
	v_fma_f64 v[2:3], -v[6:7], v[8:9], v[2:3]
	s_cbranch_scc1 .LBB79_31
.LBB79_32:
	s_mul_i32 s9, s8, 0x68
	v_mov_b32_e32 v4, s9
	ds_read_b64 v[4:5], v4
	v_add_u32_e32 v1, 0x480, v1
	s_add_i32 s9, s8, -1
	s_waitcnt lgkmcnt(0)
	v_mul_f64 v[2:3], v[2:3], v[4:5]
	ds_write_b64 v1, v[2:3]
.LBB79_33:
	s_cmp_eq_u32 s8, 0
	s_cbranch_scc1 .LBB79_40
; %bb.34:
	s_mul_i32 s8, s9, 0x60
	s_lshl_b32 s12, s30, 3
	s_mul_i32 s13, s30, 0x60
	s_add_i32 s12, s8, s12
	v_lshl_add_u32 v1, v0, 3, s13
	s_add_i32 s8, s12, -8
	v_add_u32_e32 v1, 0x420, v1
	s_addk_i32 s12, 0xff98
	s_branch .LBB79_36
.LBB79_35:                              ;   in Loop: Header=BB79_36 Depth=1
	s_addk_i32 s13, 0xff98
	v_mov_b32_e32 v3, s13
	v_add_u32_e32 v2, 0x480, v6
	ds_read_b64 v[6:7], v3
	s_add_i32 s13, s9, -2
	s_addk_i32 s8, 0xff40
	s_addk_i32 s12, 0xff40
	s_cmp_lt_i32 s9, 2
	s_waitcnt lgkmcnt(0)
	v_mul_f64 v[4:5], v[4:5], v[6:7]
	s_mov_b32 s9, s13
	ds_write_b64 v2, v[4:5]
	s_cbranch_scc1 .LBB79_40
.LBB79_36:                              ; =>This Loop Header: Depth=1
                                        ;     Child Loop BB79_37 Depth 2
                                        ;     Child Loop BB79_39 Depth 2
	s_mul_i32 s16, s9, 12
	v_add_lshl_u32 v4, s16, v0, 3
	ds_read_b64 v[2:3], v4 offset:1152
	s_cmp_le_i32 s31, s9
	v_mov_b32_e32 v5, v1
	s_mov_b32 s13, s8
	s_mov_b32 s17, s31
	s_cbranch_scc1 .LBB79_38
.LBB79_37:                              ;   Parent Loop BB79_36 Depth=1
                                        ; =>  This Inner Loop Header: Depth=2
	v_mov_b32_e32 v8, s13
	ds_read_b64 v[6:7], v5
	ds_read_b64 v[8:9], v8
	s_add_i32 s17, s17, -1
	s_add_i32 s13, s13, -8
	v_add_u32_e32 v5, 0xffffffa0, v5
	s_cmp_gt_i32 s17, s9
	s_waitcnt lgkmcnt(0)
	v_fma_f64 v[2:3], -v[6:7], v[8:9], v[2:3]
	s_cbranch_scc1 .LBB79_37
.LBB79_38:                              ;   in Loop: Header=BB79_36 Depth=1
	s_mul_i32 s13, s9, 0x68
	v_add_u32_e32 v7, 0x480, v4
	v_mov_b32_e32 v4, s13
	ds_read_b64 v[8:9], v4
	s_add_i32 s16, s16, -12
	v_add_lshl_u32 v6, s16, v0, 3
	ds_read_b64 v[4:5], v6 offset:1152
	s_cmp_lt_i32 s31, s9
	s_waitcnt lgkmcnt(1)
	v_mul_f64 v[2:3], v[2:3], v[8:9]
	ds_write_b64 v7, v[2:3]
	v_mov_b32_e32 v2, v1
	s_mov_b32 s16, s12
	s_mov_b32 s17, s30
	s_cbranch_scc1 .LBB79_35
.LBB79_39:                              ;   Parent Loop BB79_36 Depth=1
                                        ; =>  This Inner Loop Header: Depth=2
	v_mov_b32_e32 v3, s16
	ds_read_b64 v[8:9], v2
	ds_read_b64 v[10:11], v3
	s_add_i32 s17, s17, -1
	s_add_i32 s16, s16, -8
	v_add_u32_e32 v2, 0xffffffa0, v2
	s_cmp_gt_i32 s17, s9
	s_waitcnt lgkmcnt(0)
	v_fma_f64 v[4:5], -v[8:9], v[10:11], v[4:5]
	s_cbranch_scc1 .LBB79_39
	s_branch .LBB79_35
.LBB79_40:
	s_mov_b64 s[8:9], 0
.LBB79_41:
	s_and_b64 vcc, exec, s[8:9]
	s_cbranch_vccz .LBB79_66
; %bb.42:
	s_cmp_gt_i32 s10, 11
	s_cselect_b64 s[8:9], -1, 0
	s_and_b64 vcc, exec, s[8:9]
	s_cbranch_vccz .LBB79_44
; %bb.43:
	v_lshlrev_b32_e32 v60, 3, v0
	ds_read2_b64 v[22:25], v60 offset0:144 offset1:156
	ds_read2_b64 v[14:17], v60 offset0:168 offset1:180
	;; [unrolled: 1-line block ×3, first 2 shown]
	v_mov_b32_e32 v1, 0
	ds_read_b128 v[26:29], v1
	ds_read2_b64 v[6:9], v60 offset0:216 offset1:228
	ds_read2_b64 v[2:5], v60 offset0:240 offset1:252
	ds_read_b128 v[18:21], v1 offset:16
	ds_read2_b64 v[30:33], v1 offset0:13 offset1:14
	s_waitcnt lgkmcnt(4)
	v_mul_f64 v[22:23], v[22:23], v[26:27]
	v_fma_f64 v[24:25], -v[22:23], v[28:29], v[24:25]
	ds_read2_b64 v[26:29], v1 offset0:15 offset1:16
	ds_read_b128 v[34:37], v1 offset:208
	s_waitcnt lgkmcnt(3)
	v_fma_f64 v[14:15], -v[22:23], v[18:19], v[14:15]
	s_waitcnt lgkmcnt(2)
	v_mul_f64 v[24:25], v[24:25], v[30:31]
	v_fma_f64 v[14:15], -v[24:25], v[32:33], v[14:15]
	v_fma_f64 v[18:19], -v[22:23], v[20:21], v[16:17]
	s_waitcnt lgkmcnt(0)
	v_mul_f64 v[54:55], v[14:15], v[34:35]
	v_fma_f64 v[18:19], -v[24:25], v[26:27], v[18:19]
	ds_read2_b64 v[30:33], v1 offset0:21 offset1:22
	ds_read2_b64 v[14:17], v1 offset0:39 offset1:40
	v_fma_f64 v[26:27], -v[54:55], v[36:37], v[18:19]
	ds_read_b128 v[18:21], v1 offset:32
	ds_read2_b64 v[34:37], v1 offset0:41 offset1:42
	ds_read_b128 v[38:41], v1 offset:48
	ds_read_b128 v[42:45], v1 offset:224
	s_mov_b32 s12, 12
	s_waitcnt lgkmcnt(4)
	v_mul_f64 v[56:57], v[26:27], v[14:15]
	s_waitcnt lgkmcnt(3)
	v_fma_f64 v[10:11], -v[22:23], v[18:19], v[10:11]
	v_fma_f64 v[10:11], -v[24:25], v[28:29], v[10:11]
	ds_read_b128 v[26:29], v1 offset:240
	ds_read_b128 v[46:49], v1 offset:416
	ds_read2_b64 v[50:53], v1 offset0:17 offset1:18
	s_waitcnt lgkmcnt(3)
	v_fma_f64 v[10:11], -v[54:55], v[42:43], v[10:11]
	v_fma_f64 v[10:11], -v[56:57], v[16:17], v[10:11]
	ds_read_b128 v[14:17], v1 offset:432
	s_waitcnt lgkmcnt(2)
	v_mul_f64 v[58:59], v[10:11], v[46:47]
	v_fma_f64 v[10:11], -v[22:23], v[20:21], v[12:13]
	s_waitcnt lgkmcnt(1)
	v_fma_f64 v[18:19], -v[24:25], v[50:51], v[10:11]
	ds_read2_b64 v[10:13], v1 offset0:65 offset1:66
	v_fma_f64 v[42:43], -v[54:55], v[44:45], v[18:19]
	v_fma_f64 v[34:35], -v[56:57], v[34:35], v[42:43]
	ds_read2_b64 v[42:45], v1 offset0:67 offset1:68
	v_fma_f64 v[6:7], -v[22:23], v[38:39], v[6:7]
	v_fma_f64 v[34:35], -v[58:59], v[48:49], v[34:35]
	v_fma_f64 v[6:7], -v[24:25], v[52:53], v[6:7]
	ds_read_b128 v[46:49], v1 offset:624
	ds_read2_b64 v[18:21], v1 offset0:19 offset1:20
	v_fma_f64 v[6:7], -v[54:55], v[26:27], v[6:7]
	v_fma_f64 v[6:7], -v[56:57], v[36:37], v[6:7]
	s_waitcnt lgkmcnt(3)
	v_mul_f64 v[50:51], v[34:35], v[10:11]
	ds_read2_b64 v[34:37], v1 offset0:43 offset1:44
	v_fma_f64 v[6:7], -v[58:59], v[14:15], v[6:7]
	v_fma_f64 v[6:7], -v[50:51], v[12:13], v[6:7]
	s_waitcnt lgkmcnt(2)
	v_mul_f64 v[46:47], v[6:7], v[46:47]
	v_fma_f64 v[6:7], -v[22:23], v[40:41], v[8:9]
	s_waitcnt lgkmcnt(1)
	v_fma_f64 v[6:7], -v[24:25], v[18:19], v[6:7]
	v_fma_f64 v[14:15], -v[54:55], v[28:29], v[6:7]
	s_waitcnt lgkmcnt(0)
	v_fma_f64 v[14:15], -v[56:57], v[34:35], v[14:15]
	v_fma_f64 v[18:19], -v[58:59], v[16:17], v[14:15]
	ds_read_b128 v[14:17], v1 offset:64
	ds_read_b128 v[38:41], v1 offset:80
	ds_read2_b64 v[6:9], v1 offset0:45 offset1:46
	ds_read_b128 v[26:29], v1 offset:256
	v_fma_f64 v[18:19], -v[50:51], v[42:43], v[18:19]
	s_waitcnt lgkmcnt(3)
	v_fma_f64 v[2:3], -v[22:23], v[14:15], v[2:3]
	ds_read2_b64 v[10:13], v1 offset0:69 offset1:70
	v_fma_f64 v[42:43], -v[46:47], v[48:49], v[18:19]
	v_fma_f64 v[2:3], -v[24:25], v[20:21], v[2:3]
	ds_read_b128 v[18:21], v1 offset:448
	s_waitcnt lgkmcnt(2)
	v_fma_f64 v[2:3], -v[54:55], v[26:27], v[2:3]
	v_fma_f64 v[26:27], -v[56:57], v[36:37], v[2:3]
	v_fma_f64 v[48:49], -v[22:23], v[16:17], v[4:5]
	ds_read2_b64 v[2:5], v1 offset0:91 offset1:92
	ds_read_b128 v[14:17], v1 offset:640
	s_waitcnt lgkmcnt(2)
	v_fma_f64 v[18:19], -v[58:59], v[18:19], v[26:27]
	v_fma_f64 v[18:19], -v[50:51], v[44:45], v[18:19]
	ds_read_b128 v[34:37], v1 offset:272
	s_waitcnt lgkmcnt(2)
	v_mul_f64 v[42:43], v[42:43], v[2:3]
	s_waitcnt lgkmcnt(1)
	v_fma_f64 v[2:3], -v[46:47], v[14:15], v[18:19]
	v_fma_f64 v[14:15], -v[24:25], v[30:31], v[48:49]
	;; [unrolled: 1-line block ×5, first 2 shown]
	ds_read2_b64 v[2:5], v1 offset0:93 offset1:94
	v_add_u32_e32 v52, 0x800, v60
	v_fma_f64 v[6:7], -v[58:59], v[20:21], v[6:7]
	ds_read_b128 v[18:21], v1 offset:832
	ds_read2_b64 v[26:29], v52 offset0:8 offset1:20
	v_fma_f64 v[6:7], -v[50:51], v[10:11], v[6:7]
	v_fma_f64 v[6:7], -v[46:47], v[16:17], v[6:7]
	s_waitcnt lgkmcnt(2)
	v_fma_f64 v[2:3], -v[42:43], v[2:3], v[6:7]
	ds_read_b128 v[14:17], v1 offset:464
	s_waitcnt lgkmcnt(1)
	v_fma_f64 v[6:7], -v[22:23], v[38:39], v[26:27]
	v_fma_f64 v[6:7], -v[24:25], v[32:33], v[6:7]
	;; [unrolled: 1-line block ×4, first 2 shown]
	ds_read2_b64 v[6:9], v1 offset0:117 offset1:118
	v_mul_f64 v[44:45], v[44:45], v[18:19]
	v_fma_f64 v[2:3], -v[44:45], v[20:21], v[2:3]
	ds_read_b128 v[18:21], v1 offset:656
	ds_write2_b64 v60, v[22:23], v[24:25] offset0:144 offset1:156
	ds_write2_b64 v60, v[54:55], v[56:57] offset0:168 offset1:180
	;; [unrolled: 1-line block ×4, first 2 shown]
	s_waitcnt lgkmcnt(5)
	v_mul_f64 v[26:27], v[2:3], v[6:7]
	ds_read_b128 v[30:33], v1 offset:848
	v_fma_f64 v[2:3], -v[58:59], v[14:15], v[10:11]
	v_fma_f64 v[2:3], -v[50:51], v[12:13], v[2:3]
	ds_read_b128 v[10:13], v1 offset:1040
	s_waitcnt lgkmcnt(6)
	v_fma_f64 v[2:3], -v[46:47], v[18:19], v[2:3]
	v_fma_f64 v[6:7], -v[42:43], v[4:5], v[2:3]
	ds_read2_b64 v[2:5], v1 offset0:23 offset1:47
	s_waitcnt lgkmcnt(2)
	v_fma_f64 v[6:7], -v[44:45], v[30:31], v[6:7]
	v_fma_f64 v[6:7], -v[26:27], v[8:9], v[6:7]
	s_waitcnt lgkmcnt(1)
	v_mul_f64 v[10:11], v[6:7], v[10:11]
	v_fma_f64 v[6:7], -v[22:23], v[40:41], v[28:29]
	s_waitcnt lgkmcnt(0)
	v_fma_f64 v[2:3], -v[24:25], v[2:3], v[6:7]
	ds_read2_b64 v[6:9], v1 offset0:71 offset1:95
	v_fma_f64 v[2:3], -v[54:55], v[36:37], v[2:3]
	v_fma_f64 v[2:3], -v[56:57], v[4:5], v[2:3]
	v_fma_f64 v[14:15], -v[58:59], v[16:17], v[2:3]
	ds_read2_b64 v[2:5], v1 offset0:119 offset1:143
	s_waitcnt lgkmcnt(1)
	v_fma_f64 v[6:7], -v[50:51], v[6:7], v[14:15]
	v_fma_f64 v[6:7], -v[46:47], v[20:21], v[6:7]
	;; [unrolled: 1-line block ×4, first 2 shown]
	s_waitcnt lgkmcnt(0)
	v_fma_f64 v[2:3], -v[26:27], v[2:3], v[6:7]
	v_fma_f64 v[2:3], -v[10:11], v[12:13], v[2:3]
	v_mul_f64 v[2:3], v[2:3], v[4:5]
	ds_write2_b64 v60, v[44:45], v[26:27] offset0:240 offset1:252
	ds_write2_b64 v52, v[10:11], v[2:3] offset0:8 offset1:20
	s_cmp_lt_i32 s12, s30
	s_cbranch_scc1 .LBB79_45
	s_branch .LBB79_66
.LBB79_44:
	s_mov_b32 s12, 0
	s_cmp_lt_i32 s12, s30
	s_cbranch_scc0 .LBB79_66
.LBB79_45:
	s_add_i32 s13, s12, 7
	s_cmp_ge_u32 s13, s30
	s_cbranch_scc1 .LBB79_55
; %bb.46:
	s_mul_i32 s13, s12, 12
	v_add_lshl_u32 v1, s13, v0, 3
	ds_read2_b64 v[14:17], v1 offset0:144 offset1:156
	ds_read2_b64 v[10:13], v1 offset0:168 offset1:180
	;; [unrolled: 1-line block ×4, first 2 shown]
	s_andn2_b64 vcc, exec, s[8:9]
	s_cbranch_vccnz .LBB79_54
; %bb.47:
	s_max_u32 s8, s12, 1
	s_cmp_eq_u32 s8, 1
	s_cbranch_scc1 .LBB79_51
; %bb.48:
	v_mov_b32_e32 v18, 0x480
	s_and_b32 s9, s8, 12
	s_lshl_b32 s16, s12, 3
	v_lshl_or_b32 v18, v0, 3, v18
	s_mov_b32 s17, 0
.LBB79_49:                              ; =>This Inner Loop Header: Depth=1
	ds_read2_b64 v[20:23], v18 offset1:12
	v_mov_b32_e32 v19, s16
	ds_read_b128 v[24:27], v19
	ds_read_b128 v[28:31], v19 offset:16
	ds_read_b128 v[32:35], v19 offset:32
	;; [unrolled: 1-line block ×7, first 2 shown]
	s_add_i32 s17, s17, 2
	s_addk_i32 s16, 0xc0
	s_waitcnt lgkmcnt(7)
	v_fma_f64 v[14:15], -v[20:21], v[24:25], v[14:15]
	v_fma_f64 v[16:17], -v[20:21], v[26:27], v[16:17]
	s_waitcnt lgkmcnt(6)
	v_fma_f64 v[10:11], -v[20:21], v[28:29], v[10:11]
	v_fma_f64 v[12:13], -v[20:21], v[30:31], v[12:13]
	;; [unrolled: 3-line block ×4, first 2 shown]
	v_add_u32_e32 v18, 0xc0, v18
	s_cmp_lg_u32 s9, s17
	s_waitcnt lgkmcnt(3)
	v_fma_f64 v[14:15], -v[22:23], v[40:41], v[14:15]
	v_fma_f64 v[16:17], -v[22:23], v[42:43], v[16:17]
	s_waitcnt lgkmcnt(2)
	v_fma_f64 v[10:11], -v[22:23], v[44:45], v[10:11]
	v_fma_f64 v[12:13], -v[22:23], v[46:47], v[12:13]
	;; [unrolled: 3-line block ×4, first 2 shown]
	s_cbranch_scc1 .LBB79_49
; %bb.50:
	s_mul_i32 s9, s9, 12
	s_branch .LBB79_52
.LBB79_51:
	s_mov_b32 s9, 0
.LBB79_52:
	s_bitcmp0_b32 s8, 0
	s_cbranch_scc1 .LBB79_54
; %bb.53:
	s_add_i32 s8, s9, s12
	s_lshl_b32 s8, s8, 3
	v_add_lshl_u32 v18, s9, v0, 3
	v_mov_b32_e32 v30, s8
	ds_read_b64 v[34:35], v18 offset:1152
	ds_read_b128 v[18:21], v30
	ds_read_b128 v[22:25], v30 offset:16
	ds_read_b128 v[26:29], v30 offset:32
	;; [unrolled: 1-line block ×3, first 2 shown]
	s_waitcnt lgkmcnt(3)
	v_fma_f64 v[14:15], -v[34:35], v[18:19], v[14:15]
	v_fma_f64 v[16:17], -v[34:35], v[20:21], v[16:17]
	s_waitcnt lgkmcnt(2)
	v_fma_f64 v[10:11], -v[34:35], v[22:23], v[10:11]
	v_fma_f64 v[12:13], -v[34:35], v[24:25], v[12:13]
	;; [unrolled: 3-line block ×4, first 2 shown]
.LBB79_54:
	s_mul_i32 s8, s12, 0x68
	v_mov_b32_e32 v46, s8
	ds_read_b128 v[18:21], v46
	ds_read_b128 v[22:25], v46 offset:16
	ds_read2_b64 v[26:29], v46 offset0:13 offset1:14
	v_add_u32_e32 v1, 0x480, v1
	s_add_i32 s8, s13, 12
	s_add_i32 s9, s13, 24
	s_waitcnt lgkmcnt(2)
	v_mul_f64 v[14:15], v[14:15], v[18:19]
	ds_write_b64 v1, v[14:15]
	v_fma_f64 v[20:21], -v[14:15], v[20:21], v[16:17]
	ds_read_b128 v[16:19], v46 offset:208
	v_add_lshl_u32 v1, s8, v0, 3
	s_add_i32 s8, s12, s8
	s_waitcnt lgkmcnt(2)
	v_mul_f64 v[40:41], v[20:21], v[26:27]
	s_lshl_b32 s8, s8, 3
	ds_write_b64 v1, v[40:41] offset:1152
	v_mov_b32_e32 v1, s8
	v_fma_f64 v[10:11], -v[14:15], v[22:23], v[10:11]
	ds_read2_b64 v[20:23], v1 offset0:3 offset1:4
	v_fma_f64 v[10:11], -v[40:41], v[28:29], v[10:11]
	ds_read_b128 v[28:31], v46 offset:32
	s_waitcnt lgkmcnt(3)
	v_mul_f64 v[42:43], v[10:11], v[16:17]
	v_fma_f64 v[16:17], -v[14:15], v[24:25], v[12:13]
	ds_read2_b64 v[24:27], v46 offset0:39 offset1:40
	s_waitcnt lgkmcnt(2)
	v_fma_f64 v[16:17], -v[40:41], v[20:21], v[16:17]
	v_add_lshl_u32 v10, s9, v0, 3
	s_add_i32 s8, s12, s9
	v_fma_f64 v[20:21], -v[42:43], v[18:19], v[16:17]
	ds_read_b128 v[16:19], v46 offset:416
	s_add_i32 s9, s13, 36
	s_lshl_b32 s8, s8, 3
	s_waitcnt lgkmcnt(1)
	v_mul_f64 v[44:45], v[20:21], v[24:25]
	v_add_lshl_u32 v20, s9, v0, 3
	ds_write_b64 v10, v[42:43] offset:1152
	ds_write_b64 v20, v[44:45] offset:1152
	v_mov_b32_e32 v20, s8
	ds_read2_b64 v[10:13], v46 offset0:65 offset1:66
	ds_read_b128 v[32:35], v20 offset:32
	ds_read_b128 v[36:39], v46 offset:48
	v_fma_f64 v[6:7], -v[14:15], v[28:29], v[6:7]
	v_fma_f64 v[6:7], -v[40:41], v[22:23], v[6:7]
	ds_read_b128 v[20:23], v20 offset:48
	s_waitcnt lgkmcnt(2)
	v_fma_f64 v[6:7], -v[42:43], v[32:33], v[6:7]
	s_add_i32 s8, s12, s9
	v_fma_f64 v[6:7], -v[44:45], v[26:27], v[6:7]
	ds_read2_b64 v[24:27], v1 offset0:5 offset1:6
	s_add_i32 s9, s13, 48
	s_lshl_b32 s8, s8, 3
	v_mul_f64 v[28:29], v[6:7], v[16:17]
	v_add_lshl_u32 v6, s9, v0, 3
	ds_write_b64 v6, v[28:29] offset:1152
	v_mov_b32_e32 v32, s8
	v_fma_f64 v[16:17], -v[14:15], v[30:31], v[8:9]
	ds_read2_b64 v[6:9], v32 offset0:5 offset1:6
	ds_read_b64 v[30:31], v1 offset:56
	s_waitcnt lgkmcnt(3)
	v_fma_f64 v[16:17], -v[40:41], v[24:25], v[16:17]
	v_fma_f64 v[16:17], -v[42:43], v[34:35], v[16:17]
	s_add_i32 s8, s12, s9
	s_waitcnt lgkmcnt(1)
	v_fma_f64 v[6:7], -v[44:45], v[6:7], v[16:17]
	v_fma_f64 v[6:7], -v[28:29], v[18:19], v[6:7]
	s_add_i32 s9, s13, 60
	v_fma_f64 v[2:3], -v[14:15], v[36:37], v[2:3]
	s_lshl_b32 s8, s8, 3
	v_mul_f64 v[10:11], v[6:7], v[10:11]
	v_add_lshl_u32 v1, s9, v0, 3
	v_fma_f64 v[2:3], -v[40:41], v[26:27], v[2:3]
	ds_write_b64 v1, v[10:11] offset:1152
	v_fma_f64 v[2:3], -v[42:43], v[20:21], v[2:3]
	v_mov_b32_e32 v1, s8
	ds_read_b64 v[24:25], v32 offset:56
	v_fma_f64 v[2:3], -v[44:45], v[8:9], v[2:3]
	ds_read_b128 v[6:9], v1 offset:48
	s_add_i32 s8, s12, s9
	s_lshl_b32 s8, s8, 3
	s_addk_i32 s13, 0x48
	v_mov_b32_e32 v1, s8
	s_add_i32 s8, s12, s13
	s_lshl_b32 s8, s8, 3
	ds_read2_b64 v[16:19], v46 offset0:78 offset1:91
	ds_read_b64 v[20:21], v1 offset:56
	s_waitcnt lgkmcnt(2)
	v_fma_f64 v[2:3], -v[28:29], v[6:7], v[2:3]
	v_fma_f64 v[4:5], -v[14:15], v[38:39], v[4:5]
	v_mov_b32_e32 v6, s8
	ds_read_b64 v[6:7], v6 offset:56
	v_fma_f64 v[4:5], -v[40:41], v[30:31], v[4:5]
	v_fma_f64 v[4:5], -v[42:43], v[22:23], v[4:5]
	;; [unrolled: 1-line block ×5, first 2 shown]
	s_waitcnt lgkmcnt(2)
	v_mul_f64 v[2:3], v[2:3], v[16:17]
	s_waitcnt lgkmcnt(1)
	v_fma_f64 v[4:5], -v[10:11], v[20:21], v[4:5]
	s_waitcnt lgkmcnt(0)
	v_fma_f64 v[4:5], -v[2:3], v[6:7], v[4:5]
	v_add_lshl_u32 v1, s13, v0, 3
	v_mul_f64 v[4:5], v[4:5], v[18:19]
	s_add_i32 s12, s12, 8
	ds_write2_b64 v1, v[2:3], v[4:5] offset0:144 offset1:156
.LBB79_55:
	s_cmp_ge_i32 s12, s30
	s_cbranch_scc1 .LBB79_66
; %bb.56:
	v_mov_b32_e32 v1, 0x480
	s_add_i32 s8, s12, -1
	s_lshl_b32 s9, s12, 3
	v_lshl_or_b32 v1, v0, 3, v1
	s_mov_b32 s13, 0
	s_mov_b32 s16, s12
	s_branch .LBB79_58
.LBB79_57:                              ;   in Loop: Header=BB79_58 Depth=1
	s_mul_i32 s17, s12, 0x68
	v_mov_b32_e32 v5, s17
	ds_read_b64 v[6:7], v5
	s_add_i32 s12, s12, 1
	s_add_i32 s13, s13, 1
	;; [unrolled: 1-line block ×3, first 2 shown]
	v_add_u16_e64 v5, s16, 1
	v_add_u32_e32 v4, 0x480, v4
	s_waitcnt lgkmcnt(0)
	v_mul_f64 v[2:3], v[2:3], v[6:7]
	s_cmp_ge_i32 s12, s30
	v_readfirstlane_b32 s16, v5
	ds_write_b64 v4, v[2:3]
	s_cbranch_scc1 .LBB79_66
.LBB79_58:                              ; =>This Loop Header: Depth=1
                                        ;     Child Loop BB79_61 Depth 2
                                        ;     Child Loop BB79_65 Depth 2
	s_mul_i32 s17, s12, 12
	v_add_lshl_u32 v4, s17, v0, 3
	ds_read_b64 v[2:3], v4 offset:1152
	s_cmp_eq_u32 s12, 0
	s_cbranch_scc1 .LBB79_57
; %bb.59:                               ;   in Loop: Header=BB79_58 Depth=1
	s_add_i32 s17, s8, s13
	s_cmp_lt_u32 s17, 7
	s_cbranch_scc1 .LBB79_63
; %bb.60:                               ;   in Loop: Header=BB79_58 Depth=1
	s_and_b32 s17, s12, -8
	s_mov_b32 s18, 0
	v_mov_b32_e32 v5, v1
	s_mov_b32 s19, s9
.LBB79_61:                              ;   Parent Loop BB79_58 Depth=1
                                        ; =>  This Inner Loop Header: Depth=2
	ds_read2_b64 v[6:9], v5 offset1:12
	v_mov_b32_e32 v34, s19
	ds_read2_b64 v[10:13], v5 offset0:24 offset1:36
	ds_read2_b64 v[14:17], v5 offset0:48 offset1:60
	;; [unrolled: 1-line block ×3, first 2 shown]
	ds_read2_b64 v[22:25], v34 offset1:12
	ds_read2_b64 v[26:29], v34 offset0:24 offset1:36
	ds_read2_b64 v[30:33], v34 offset0:48 offset1:60
	;; [unrolled: 1-line block ×3, first 2 shown]
	s_add_i32 s18, s18, 8
	s_waitcnt lgkmcnt(3)
	v_fma_f64 v[2:3], -v[6:7], v[22:23], v[2:3]
	v_fma_f64 v[2:3], -v[8:9], v[24:25], v[2:3]
	s_waitcnt lgkmcnt(2)
	v_fma_f64 v[2:3], -v[10:11], v[26:27], v[2:3]
	v_fma_f64 v[2:3], -v[12:13], v[28:29], v[2:3]
	;; [unrolled: 3-line block ×3, first 2 shown]
	s_addk_i32 s19, 0x300
	s_waitcnt lgkmcnt(0)
	v_fma_f64 v[2:3], -v[18:19], v[34:35], v[2:3]
	v_add_u32_e32 v5, 0x300, v5
	s_cmp_lg_u32 s17, s18
	v_fma_f64 v[2:3], -v[20:21], v[36:37], v[2:3]
	s_cbranch_scc1 .LBB79_61
; %bb.62:                               ;   in Loop: Header=BB79_58 Depth=1
	s_and_b32 s18, s12, 7
	s_cmp_eq_u32 s18, 0
	s_cbranch_scc0 .LBB79_64
	s_branch .LBB79_57
.LBB79_63:                              ;   in Loop: Header=BB79_58 Depth=1
	s_mov_b32 s17, 0
	s_and_b32 s18, s12, 7
	s_cmp_eq_u32 s18, 0
	s_cbranch_scc1 .LBB79_57
.LBB79_64:                              ;   in Loop: Header=BB79_58 Depth=1
	s_and_b32 s18, s16, 7
	s_mulk_i32 s17, 0x60
.LBB79_65:                              ;   Parent Loop BB79_58 Depth=1
                                        ; =>  This Inner Loop Header: Depth=2
	v_add_u32_e32 v5, s17, v1
	s_add_i32 s19, s9, s17
	ds_read_b64 v[6:7], v5
	v_mov_b32_e32 v5, s19
	ds_read_b64 v[8:9], v5
	s_addk_i32 s17, 0x60
	s_add_i32 s18, s18, -1
	s_cmp_lg_u32 s18, 0
	s_waitcnt lgkmcnt(0)
	v_fma_f64 v[2:3], -v[6:7], v[8:9], v[2:3]
	s_cbranch_scc1 .LBB79_65
	s_branch .LBB79_57
.LBB79_66:
	s_waitcnt lgkmcnt(0)
	; wave barrier
	s_waitcnt lgkmcnt(0)
	s_and_saveexec_b64 s[8:9], s[14:15]
	s_cbranch_execz .LBB79_74
; %bb.67:
	s_cmp_lt_i32 s10, 8
	s_mov_b32 s9, 0
	s_cbranch_scc1 .LBB79_71
; %bb.68:
	v_mad_i64_i32 v[2:3], s[8:9], s20, v0, 0
	v_lshlrev_b64 v[2:3], 3, v[2:3]
	v_mov_b32_e32 v4, s22
	v_add_co_u32_e32 v1, vcc, s11, v2
	v_addc_co_u32_e32 v2, vcc, v4, v3, vcc
	v_mov_b32_e32 v3, 0x480
	s_lshl_b32 s8, s30, 3
	v_lshl_or_b32 v3, v0, 3, v3
	s_and_b32 s10, s8, 64
	s_mov_b64 s[8:9], 0
.LBB79_69:                              ; =>This Inner Loop Header: Depth=1
	ds_read2_b64 v[4:7], v3 offset1:12
	ds_read2_b64 v[8:11], v3 offset0:24 offset1:36
	ds_read2_b64 v[12:15], v3 offset0:48 offset1:60
	;; [unrolled: 1-line block ×3, first 2 shown]
	v_add_co_u32_e32 v20, vcc, s8, v1
	s_add_u32 s8, s8, 64
	v_mov_b32_e32 v21, s9
	s_addc_u32 s9, s9, 0
	v_add_u32_e32 v3, 0x300, v3
	v_addc_co_u32_e32 v21, vcc, v2, v21, vcc
	s_cmp_lg_u32 s10, s8
	s_waitcnt lgkmcnt(3)
	global_store_dwordx4 v[20:21], v[4:7], off
	s_waitcnt lgkmcnt(2)
	global_store_dwordx4 v[20:21], v[8:11], off offset:16
	s_waitcnt lgkmcnt(1)
	global_store_dwordx4 v[20:21], v[12:15], off offset:32
	;; [unrolled: 2-line block ×3, first 2 shown]
	s_cbranch_scc1 .LBB79_69
; %bb.70:
	s_mov_b32 s9, 8
.LBB79_71:
	s_and_b32 s8, s30, 7
	s_cmp_eq_u32 s8, 0
	s_cbranch_scc1 .LBB79_74
; %bb.72:
	s_lshl_b64 s[6:7], s[6:7], 3
	v_lshlrev_b32_e32 v1, 3, v0
	v_add_co_u32_e32 v1, vcc, s6, v1
	s_lshl_b32 s6, s9, 3
	s_add_u32 s2, s2, s6
	s_addc_u32 s3, s3, 0
	s_add_u32 s2, s2, s4
	s_addc_u32 s3, s3, s5
	s_add_u32 s0, s2, s0
	v_mov_b32_e32 v2, s7
	s_addc_u32 s1, s3, s1
	v_addc_co_u32_e32 v4, vcc, 0, v2, vcc
	v_pk_mov_b32 v[2:3], s[0:1], s[0:1] op_sel:[0,1]
	v_mad_u64_u32 v[2:3], s[0:1], v1, s20, v[2:3]
	s_mul_i32 s0, s9, 0x60
	v_mul_lo_u32 v1, v1, s21
	v_mul_lo_u32 v4, v4, s20
	v_lshl_add_u32 v0, v0, 3, s0
	v_add3_u32 v3, v4, v3, v1
	v_add_u32_e32 v0, 0x480, v0
.LBB79_73:                              ; =>This Inner Loop Header: Depth=1
	ds_read_b64 v[4:5], v0
	s_add_i32 s8, s8, -1
	v_add_u32_e32 v0, 0x60, v0
	s_cmp_lg_u32 s8, 0
	s_waitcnt lgkmcnt(0)
	global_store_dwordx2 v[2:3], v[4:5], off
	v_add_co_u32_e32 v2, vcc, 8, v2
	v_addc_co_u32_e32 v3, vcc, 0, v3, vcc
	s_cbranch_scc1 .LBB79_73
.LBB79_74:
	s_endpgm
	.section	.rodata,"a",@progbits
	.p2align	6, 0x0
	.amdhsa_kernel _ZL38rocblas_trsm_small_left_device_sharedBILi12ELi12ELb1EddPKdPdEv13rocblas_fill_18rocblas_operation_17rocblas_diagonal_iiT3_T4_lilT5_lili
		.amdhsa_group_segment_fixed_size 2304
		.amdhsa_private_segment_fixed_size 0
		.amdhsa_kernarg_size 360
		.amdhsa_user_sgpr_count 6
		.amdhsa_user_sgpr_private_segment_buffer 1
		.amdhsa_user_sgpr_dispatch_ptr 0
		.amdhsa_user_sgpr_queue_ptr 0
		.amdhsa_user_sgpr_kernarg_segment_ptr 1
		.amdhsa_user_sgpr_dispatch_id 0
		.amdhsa_user_sgpr_flat_scratch_init 0
		.amdhsa_user_sgpr_kernarg_preload_length 0
		.amdhsa_user_sgpr_kernarg_preload_offset 0
		.amdhsa_user_sgpr_private_segment_size 0
		.amdhsa_uses_dynamic_stack 0
		.amdhsa_system_sgpr_private_segment_wavefront_offset 0
		.amdhsa_system_sgpr_workgroup_id_x 1
		.amdhsa_system_sgpr_workgroup_id_y 0
		.amdhsa_system_sgpr_workgroup_id_z 1
		.amdhsa_system_sgpr_workgroup_info 0
		.amdhsa_system_vgpr_workitem_id 0
		.amdhsa_next_free_vgpr 61
		.amdhsa_next_free_sgpr 37
		.amdhsa_accum_offset 64
		.amdhsa_reserve_vcc 1
		.amdhsa_reserve_flat_scratch 0
		.amdhsa_float_round_mode_32 0
		.amdhsa_float_round_mode_16_64 0
		.amdhsa_float_denorm_mode_32 3
		.amdhsa_float_denorm_mode_16_64 3
		.amdhsa_dx10_clamp 1
		.amdhsa_ieee_mode 1
		.amdhsa_fp16_overflow 0
		.amdhsa_tg_split 0
		.amdhsa_exception_fp_ieee_invalid_op 0
		.amdhsa_exception_fp_denorm_src 0
		.amdhsa_exception_fp_ieee_div_zero 0
		.amdhsa_exception_fp_ieee_overflow 0
		.amdhsa_exception_fp_ieee_underflow 0
		.amdhsa_exception_fp_ieee_inexact 0
		.amdhsa_exception_int_div_zero 0
	.end_amdhsa_kernel
	.section	.text._ZL38rocblas_trsm_small_left_device_sharedBILi12ELi12ELb1EddPKdPdEv13rocblas_fill_18rocblas_operation_17rocblas_diagonal_iiT3_T4_lilT5_lili,"axG",@progbits,_ZL38rocblas_trsm_small_left_device_sharedBILi12ELi12ELb1EddPKdPdEv13rocblas_fill_18rocblas_operation_17rocblas_diagonal_iiT3_T4_lilT5_lili,comdat
.Lfunc_end79:
	.size	_ZL38rocblas_trsm_small_left_device_sharedBILi12ELi12ELb1EddPKdPdEv13rocblas_fill_18rocblas_operation_17rocblas_diagonal_iiT3_T4_lilT5_lili, .Lfunc_end79-_ZL38rocblas_trsm_small_left_device_sharedBILi12ELi12ELb1EddPKdPdEv13rocblas_fill_18rocblas_operation_17rocblas_diagonal_iiT3_T4_lilT5_lili
                                        ; -- End function
	.section	.AMDGPU.csdata,"",@progbits
; Kernel info:
; codeLenInByte = 8380
; NumSgprs: 41
; NumVgprs: 61
; NumAgprs: 0
; TotalNumVgprs: 61
; ScratchSize: 0
; MemoryBound: 0
; FloatMode: 240
; IeeeMode: 1
; LDSByteSize: 2304 bytes/workgroup (compile time only)
; SGPRBlocks: 5
; VGPRBlocks: 7
; NumSGPRsForWavesPerEU: 41
; NumVGPRsForWavesPerEU: 61
; AccumOffset: 64
; Occupancy: 7
; WaveLimiterHint : 0
; COMPUTE_PGM_RSRC2:SCRATCH_EN: 0
; COMPUTE_PGM_RSRC2:USER_SGPR: 6
; COMPUTE_PGM_RSRC2:TRAP_HANDLER: 0
; COMPUTE_PGM_RSRC2:TGID_X_EN: 1
; COMPUTE_PGM_RSRC2:TGID_Y_EN: 0
; COMPUTE_PGM_RSRC2:TGID_Z_EN: 1
; COMPUTE_PGM_RSRC2:TIDIG_COMP_CNT: 0
; COMPUTE_PGM_RSRC3_GFX90A:ACCUM_OFFSET: 15
; COMPUTE_PGM_RSRC3_GFX90A:TG_SPLIT: 0
	.section	.text._ZL30rocblas_trsm_small_left_deviceILi12ELi12ELb1EddPKdPdEv13rocblas_fill_18rocblas_operation_17rocblas_diagonal_iiT3_T4_lilT5_lili,"axG",@progbits,_ZL30rocblas_trsm_small_left_deviceILi12ELi12ELb1EddPKdPdEv13rocblas_fill_18rocblas_operation_17rocblas_diagonal_iiT3_T4_lilT5_lili,comdat
	.globl	_ZL30rocblas_trsm_small_left_deviceILi12ELi12ELb1EddPKdPdEv13rocblas_fill_18rocblas_operation_17rocblas_diagonal_iiT3_T4_lilT5_lili ; -- Begin function _ZL30rocblas_trsm_small_left_deviceILi12ELi12ELb1EddPKdPdEv13rocblas_fill_18rocblas_operation_17rocblas_diagonal_iiT3_T4_lilT5_lili
	.p2align	8
	.type	_ZL30rocblas_trsm_small_left_deviceILi12ELi12ELb1EddPKdPdEv13rocblas_fill_18rocblas_operation_17rocblas_diagonal_iiT3_T4_lilT5_lili,@function
_ZL30rocblas_trsm_small_left_deviceILi12ELi12ELb1EddPKdPdEv13rocblas_fill_18rocblas_operation_17rocblas_diagonal_iiT3_T4_lilT5_lili: ; @_ZL30rocblas_trsm_small_left_deviceILi12ELi12ELb1EddPKdPdEv13rocblas_fill_18rocblas_operation_17rocblas_diagonal_iiT3_T4_lilT5_lili
; %bb.0:
	s_load_dwordx4 s[12:15], s[4:5], 0x4
	s_load_dwordx4 s[0:3], s[4:5], 0x18
	s_load_dwordx2 s[24:25], s[4:5], 0x28
	s_load_dwordx4 s[8:11], s[4:5], 0x38
	s_load_dwordx2 s[20:21], s[4:5], 0x48
	s_waitcnt lgkmcnt(0)
	s_min_i32 s16, s14, 12
	s_mov_b32 s17, 0
	s_add_i32 s18, s16, -1
	v_cmp_gt_i32_e32 vcc, s16, v0
	s_and_saveexec_b64 s[22:23], vcc
	s_cbranch_execz .LBB80_10
; %bb.1:
	s_load_dword s26, s[4:5], 0x30
	s_mul_i32 s9, s7, s9
	s_mul_hi_u32 s19, s7, s8
	s_add_i32 s9, s19, s9
	s_mul_i32 s8, s7, s8
	s_waitcnt lgkmcnt(0)
	s_ashr_i32 s27, s26, 31
	s_cmp_lt_u32 s18, 3
	v_lshlrev_b32_e32 v1, 3, v0
	s_cbranch_scc1 .LBB80_4
; %bb.2:
	s_lshl_b64 s[28:29], s[8:9], 3
	s_add_u32 s17, s2, s28
	s_addc_u32 s19, s3, s29
	s_lshl_b64 s[28:29], s[24:25], 3
	s_add_u32 s17, s17, s28
	s_addc_u32 s19, s19, s29
	v_mov_b32_e32 v3, s19
	v_add_co_u32_e32 v2, vcc, s17, v1
	s_mul_hi_i32 s36, s26, 24
	s_lshl_b64 s[28:29], s[26:27], 5
	s_lshl_b64 s[30:31], s[26:27], 4
	s_lshl_b64 s[34:35], s[26:27], 3
	v_addc_co_u32_e32 v3, vcc, 0, v3, vcc
	s_and_b32 s17, s16, -4
	s_mul_i32 s19, s26, 24
	s_mov_b32 s33, 0
	v_mov_b32_e32 v4, s35
	v_mov_b32_e32 v5, s31
	;; [unrolled: 1-line block ×5, first 2 shown]
.LBB80_3:                               ; =>This Inner Loop Header: Depth=1
	v_add_co_u32_e32 v12, vcc, s34, v2
	v_addc_co_u32_e32 v13, vcc, v3, v4, vcc
	v_add_co_u32_e32 v14, vcc, s30, v2
	v_addc_co_u32_e32 v15, vcc, v3, v5, vcc
	v_add_co_u32_e32 v16, vcc, s19, v2
	global_load_dwordx2 v[10:11], v[2:3], off
	v_addc_co_u32_e32 v17, vcc, v3, v6, vcc
	global_load_dwordx2 v[18:19], v[12:13], off
	global_load_dwordx2 v[20:21], v[14:15], off
	global_load_dwordx2 v[22:23], v[16:17], off
	s_add_i32 s33, s33, 4
	v_add_co_u32_e32 v2, vcc, s28, v2
	v_addc_co_u32_e32 v3, vcc, v3, v7, vcc
	s_cmp_eq_u32 s17, s33
	s_waitcnt vmcnt(2)
	ds_write2_b64 v8, v[10:11], v[18:19] offset1:12
	s_waitcnt vmcnt(0)
	ds_write2_b64 v8, v[20:21], v[22:23] offset0:24 offset1:36
	v_add_u32_e32 v8, 0x180, v8
	s_cbranch_scc0 .LBB80_3
.LBB80_4:
	s_and_b32 s19, s16, 3
	s_cmp_eq_u32 s19, 0
	s_cbranch_scc1 .LBB80_7
; %bb.5:
	s_mul_i32 s28, s17, 0x60
	v_lshl_add_u32 v4, v0, 3, s28
	s_mul_i32 s28, s27, s17
	s_mul_hi_u32 s29, s26, s17
	s_add_i32 s29, s29, s28
	s_mul_i32 s28, s26, s17
	s_lshl_b64 s[8:9], s[8:9], 3
	s_lshl_b64 s[28:29], s[28:29], 3
	s_add_u32 s17, s8, s28
	s_addc_u32 s28, s9, s29
	s_lshl_b64 s[8:9], s[24:25], 3
	s_add_u32 s8, s17, s8
	s_addc_u32 s9, s28, s9
	s_add_u32 s2, s2, s8
	s_addc_u32 s3, s3, s9
	v_mov_b32_e32 v3, s3
	v_add_co_u32_e32 v2, vcc, s2, v1
	s_lshl_b64 s[2:3], s[26:27], 3
	v_addc_co_u32_e32 v3, vcc, 0, v3, vcc
	v_mov_b32_e32 v1, s3
.LBB80_6:                               ; =>This Inner Loop Header: Depth=1
	global_load_dwordx2 v[6:7], v[2:3], off
	v_add_co_u32_e32 v2, vcc, s2, v2
	s_add_i32 s19, s19, -1
	v_addc_co_u32_e32 v3, vcc, v3, v1, vcc
	s_cmp_lg_u32 s19, 0
	s_waitcnt vmcnt(0)
	ds_write_b64 v4, v[6:7]
	v_add_u32_e32 v4, 0x60, v4
	s_cbranch_scc1 .LBB80_6
.LBB80_7:
	v_mul_u32_u24_e32 v1, 13, v0
	v_mov_b32_e32 v2, 0
	s_cmpk_lg_i32 s13, 0x84
	v_lshlrev_b32_e32 v1, 3, v1
	v_mov_b32_e32 v3, 0x3ff00000
	s_cbranch_scc0 .LBB80_9
; %bb.8:
	ds_read_b64 v[2:3], v1
	s_waitcnt lgkmcnt(0)
	v_div_scale_f64 v[4:5], s[2:3], v[2:3], v[2:3], 1.0
	v_rcp_f64_e32 v[6:7], v[4:5]
	v_div_scale_f64 v[8:9], vcc, 1.0, v[2:3], 1.0
	v_fma_f64 v[10:11], -v[4:5], v[6:7], 1.0
	v_fmac_f64_e32 v[6:7], v[6:7], v[10:11]
	v_fma_f64 v[10:11], -v[4:5], v[6:7], 1.0
	v_fmac_f64_e32 v[6:7], v[6:7], v[10:11]
	v_mul_f64 v[10:11], v[8:9], v[6:7]
	v_fma_f64 v[4:5], -v[4:5], v[10:11], v[8:9]
	v_div_fmas_f64 v[4:5], v[4:5], v[6:7], v[10:11]
	v_div_fixup_f64 v[2:3], v[4:5], v[2:3], 1.0
.LBB80_9:
	ds_write_b64 v1, v[2:3]
.LBB80_10:
	s_or_b64 exec, exec, s[22:23]
	s_load_dword s2, s[4:5], 0x68
	s_mul_i32 s3, s6, -12
	s_add_i32 s3, s3, s15
	s_waitcnt lgkmcnt(0)
	; wave barrier
	s_waitcnt lgkmcnt(0)
	s_add_i32 s2, s2, -1
	s_cmp_ge_u32 s6, s2
	s_cselect_b32 s2, s3, 12
	v_cmp_gt_i32_e32 vcc, s2, v0
	s_and_saveexec_b64 s[2:3], vcc
	s_cbranch_execz .LBB80_57
; %bb.11:
	s_load_dwordx2 s[2:3], s[4:5], 0x58
	s_load_dword s8, s[4:5], 0x50
	s_waitcnt lgkmcnt(0)
	s_mul_i32 s3, s7, s3
	s_mul_hi_u32 s4, s7, s2
	s_mul_i32 s2, s7, s2
	s_add_i32 s3, s4, s3
	s_lshl_b64 s[2:3], s[2:3], 3
	s_add_u32 s7, s10, s2
	s_addc_u32 s9, s11, s3
	s_lshl_b64 s[4:5], s[20:21], 3
	s_add_u32 s13, s7, s4
	v_mad_u64_u32 v[0:1], s[6:7], s6, 12, v[0:1]
	v_mad_i64_i32 v[0:1], s[6:7], s8, v0, 0
	s_addc_u32 s9, s9, s5
	v_lshlrev_b64 v[28:29], 3, v[0:1]
	v_mov_b32_e32 v0, s9
	v_add_co_u32_e32 v26, vcc, s13, v28
	v_addc_co_u32_e32 v27, vcc, v0, v29, vcc
	s_cmpk_eq_i32 s12, 0x6f
	s_mov_b64 s[6:7], -1
	s_cbranch_scc1 .LBB80_34
; %bb.12:
	s_cmp_gt_i32 s14, 11
	s_cbranch_scc0 .LBB80_14
; %bb.13:
	s_ashr_i32 s19, s18, 31
	s_lshl_b64 s[6:7], s[18:19], 3
	v_mov_b32_e32 v0, s7
	v_add_co_u32_e32 v4, vcc, s6, v26
	v_addc_co_u32_e32 v5, vcc, v27, v0, vcc
	global_load_dwordx2 v[18:19], v[4:5], off
	s_mov_b32 s17, 0
	s_lshl_b64 s[6:7], s[16:17], 3
	v_mov_b32_e32 v0, s7
	v_add_co_u32_e32 v50, vcc, s6, v26
	v_addc_co_u32_e32 v51, vcc, v27, v0, vcc
	global_load_dwordx4 v[6:9], v[50:51], off offset:-32
	global_load_dwordx4 v[10:13], v[50:51], off offset:-48
	global_load_dwordx2 v[52:53], v[50:51], off offset:-16
	global_load_dwordx4 v[22:25], v[50:51], off offset:-64
	s_mul_i32 s6, s18, 0x68
	s_mul_i32 s7, s16, 12
	s_add_i32 s8, s6, 0xffffff98
	s_ashr_i32 s17, s16, 31
	s_add_i32 s7, s7, s18
	s_add_i32 s12, s6, 0xffffff30
	v_mov_b32_e32 v1, s8
	s_lshl_b64 s[8:9], s[16:17], 3
	s_lshl_b32 s7, s7, 3
	v_mov_b32_e32 v0, s6
	s_add_i32 s13, s6, 0xfffffec8
	s_add_i32 s15, s6, 0xfffffe60
	v_mov_b32_e32 v14, s12
	v_mov_b32_e32 v61, s9
	s_add_i32 s9, s7, 0xfffffee0
	s_add_i32 s12, s7, 0xfffffe78
	;; [unrolled: 1-line block ×3, first 2 shown]
	v_mov_b32_e32 v38, s13
	v_mov_b32_e32 v42, s15
	ds_read_b64 v[20:21], v0
	ds_read2_b64 v[30:33], v1 offset1:1
	v_mov_b32_e32 v15, s9
	v_mov_b32_e32 v16, s12
	;; [unrolled: 1-line block ×3, first 2 shown]
	global_load_dwordx4 v[0:3], v[50:51], off offset:-96
	ds_read_b64 v[54:55], v15
	ds_read2_b64 v[34:37], v14 offset1:1
	ds_read2_b64 v[14:17], v16 offset1:1
	;; [unrolled: 1-line block ×5, first 2 shown]
	s_add_i32 s13, s7, 0xfffffe20
	v_mov_b32_e32 v56, s13
	s_add_i32 s15, s7, 0xfffffe10
	v_mov_b32_e32 v62, s15
	;; [unrolled: 2-line block ×3, first 2 shown]
	s_add_i32 s19, s7, 0xfffffda8
	s_waitcnt vmcnt(5)
	v_mul_f64 v[18:19], v[18:19], s[0:1]
	s_waitcnt lgkmcnt(7)
	v_mul_f64 v[20:21], v[18:19], v[20:21]
	s_waitcnt lgkmcnt(5)
	v_mul_f64 v[18:19], v[20:21], v[54:55]
	ds_read_b64 v[54:55], v56
	s_waitcnt lgkmcnt(4)
	v_mul_f64 v[16:17], v[20:21], v[16:17]
	s_waitcnt vmcnt(4)
	v_fma_f64 v[56:57], v[8:9], s[0:1], -v[18:19]
	s_waitcnt lgkmcnt(1)
	v_mul_f64 v[18:19], v[20:21], v[48:49]
	global_load_dwordx4 v[48:51], v[50:51], off offset:-80
	v_fma_f64 v[58:59], v[6:7], s[0:1], -v[16:17]
	ds_read2_b64 v[6:9], v62 offset1:1
	global_store_dwordx2 v[4:5], v[20:21], off
	v_mul_f64 v[4:5], v[20:21], v[32:33]
	s_waitcnt vmcnt(4)
	v_fma_f64 v[4:5], v[52:53], s[0:1], -v[4:5]
	s_waitcnt lgkmcnt(1)
	v_mul_f64 v[16:17], v[20:21], v[54:55]
	v_fma_f64 v[10:11], v[10:11], s[0:1], -v[18:19]
	v_mov_b32_e32 v54, s19
	v_mul_f64 v[18:19], v[4:5], v[30:31]
	v_fma_f64 v[12:13], v[12:13], s[0:1], -v[16:17]
	ds_read2_b64 v[30:33], v54 offset1:1
	ds_read2_b64 v[52:55], v60 offset1:1
	v_fma_f64 v[4:5], -v[18:19], v[36:37], v[56:57]
	v_fma_f64 v[14:15], -v[18:19], v[14:15], v[58:59]
	s_waitcnt lgkmcnt(2)
	v_fma_f64 v[8:9], -v[18:19], v[8:9], v[12:13]
	v_fma_f64 v[12:13], -v[18:19], v[46:47], v[10:11]
	v_mul_f64 v[10:11], v[4:5], v[34:35]
	v_fma_f64 v[4:5], -v[10:11], v[40:41], v[14:15]
	v_fma_f64 v[6:7], -v[10:11], v[6:7], v[8:9]
	v_mul_f64 v[8:9], v[4:5], v[38:39]
	s_waitcnt lgkmcnt(1)
	v_fma_f64 v[12:13], -v[10:11], v[32:33], v[12:13]
	v_fma_f64 v[4:5], -v[8:9], v[44:45], v[6:7]
	v_add_co_u32_e32 v16, vcc, s8, v26
	v_fma_f64 v[12:13], -v[8:9], v[30:31], v[12:13]
	v_mul_f64 v[6:7], v[4:5], v[42:43]
	s_add_i32 s8, s7, 0xfffffd60
	s_waitcnt lgkmcnt(0)
	v_fma_f64 v[4:5], -v[6:7], v[54:55], v[12:13]
	v_mov_b32_e32 v12, s8
	ds_read_b64 v[30:31], v12
	s_add_i32 s8, s7, 0xfffffd58
	v_addc_co_u32_e32 v17, vcc, v27, v61, vcc
	v_mov_b32_e32 v12, s8
	s_add_i32 s8, s7, 0xfffffd48
	global_store_dwordx2 v[16:17], v[18:19], off offset:-16
	global_store_dwordx4 v[16:17], v[8:11], off offset:-32
	v_mov_b32_e32 v13, s8
	ds_read_b64 v[32:33], v12
	ds_read2_b64 v[12:15], v13 offset1:1
	s_waitcnt lgkmcnt(2)
	v_mul_f64 v[30:31], v[20:21], v[30:31]
	s_waitcnt vmcnt(5)
	v_fma_f64 v[24:25], v[24:25], s[0:1], -v[30:31]
	s_add_i32 s8, s7, 0xfffffd38
	s_waitcnt lgkmcnt(1)
	v_fma_f64 v[24:25], -v[18:19], v[32:33], v[24:25]
	s_waitcnt lgkmcnt(0)
	v_fma_f64 v[14:15], -v[10:11], v[14:15], v[24:25]
	v_mov_b32_e32 v24, s8
	ds_read2_b64 v[30:33], v24 offset1:1
	s_add_i32 s8, s6, 0xfffffd90
	v_mov_b32_e32 v24, s8
	ds_read_b64 v[24:25], v24
	s_add_i32 s8, s7, 0xfffffd00
	v_fma_f64 v[12:13], -v[8:9], v[12:13], v[14:15]
	v_mul_f64 v[4:5], v[4:5], v[52:53]
	v_mov_b32_e32 v34, s8
	s_waitcnt lgkmcnt(1)
	v_fma_f64 v[12:13], -v[6:7], v[32:33], v[12:13]
	ds_read_b64 v[34:35], v34
	v_fma_f64 v[12:13], -v[4:5], v[30:31], v[12:13]
	s_add_i32 s8, s7, 0xfffffcf0
	s_waitcnt lgkmcnt(1)
	v_mul_f64 v[14:15], v[12:13], v[24:25]
	v_mov_b32_e32 v24, s8
	ds_read2_b64 v[30:33], v24 offset1:1
	s_waitcnt lgkmcnt(1)
	v_mul_f64 v[12:13], v[20:21], v[34:35]
	s_add_i32 s8, s7, 0xfffffce0
	v_fma_f64 v[12:13], v[22:23], s[0:1], -v[12:13]
	v_mov_b32_e32 v22, s8
	ds_read2_b64 v[22:25], v22 offset1:1
	s_waitcnt lgkmcnt(1)
	v_fma_f64 v[12:13], -v[18:19], v[32:33], v[12:13]
	s_add_i32 s8, s7, 0xfffffcd0
	v_fma_f64 v[12:13], -v[10:11], v[30:31], v[12:13]
	v_mov_b32_e32 v30, s8
	ds_read2_b64 v[30:33], v30 offset1:1
	s_add_i32 s8, s6, 0xfffffd28
	s_waitcnt lgkmcnt(1)
	v_fma_f64 v[12:13], -v[8:9], v[24:25], v[12:13]
	v_mov_b32_e32 v34, s8
	v_fma_f64 v[12:13], -v[6:7], v[22:23], v[12:13]
	s_add_i32 s8, s7, 0xfffffca0
	s_waitcnt lgkmcnt(0)
	v_fma_f64 v[12:13], -v[4:5], v[32:33], v[12:13]
	v_mov_b32_e32 v22, s8
	v_fma_f64 v[12:13], -v[14:15], v[30:31], v[12:13]
	ds_read_b64 v[30:31], v22
	s_add_i32 s8, s7, 0xfffffc98
	v_mov_b32_e32 v22, s8
	s_add_i32 s8, s7, 0xfffffc88
	global_store_dwordx4 v[16:17], v[4:7], off offset:-48
	v_mov_b32_e32 v23, s8
	ds_read_b64 v[34:35], v34
	ds_read_b64 v[32:33], v22
	ds_read2_b64 v[22:25], v23 offset1:1
	s_waitcnt lgkmcnt(3)
	v_mul_f64 v[30:31], v[20:21], v[30:31]
	s_waitcnt vmcnt(4)
	v_fma_f64 v[30:31], v[50:51], s[0:1], -v[30:31]
	s_add_i32 s8, s7, 0xfffffc78
	s_waitcnt lgkmcnt(1)
	v_fma_f64 v[30:31], -v[18:19], v[32:33], v[30:31]
	s_waitcnt lgkmcnt(0)
	v_fma_f64 v[24:25], -v[10:11], v[24:25], v[30:31]
	v_mov_b32_e32 v30, s8
	ds_read2_b64 v[30:33], v30 offset1:1
	s_add_i32 s8, s7, 0xfffffc68
	v_mul_f64 v[12:13], v[12:13], v[34:35]
	v_fma_f64 v[34:35], -v[8:9], v[22:23], v[24:25]
	v_mov_b32_e32 v22, s8
	ds_read2_b64 v[22:25], v22 offset1:1
	s_add_i32 s8, s6, 0xfffffcc0
	s_waitcnt lgkmcnt(1)
	v_fma_f64 v[32:33], -v[6:7], v[32:33], v[34:35]
	v_mov_b32_e32 v34, s8
	s_add_i32 s8, s7, 0xfffffc40
	v_mov_b32_e32 v36, s8
	ds_read_b64 v[34:35], v34
	ds_read_b64 v[36:37], v36
	v_fma_f64 v[30:31], -v[4:5], v[30:31], v[32:33]
	s_add_i32 s8, s7, 0xfffffc30
	s_waitcnt lgkmcnt(2)
	v_fma_f64 v[24:25], -v[14:15], v[24:25], v[30:31]
	v_mov_b32_e32 v30, s8
	ds_read2_b64 v[30:33], v30 offset1:1
	v_fma_f64 v[22:23], -v[12:13], v[22:23], v[24:25]
	s_waitcnt lgkmcnt(2)
	v_mul_f64 v[24:25], v[22:23], v[34:35]
	s_waitcnt lgkmcnt(1)
	v_mul_f64 v[22:23], v[20:21], v[36:37]
	s_add_i32 s8, s7, 0xfffffc20
	v_fma_f64 v[22:23], v[48:49], s[0:1], -v[22:23]
	v_mov_b32_e32 v34, s8
	ds_read2_b64 v[34:37], v34 offset1:1
	s_waitcnt lgkmcnt(1)
	v_fma_f64 v[22:23], -v[18:19], v[32:33], v[22:23]
	s_add_i32 s8, s7, 0xfffffc10
	v_fma_f64 v[22:23], -v[10:11], v[30:31], v[22:23]
	v_mov_b32_e32 v30, s8
	ds_read2_b64 v[30:33], v30 offset1:1
	s_waitcnt lgkmcnt(1)
	v_fma_f64 v[22:23], -v[8:9], v[36:37], v[22:23]
	s_add_i32 s8, s7, 0xfffffc00
	v_fma_f64 v[22:23], -v[6:7], v[34:35], v[22:23]
	v_mov_b32_e32 v38, s8
	s_waitcnt lgkmcnt(0)
	v_fma_f64 v[22:23], -v[4:5], v[32:33], v[22:23]
	s_addk_i32 s6, 0xfc58
	ds_read2_b64 v[38:41], v38 offset1:1
	v_fma_f64 v[22:23], -v[14:15], v[30:31], v[22:23]
	v_mov_b32_e32 v30, s6
	s_add_i32 s6, s7, 0xfffffbe0
	v_mov_b32_e32 v32, s6
	ds_read_b64 v[32:33], v32
	ds_read_b64 v[30:31], v30
	s_waitcnt lgkmcnt(2)
	v_fma_f64 v[22:23], -v[12:13], v[40:41], v[22:23]
	v_fma_f64 v[22:23], -v[24:25], v[38:39], v[22:23]
	s_add_i32 s8, s7, 0xfffffbd8
	s_mul_i32 s6, s16, 0x68
	s_waitcnt lgkmcnt(0)
	v_mul_f64 v[22:23], v[22:23], v[30:31]
	v_mul_f64 v[30:31], v[20:21], v[32:33]
	v_mov_b32_e32 v32, s8
	ds_read_b64 v[34:35], v32
	s_add_i32 s8, s7, 0xfffffbc8
	v_fma_f64 v[2:3], v[2:3], s[0:1], -v[30:31]
	v_mov_b32_e32 v30, s8
	ds_read2_b64 v[30:33], v30 offset1:1
	s_add_i32 s8, s7, 0xfffffbb8
	s_waitcnt lgkmcnt(1)
	v_fma_f64 v[2:3], -v[18:19], v[34:35], v[2:3]
	v_mov_b32_e32 v34, s8
	ds_read2_b64 v[34:37], v34 offset1:1
	s_add_i32 s8, s7, 0xfffffba8
	v_mov_b32_e32 v38, s8
	ds_read2_b64 v[38:41], v38 offset1:1
	s_waitcnt lgkmcnt(2)
	v_fma_f64 v[2:3], -v[10:11], v[32:33], v[2:3]
	s_add_i32 s8, s7, 0xfffffb98
	v_fma_f64 v[2:3], -v[8:9], v[30:31], v[2:3]
	v_mov_b32_e32 v30, s8
	ds_read2_b64 v[30:33], v30 offset1:1
	s_waitcnt lgkmcnt(2)
	v_fma_f64 v[2:3], -v[6:7], v[36:37], v[2:3]
	s_add_i32 s8, s6, 0xfffffb88
	v_fma_f64 v[2:3], -v[4:5], v[34:35], v[2:3]
	v_mov_b32_e32 v34, s8
	s_add_i32 s8, s7, 0xfffffb78
	global_store_dwordx4 v[16:17], v[12:15], off offset:-64
	global_store_dwordx4 v[16:17], v[22:25], off offset:-80
	v_mov_b32_e32 v35, s8
	s_waitcnt lgkmcnt(1)
	v_fma_f64 v[2:3], -v[14:15], v[40:41], v[2:3]
	ds_read_b64 v[40:41], v34
	ds_read2_b64 v[34:37], v35 offset1:1
	v_fma_f64 v[2:3], -v[12:13], v[38:39], v[2:3]
	s_waitcnt lgkmcnt(2)
	v_fma_f64 v[2:3], -v[24:25], v[32:33], v[2:3]
	s_add_i32 s8, s7, 0xfffffb68
	v_fma_f64 v[2:3], -v[22:23], v[30:31], v[2:3]
	v_mov_b32_e32 v30, s8
	s_add_i32 s8, s7, 0xfffffb58
	ds_read2_b64 v[30:33], v30 offset1:1
	s_waitcnt lgkmcnt(1)
	v_mul_f64 v[20:21], v[20:21], v[36:37]
	v_mov_b32_e32 v36, s8
	ds_read2_b64 v[36:39], v36 offset1:1
	v_fma_f64 v[0:1], v[0:1], s[0:1], -v[20:21]
	v_fma_f64 v[0:1], -v[18:19], v[34:35], v[0:1]
	s_waitcnt lgkmcnt(1)
	v_fma_f64 v[0:1], -v[10:11], v[32:33], v[0:1]
	v_fma_f64 v[0:1], -v[8:9], v[30:31], v[0:1]
	s_waitcnt lgkmcnt(0)
	v_fma_f64 v[0:1], -v[6:7], v[38:39], v[0:1]
	s_add_i32 s8, s7, 0xfffffb48
	s_addk_i32 s7, 0xfb38
	v_fma_f64 v[0:1], -v[4:5], v[36:37], v[0:1]
	v_mov_b32_e32 v4, s8
	v_mov_b32_e32 v8, s7
	ds_read2_b64 v[4:7], v4 offset1:1
	ds_read2_b64 v[8:11], v8 offset1:1
	s_addk_i32 s6, 0xfb20
	v_mov_b32_e32 v18, s6
	ds_read2_b64 v[18:21], v18 offset1:1
	s_waitcnt lgkmcnt(2)
	v_fma_f64 v[0:1], -v[14:15], v[6:7], v[0:1]
	v_fma_f64 v[0:1], -v[12:13], v[4:5], v[0:1]
	s_waitcnt lgkmcnt(1)
	v_fma_f64 v[0:1], -v[24:25], v[10:11], v[0:1]
	v_mul_f64 v[2:3], v[2:3], v[40:41]
	v_fma_f64 v[0:1], -v[22:23], v[8:9], v[0:1]
	s_waitcnt lgkmcnt(0)
	v_fma_f64 v[0:1], -v[2:3], v[20:21], v[0:1]
	v_mul_f64 v[0:1], v[0:1], v[18:19]
	s_add_i32 s6, s16, -13
	global_store_dwordx4 v[16:17], v[0:3], off offset:-96
	s_cmp_gt_i32 s6, -1
	s_cbranch_scc1 .LBB80_15
	s_branch .LBB80_33
.LBB80_14:
	s_mov_b32 s6, s18
	s_cmp_gt_i32 s6, -1
	s_cbranch_scc0 .LBB80_33
.LBB80_15:
	s_cmp_lt_u32 s6, 7
	s_cbranch_scc1 .LBB80_20
; %bb.16:
	s_mov_b32 s7, 0
	s_lshl_b64 s[8:9], s[6:7], 3
	v_mov_b32_e32 v0, s9
	v_add_co_u32_e32 v8, vcc, s8, v26
	v_addc_co_u32_e32 v9, vcc, v27, v0, vcc
	global_load_dwordx4 v[0:3], v[8:9], off offset:-8
	global_load_dwordx4 v[4:7], v[8:9], off offset:-24
	;; [unrolled: 1-line block ×4, first 2 shown]
	s_cmp_le_i32 s18, s6
	s_waitcnt vmcnt(3)
	v_mul_f64 v[16:17], v[2:3], s[0:1]
	v_mul_f64 v[14:15], v[0:1], s[0:1]
	s_waitcnt vmcnt(2)
	v_mul_f64 v[12:13], v[6:7], s[0:1]
	v_mul_f64 v[10:11], v[4:5], s[0:1]
	;; [unrolled: 3-line block ×4, first 2 shown]
	s_cbranch_scc1 .LBB80_19
; %bb.17:
	s_mul_i32 s7, s6, 0x60
	s_lshl_b32 s8, s16, 3
	s_add_i32 s7, s7, s8
	s_ashr_i32 s19, s18, 31
	s_addk_i32 s7, 0xfd58
	s_lshl_b64 s[8:9], s[18:19], 3
	s_add_u32 s8, s10, s8
	s_addc_u32 s9, s11, s9
	s_add_u32 s8, s8, s4
	s_addc_u32 s9, s9, s5
	;; [unrolled: 2-line block ×3, first 2 shown]
	v_mov_b32_e32 v19, s9
	v_add_co_u32_e32 v18, vcc, s8, v28
	v_addc_co_u32_e32 v19, vcc, v19, v29, vcc
	s_mov_b32 s8, s18
.LBB80_18:                              ; =>This Inner Loop Header: Depth=1
	global_load_dwordx2 v[24:25], v[18:19], off
	v_mov_b32_e32 v38, s7
	ds_read2_b64 v[20:23], v38 offset0:72 offset1:84
	ds_read2_b64 v[30:33], v38 offset0:48 offset1:60
	;; [unrolled: 1-line block ×3, first 2 shown]
	ds_read2_b64 v[38:41], v38 offset1:12
	s_add_i32 s8, s8, -1
	s_add_i32 s7, s7, -8
	v_add_co_u32_e32 v18, vcc, -8, v18
	v_addc_co_u32_e32 v19, vcc, -1, v19, vcc
	s_cmp_gt_i32 s8, s6
	s_waitcnt vmcnt(0) lgkmcnt(3)
	v_fma_f64 v[16:17], -v[24:25], v[22:23], v[16:17]
	v_fma_f64 v[14:15], -v[24:25], v[20:21], v[14:15]
	s_waitcnt lgkmcnt(2)
	v_fma_f64 v[12:13], -v[24:25], v[32:33], v[12:13]
	v_fma_f64 v[10:11], -v[24:25], v[30:31], v[10:11]
	s_waitcnt lgkmcnt(1)
	;; [unrolled: 3-line block ×3, first 2 shown]
	v_fma_f64 v[2:3], -v[24:25], v[40:41], v[2:3]
	v_fma_f64 v[0:1], -v[24:25], v[38:39], v[0:1]
	s_cbranch_scc1 .LBB80_18
.LBB80_19:
	s_mul_i32 s8, s6, 0x68
	v_mov_b32_e32 v18, s8
	s_add_i32 s7, s8, 0xffffff98
	ds_read_b64 v[22:23], v18
	v_mov_b32_e32 v18, s7
	ds_read2_b64 v[18:21], v18 offset1:1
	s_ashr_i32 s7, s6, 31
	s_lshl_b64 s[12:13], s[6:7], 3
	s_waitcnt lgkmcnt(1)
	v_mul_f64 v[24:25], v[16:17], v[22:23]
	global_store_dwordx2 v[8:9], v[24:25], off
	s_waitcnt lgkmcnt(0)
	v_fma_f64 v[8:9], -v[24:25], v[20:21], v[14:15]
	s_add_i32 s7, s8, 0xffffff40
	v_mul_f64 v[34:35], v[8:9], v[18:19]
	v_mov_b32_e32 v8, s7
	s_add_i32 s7, s8, 0xffffff30
	v_mov_b32_e32 v14, s7
	ds_read_b64 v[18:19], v8
	ds_read2_b64 v[14:17], v14 offset1:1
	s_add_i32 s7, s8, 0xfffffed8
	v_mov_b32_e32 v9, s13
	v_add_co_u32_e32 v8, vcc, s12, v26
	s_waitcnt lgkmcnt(1)
	v_fma_f64 v[12:13], -v[24:25], v[18:19], v[12:13]
	s_waitcnt lgkmcnt(0)
	v_fma_f64 v[12:13], -v[34:35], v[16:17], v[12:13]
	v_mov_b32_e32 v16, s7
	ds_read2_b64 v[16:19], v16 offset1:1
	s_add_i32 s7, s8, 0xfffffec8
	v_mul_f64 v[12:13], v[12:13], v[14:15]
	v_mov_b32_e32 v14, s7
	ds_read2_b64 v[20:23], v14 offset1:1
	s_add_i32 s7, s8, 0xfffffe80
	v_addc_co_u32_e32 v9, vcc, v27, v9, vcc
	v_mov_b32_e32 v14, s7
	s_add_i32 s7, s8, 0xfffffe70
	global_store_dwordx2 v[8:9], v[34:35], off offset:-8
	s_waitcnt lgkmcnt(1)
	v_fma_f64 v[10:11], -v[24:25], v[18:19], v[10:11]
	v_mov_b32_e32 v15, s7
	v_fma_f64 v[10:11], -v[34:35], v[16:17], v[10:11]
	ds_read_b64 v[18:19], v14
	ds_read2_b64 v[14:17], v15 offset1:1
	s_add_i32 s7, s8, 0xfffffe60
	s_waitcnt lgkmcnt(2)
	v_fma_f64 v[10:11], -v[12:13], v[22:23], v[10:11]
	v_mul_f64 v[10:11], v[10:11], v[20:21]
	s_waitcnt lgkmcnt(1)
	v_fma_f64 v[6:7], -v[24:25], v[18:19], v[6:7]
	s_waitcnt lgkmcnt(0)
	v_fma_f64 v[6:7], -v[34:35], v[16:17], v[6:7]
	v_mov_b32_e32 v16, s7
	ds_read2_b64 v[16:19], v16 offset1:1
	s_add_i32 s7, s8, 0xfffffe18
	v_fma_f64 v[6:7], -v[12:13], v[14:15], v[6:7]
	v_mov_b32_e32 v14, s7
	ds_read2_b64 v[20:23], v14 offset1:1
	s_add_i32 s7, s8, 0xfffffe08
	s_waitcnt lgkmcnt(1)
	v_fma_f64 v[6:7], -v[10:11], v[18:19], v[6:7]
	v_mov_b32_e32 v14, s7
	v_mul_f64 v[6:7], v[6:7], v[16:17]
	s_add_i32 s7, s8, 0xfffffdf8
	ds_read2_b64 v[14:17], v14 offset1:1
	v_mov_b32_e32 v18, s7
	ds_read2_b64 v[30:33], v18 offset1:1
	s_waitcnt lgkmcnt(2)
	v_fma_f64 v[4:5], -v[24:25], v[22:23], v[4:5]
	v_fma_f64 v[4:5], -v[34:35], v[20:21], v[4:5]
	s_waitcnt lgkmcnt(1)
	v_fma_f64 v[4:5], -v[12:13], v[16:17], v[4:5]
	v_fma_f64 v[4:5], -v[10:11], v[14:15], v[4:5]
	s_add_i32 s7, s8, 0xfffffdc0
	s_waitcnt lgkmcnt(0)
	v_fma_f64 v[4:5], -v[6:7], v[32:33], v[4:5]
	v_mov_b32_e32 v14, s7
	s_add_i32 s7, s8, 0xfffffdb8
	v_mul_f64 v[4:5], v[4:5], v[30:31]
	ds_read_b64 v[22:23], v14
	v_mov_b32_e32 v14, s7
	s_add_i32 s7, s8, 0xfffffda8
	global_store_dwordx4 v[8:9], v[10:13], off offset:-24
	global_store_dwordx4 v[8:9], v[4:7], off offset:-40
	v_mov_b32_e32 v15, s7
	ds_read_b64 v[30:31], v14
	ds_read2_b64 v[14:17], v15 offset1:1
	s_add_i32 s7, s8, 0xfffffd98
	s_waitcnt lgkmcnt(2)
	v_fma_f64 v[2:3], -v[24:25], v[22:23], v[2:3]
	v_mov_b32_e32 v18, s7
	s_waitcnt lgkmcnt(1)
	v_fma_f64 v[2:3], -v[34:35], v[30:31], v[2:3]
	ds_read2_b64 v[18:21], v18 offset1:1
	s_waitcnt lgkmcnt(1)
	v_fma_f64 v[2:3], -v[12:13], v[16:17], v[2:3]
	s_add_i32 s7, s8, 0xfffffd90
	v_fma_f64 v[2:3], -v[10:11], v[14:15], v[2:3]
	v_mov_b32_e32 v14, s7
	ds_read_b64 v[14:15], v14
	s_waitcnt lgkmcnt(1)
	v_fma_f64 v[2:3], -v[6:7], v[20:21], v[2:3]
	s_add_i32 s7, s8, 0xfffffd60
	v_fma_f64 v[2:3], -v[4:5], v[18:19], v[2:3]
	v_mov_b32_e32 v16, s7
	s_add_i32 s7, s8, 0xfffffd50
	ds_read_b64 v[18:19], v16
	s_waitcnt lgkmcnt(1)
	v_mul_f64 v[2:3], v[2:3], v[14:15]
	v_mov_b32_e32 v14, s7
	ds_read2_b64 v[14:17], v14 offset1:1
	s_add_i32 s7, s8, 0xfffffd40
	s_waitcnt lgkmcnt(1)
	v_fma_f64 v[0:1], -v[24:25], v[18:19], v[0:1]
	v_mov_b32_e32 v18, s7
	ds_read2_b64 v[18:21], v18 offset1:1
	s_waitcnt lgkmcnt(1)
	v_fma_f64 v[0:1], -v[34:35], v[16:17], v[0:1]
	s_add_i32 s7, s8, 0xfffffd30
	v_fma_f64 v[0:1], -v[12:13], v[14:15], v[0:1]
	v_mov_b32_e32 v12, s7
	ds_read2_b64 v[12:15], v12 offset1:1
	s_add_i32 s7, s8, 0xfffffd28
	v_mov_b32_e32 v16, s7
	ds_read_b64 v[16:17], v16
	s_waitcnt lgkmcnt(2)
	v_fma_f64 v[0:1], -v[10:11], v[20:21], v[0:1]
	v_fma_f64 v[0:1], -v[6:7], v[18:19], v[0:1]
	s_waitcnt lgkmcnt(1)
	v_fma_f64 v[0:1], -v[4:5], v[14:15], v[0:1]
	v_fma_f64 v[0:1], -v[2:3], v[12:13], v[0:1]
	s_waitcnt lgkmcnt(0)
	v_mul_f64 v[0:1], v[0:1], v[16:17]
	s_add_i32 s6, s6, -8
	global_store_dwordx4 v[8:9], v[0:3], off offset:-56
.LBB80_20:
	s_cmp_lt_i32 s6, 0
	s_cbranch_scc1 .LBB80_33
; %bb.21:
	s_bitcmp1_b32 s6, 0
	s_cselect_b64 s[8:9], -1, 0
	s_and_b64 vcc, exec, s[8:9]
	s_mov_b32 s8, s6
	s_cbranch_vccnz .LBB80_26
; %bb.22:
	s_mov_b32 s7, 0
	s_lshl_b64 s[8:9], s[6:7], 3
	v_mov_b32_e32 v1, s9
	v_add_co_u32_e32 v0, vcc, s8, v26
	v_addc_co_u32_e32 v1, vcc, v27, v1, vcc
	global_load_dwordx2 v[2:3], v[0:1], off
	s_cmp_le_i32 s18, s6
	s_waitcnt vmcnt(0)
	v_mul_f64 v[2:3], v[2:3], s[0:1]
	s_cbranch_scc1 .LBB80_25
; %bb.23:
	s_mul_i32 s7, s6, 0x60
	s_lshl_b32 s8, s16, 3
	s_add_i32 s7, s7, s8
	s_ashr_i32 s19, s18, 31
	s_add_i32 s7, s7, -8
	s_lshl_b64 s[8:9], s[18:19], 3
	s_add_u32 s8, s10, s8
	s_addc_u32 s9, s11, s9
	s_add_u32 s8, s8, s4
	s_addc_u32 s9, s9, s5
	;; [unrolled: 2-line block ×3, first 2 shown]
	v_mov_b32_e32 v5, s9
	v_add_co_u32_e32 v4, vcc, s8, v28
	v_addc_co_u32_e32 v5, vcc, v5, v29, vcc
	s_mov_b32 s8, s18
.LBB80_24:                              ; =>This Inner Loop Header: Depth=1
	global_load_dwordx2 v[6:7], v[4:5], off
	v_mov_b32_e32 v8, s7
	ds_read_b64 v[8:9], v8
	s_add_i32 s8, s8, -1
	s_add_i32 s7, s7, -8
	v_add_co_u32_e32 v4, vcc, -8, v4
	v_addc_co_u32_e32 v5, vcc, -1, v5, vcc
	s_cmp_gt_i32 s8, s6
	s_waitcnt vmcnt(0) lgkmcnt(0)
	v_fma_f64 v[2:3], -v[6:7], v[8:9], v[2:3]
	s_cbranch_scc1 .LBB80_24
.LBB80_25:
	s_mul_i32 s7, s6, 0x68
	v_mov_b32_e32 v4, s7
	ds_read_b64 v[4:5], v4
	s_add_i32 s8, s6, -1
	s_waitcnt lgkmcnt(0)
	v_mul_f64 v[2:3], v[2:3], v[4:5]
	global_store_dwordx2 v[0:1], v[2:3], off
.LBB80_26:
	s_cmp_eq_u32 s6, 0
	s_mov_b32 s9, 0
	s_cbranch_scc1 .LBB80_33
; %bb.27:
	s_mul_i32 s6, s8, 0x60
	s_lshl_b32 s7, s16, 3
	s_add_i32 s7, s6, s7
	s_ashr_i32 s19, s18, 31
	s_add_i32 s6, s7, -8
	s_lshl_b64 s[12:13], s[18:19], 3
	s_add_u32 s12, s10, s12
	s_addc_u32 s13, s11, s13
	s_add_u32 s12, s12, s4
	s_addc_u32 s13, s13, s5
	;; [unrolled: 2-line block ×3, first 2 shown]
	v_mov_b32_e32 v1, s13
	v_add_co_u32_e32 v0, vcc, s12, v28
	v_addc_co_u32_e32 v1, vcc, v1, v29, vcc
	s_addk_i32 s7, 0xff98
	s_branch .LBB80_29
.LBB80_28:                              ;   in Loop: Header=BB80_29 Depth=1
	s_addk_i32 s12, 0xff98
	v_mov_b32_e32 v6, s12
	ds_read_b64 v[6:7], v6
	s_add_i32 s12, s8, -2
	s_addk_i32 s6, 0xff40
	s_addk_i32 s7, 0xff40
	s_cmp_lt_i32 s8, 2
	s_waitcnt lgkmcnt(0)
	v_mul_f64 v[2:3], v[2:3], v[6:7]
	s_mov_b32 s8, s12
	global_store_dwordx2 v[4:5], v[2:3], off offset:-8
	s_cbranch_scc1 .LBB80_33
.LBB80_29:                              ; =>This Loop Header: Depth=1
                                        ;     Child Loop BB80_30 Depth 2
                                        ;     Child Loop BB80_32 Depth 2
	s_lshl_b64 s[12:13], s[8:9], 3
	v_mov_b32_e32 v3, s13
	v_add_co_u32_e32 v2, vcc, s12, v26
	v_addc_co_u32_e32 v3, vcc, v27, v3, vcc
	global_load_dwordx2 v[2:3], v[2:3], off
	v_pk_mov_b32 v[4:5], v[0:1], v[0:1] op_sel:[0,1]
	s_mov_b32 s12, s6
	s_cmp_le_i32 s18, s8
	s_mov_b32 s13, s18
	s_waitcnt vmcnt(0)
	v_mul_f64 v[2:3], v[2:3], s[0:1]
	s_cbranch_scc1 .LBB80_31
.LBB80_30:                              ;   Parent Loop BB80_29 Depth=1
                                        ; =>  This Inner Loop Header: Depth=2
	global_load_dwordx2 v[6:7], v[4:5], off
	v_mov_b32_e32 v8, s12
	ds_read_b64 v[8:9], v8
	s_add_i32 s13, s13, -1
	s_add_i32 s12, s12, -8
	v_add_co_u32_e32 v4, vcc, -8, v4
	v_addc_co_u32_e32 v5, vcc, -1, v5, vcc
	s_cmp_gt_i32 s13, s8
	s_waitcnt vmcnt(0) lgkmcnt(0)
	v_fma_f64 v[2:3], -v[6:7], v[8:9], v[2:3]
	s_cbranch_scc1 .LBB80_30
.LBB80_31:                              ;   in Loop: Header=BB80_29 Depth=1
	s_add_i32 s12, s8, -1
	s_mov_b32 s13, s9
	s_lshl_b64 s[12:13], s[12:13], 3
	v_mov_b32_e32 v5, s13
	v_add_co_u32_e32 v4, vcc, s12, v26
	v_addc_co_u32_e32 v5, vcc, v27, v5, vcc
	global_load_dwordx2 v[8:9], v[4:5], off
	s_mul_i32 s12, s8, 0x68
	v_mov_b32_e32 v4, s12
	ds_read_b64 v[10:11], v4
	s_ashr_i32 s21, s8, 31
	s_mov_b32 s20, s8
	s_lshl_b64 s[20:21], s[20:21], 3
	v_mov_b32_e32 v5, s21
	v_add_co_u32_e32 v4, vcc, s20, v26
	v_addc_co_u32_e32 v5, vcc, v27, v5, vcc
	s_waitcnt lgkmcnt(0)
	v_mul_f64 v[2:3], v[2:3], v[10:11]
	v_pk_mov_b32 v[6:7], v[0:1], v[0:1] op_sel:[0,1]
	s_mov_b32 s13, s7
	s_cmp_lt_i32 s18, s8
	global_store_dwordx2 v[4:5], v[2:3], off
	s_mov_b32 s15, s16
	s_waitcnt vmcnt(1)
	v_mul_f64 v[2:3], v[8:9], s[0:1]
	s_cbranch_scc1 .LBB80_28
.LBB80_32:                              ;   Parent Loop BB80_29 Depth=1
                                        ; =>  This Inner Loop Header: Depth=2
	global_load_dwordx2 v[8:9], v[6:7], off
	v_mov_b32_e32 v10, s13
	ds_read_b64 v[10:11], v10
	s_add_i32 s15, s15, -1
	s_add_i32 s13, s13, -8
	v_add_co_u32_e32 v6, vcc, -8, v6
	v_addc_co_u32_e32 v7, vcc, -1, v7, vcc
	s_cmp_gt_i32 s15, s8
	s_waitcnt vmcnt(0) lgkmcnt(0)
	v_fma_f64 v[2:3], -v[8:9], v[10:11], v[2:3]
	s_cbranch_scc1 .LBB80_32
	s_branch .LBB80_28
.LBB80_33:
	s_mov_b64 s[6:7], 0
.LBB80_34:
	s_and_b64 vcc, exec, s[6:7]
	s_cbranch_vccz .LBB80_57
; %bb.35:
	s_cmp_gt_i32 s14, 11
	s_cselect_b64 s[8:9], -1, 0
	s_and_b64 vcc, exec, s[8:9]
	s_cbranch_vccz .LBB80_37
; %bb.36:
	global_load_dwordx4 v[32:35], v[26:27], off
	global_load_dwordx4 v[36:39], v[26:27], off offset:16
	global_load_dwordx4 v[40:43], v[26:27], off offset:32
	;; [unrolled: 1-line block ×4, first 2 shown]
	v_mov_b32_e32 v30, 0
	ds_read_b128 v[44:47], v30
	ds_read_b128 v[48:51], v30 offset:16
	ds_read2_b64 v[6:9], v30 offset0:13 offset1:14
	ds_read2_b64 v[14:17], v30 offset0:15 offset1:16
	;; [unrolled: 1-line block ×4, first 2 shown]
	ds_read_b128 v[52:55], v30 offset:32
	ds_read_b128 v[56:59], v30 offset:48
	s_mov_b32 s6, 12
	s_waitcnt vmcnt(4)
	v_mul_f64 v[4:5], v[32:33], s[0:1]
	s_waitcnt lgkmcnt(7)
	v_mul_f64 v[4:5], v[4:5], v[44:45]
	v_mul_f64 v[32:33], v[4:5], v[46:47]
	s_waitcnt lgkmcnt(6)
	v_mul_f64 v[44:45], v[4:5], v[48:49]
	;; [unrolled: 3-line block ×3, first 2 shown]
	v_mul_f64 v[52:53], v[4:5], v[54:55]
	v_fma_f64 v[48:49], v[34:35], s[0:1], -v[32:33]
	s_waitcnt vmcnt(3)
	v_fma_f64 v[44:45], v[36:37], s[0:1], -v[44:45]
	v_fma_f64 v[46:47], v[38:39], s[0:1], -v[46:47]
	ds_read_b128 v[32:35], v30 offset:224
	ds_read_b128 v[36:39], v30 offset:240
	s_waitcnt vmcnt(2)
	v_fma_f64 v[50:51], v[40:41], s[0:1], -v[50:51]
	v_fma_f64 v[52:53], v[42:43], s[0:1], -v[52:53]
	ds_read_b128 v[40:43], v30 offset:64
	s_waitcnt lgkmcnt(3)
	v_mul_f64 v[54:55], v[4:5], v[56:57]
	v_mul_f64 v[56:57], v[4:5], v[58:59]
	s_waitcnt vmcnt(1)
	v_fma_f64 v[54:55], v[22:23], s[0:1], -v[54:55]
	v_fma_f64 v[56:57], v[24:25], s[0:1], -v[56:57]
	ds_read_b128 v[22:25], v30 offset:80
	s_waitcnt lgkmcnt(1)
	v_mul_f64 v[40:41], v[4:5], v[40:41]
	v_mul_f64 v[42:43], v[4:5], v[42:43]
	;; [unrolled: 1-line block ×3, first 2 shown]
	s_waitcnt vmcnt(0)
	v_fma_f64 v[58:59], v[0:1], s[0:1], -v[40:41]
	v_fma_f64 v[60:61], v[2:3], s[0:1], -v[42:43]
	ds_read2_b64 v[0:3], v30 offset0:17 offset1:18
	ds_read2_b64 v[40:43], v30 offset0:19 offset1:20
	v_fma_f64 v[8:9], -v[6:7], v[8:9], v[44:45]
	v_fma_f64 v[48:49], -v[6:7], v[14:15], v[46:47]
	;; [unrolled: 1-line block ×3, first 2 shown]
	ds_read_b128 v[14:17], v30 offset:208
	ds_read2_b64 v[44:47], v30 offset0:21 offset1:22
	s_waitcnt lgkmcnt(3)
	v_fma_f64 v[52:53], -v[6:7], v[0:1], v[52:53]
	v_fma_f64 v[2:3], -v[6:7], v[2:3], v[54:55]
	s_waitcnt lgkmcnt(2)
	v_fma_f64 v[54:55], -v[6:7], v[40:41], v[56:57]
	s_waitcnt lgkmcnt(1)
	v_mul_f64 v[0:1], v[8:9], v[14:15]
	v_fma_f64 v[56:57], -v[6:7], v[42:43], v[58:59]
	v_fma_f64 v[8:9], -v[0:1], v[16:17], v[48:49]
	ds_read_b128 v[14:17], v30 offset:416
	ds_read_b128 v[40:43], v30 offset:432
	v_fma_f64 v[48:49], -v[0:1], v[32:33], v[50:51]
	v_fma_f64 v[52:53], -v[0:1], v[34:35], v[52:53]
	ds_read_b128 v[32:35], v30 offset:256
	v_fma_f64 v[58:59], -v[0:1], v[36:37], v[2:3]
	s_waitcnt lgkmcnt(3)
	v_fma_f64 v[2:3], -v[6:7], v[44:45], v[60:61]
	v_fma_f64 v[54:55], -v[0:1], v[38:39], v[54:55]
	ds_read_b128 v[36:39], v30 offset:272
	s_waitcnt lgkmcnt(1)
	v_fma_f64 v[44:45], -v[0:1], v[32:33], v[56:57]
	v_fma_f64 v[56:57], -v[0:1], v[34:35], v[2:3]
	v_mul_f64 v[2:3], v[8:9], v[10:11]
	v_fma_f64 v[12:13], -v[2:3], v[12:13], v[48:49]
	ds_read2_b64 v[32:35], v30 offset0:43 offset1:44
	ds_read2_b64 v[8:11], v30 offset0:65 offset1:66
	;; [unrolled: 1-line block ×3, first 2 shown]
	v_fma_f64 v[52:53], -v[2:3], v[18:19], v[52:53]
	v_fma_f64 v[58:59], -v[2:3], v[20:21], v[58:59]
	ds_read2_b64 v[18:21], v30 offset0:45 offset1:46
	v_mul_f64 v[12:13], v[12:13], v[14:15]
	v_fma_f64 v[52:53], -v[12:13], v[16:17], v[52:53]
	ds_read_b128 v[14:17], v30 offset:448
	s_waitcnt lgkmcnt(4)
	v_fma_f64 v[32:33], -v[2:3], v[32:33], v[54:55]
	s_waitcnt lgkmcnt(1)
	v_fma_f64 v[18:19], -v[2:3], v[18:19], v[56:57]
	v_fma_f64 v[44:45], -v[2:3], v[34:35], v[44:45]
	;; [unrolled: 1-line block ×4, first 2 shown]
	ds_read_b128 v[32:35], v30 offset:464
	s_waitcnt lgkmcnt(1)
	v_fma_f64 v[60:61], -v[12:13], v[16:17], v[18:19]
	ds_read_b128 v[16:19], v30 offset:624
	ds_read2_b64 v[40:43], v30 offset0:69 offset1:70
	v_fma_f64 v[44:45], -v[12:13], v[14:15], v[44:45]
	v_mul_f64 v[14:15], v[52:53], v[8:9]
	v_fma_f64 v[52:53], -v[14:15], v[10:11], v[54:55]
	v_fma_f64 v[48:49], -v[14:15], v[48:49], v[58:59]
	ds_read2_b64 v[8:11], v30 offset0:91 offset1:92
	s_waitcnt lgkmcnt(2)
	v_mul_f64 v[16:17], v[52:53], v[16:17]
	v_fma_f64 v[44:45], -v[14:15], v[50:51], v[44:45]
	v_fma_f64 v[18:19], -v[16:17], v[18:19], v[48:49]
	ds_read2_b64 v[48:51], v30 offset0:93 offset1:94
	ds_read_b128 v[52:55], v30 offset:640
	ds_read_b128 v[56:59], v30 offset:656
	s_waitcnt lgkmcnt(3)
	v_mul_f64 v[18:19], v[18:19], v[8:9]
	v_mul_f64 v[22:23], v[4:5], v[22:23]
	s_waitcnt lgkmcnt(1)
	v_fma_f64 v[8:9], -v[16:17], v[52:53], v[44:45]
	v_fma_f64 v[44:45], -v[18:19], v[10:11], v[8:9]
	v_fma_f64 v[8:9], -v[14:15], v[40:41], v[60:61]
	global_load_dwordx4 v[60:63], v[26:27], off offset:80
	v_fma_f64 v[40:41], -v[16:17], v[54:55], v[8:9]
	ds_read_b128 v[8:11], v30 offset:832
	ds_read_b128 v[52:55], v30 offset:848
	global_store_dwordx4 v[26:27], v[4:7], off
	global_store_dwordx4 v[26:27], v[0:3], off offset:16
	global_store_dwordx4 v[26:27], v[12:15], off offset:32
	v_fma_f64 v[40:41], -v[18:19], v[48:49], v[40:41]
	v_mul_f64 v[4:5], v[4:5], v[24:25]
	s_waitcnt lgkmcnt(1)
	v_mul_f64 v[8:9], v[44:45], v[8:9]
	v_fma_f64 v[10:11], -v[8:9], v[10:11], v[40:41]
	global_store_dwordx4 v[26:27], v[16:19], off offset:48
	s_waitcnt vmcnt(4)
	v_fma_f64 v[22:23], v[60:61], s[0:1], -v[22:23]
	v_fma_f64 v[22:23], -v[6:7], v[46:47], v[22:23]
	v_fma_f64 v[22:23], -v[0:1], v[36:37], v[22:23]
	;; [unrolled: 1-line block ×5, first 2 shown]
	ds_read2_b64 v[20:23], v30 offset0:117 offset1:118
	ds_read_b128 v[40:43], v30 offset:1040
	v_fma_f64 v[32:33], -v[16:17], v[56:57], v[32:33]
	v_fma_f64 v[32:33], -v[18:19], v[50:51], v[32:33]
	v_fma_f64 v[4:5], v[62:63], s[0:1], -v[4:5]
	s_waitcnt lgkmcnt(1)
	v_mul_f64 v[10:11], v[10:11], v[20:21]
	v_fma_f64 v[20:21], -v[8:9], v[52:53], v[32:33]
	v_fma_f64 v[32:33], -v[10:11], v[22:23], v[20:21]
	ds_read2_b64 v[20:23], v30 offset0:23 offset1:47
	s_waitcnt lgkmcnt(1)
	v_mul_f64 v[32:33], v[32:33], v[40:41]
	global_store_dwordx4 v[26:27], v[8:11], off offset:64
	s_waitcnt lgkmcnt(0)
	v_fma_f64 v[20:21], -v[6:7], v[20:21], v[4:5]
	ds_read2_b64 v[4:7], v30 offset0:71 offset1:95
	v_fma_f64 v[0:1], -v[0:1], v[38:39], v[20:21]
	v_fma_f64 v[0:1], -v[2:3], v[22:23], v[0:1]
	;; [unrolled: 1-line block ×3, first 2 shown]
	ds_read2_b64 v[0:3], v30 offset0:119 offset1:143
	s_waitcnt lgkmcnt(1)
	v_fma_f64 v[4:5], -v[14:15], v[4:5], v[12:13]
	v_fma_f64 v[4:5], -v[16:17], v[58:59], v[4:5]
	;; [unrolled: 1-line block ×4, first 2 shown]
	s_waitcnt lgkmcnt(0)
	v_fma_f64 v[0:1], -v[10:11], v[0:1], v[4:5]
	v_fma_f64 v[0:1], -v[32:33], v[42:43], v[0:1]
	v_mul_f64 v[34:35], v[0:1], v[2:3]
	global_store_dwordx4 v[26:27], v[32:35], off offset:80
	s_cmp_lt_i32 s6, s16
	s_cbranch_scc1 .LBB80_38
	s_branch .LBB80_57
.LBB80_37:
	s_mov_b32 s6, 0
	s_cmp_lt_i32 s6, s16
	s_cbranch_scc0 .LBB80_57
.LBB80_38:
	s_add_i32 s7, s6, 7
	s_cmp_ge_u32 s7, s16
	s_cbranch_scc1 .LBB80_46
; %bb.39:
	s_lshl_b32 s13, s6, 3
	v_add_co_u32_e32 v0, vcc, s13, v26
	v_addc_co_u32_e32 v1, vcc, 0, v27, vcc
	global_load_dwordx4 v[2:5], v[0:1], off
	global_load_dwordx4 v[6:9], v[0:1], off offset:16
	global_load_dwordx4 v[18:21], v[0:1], off offset:32
	;; [unrolled: 1-line block ×3, first 2 shown]
	s_mov_b32 s12, 0
	s_andn2_b64 vcc, exec, s[8:9]
	s_waitcnt vmcnt(3)
	v_mul_f64 v[14:15], v[2:3], s[0:1]
	v_mul_f64 v[16:17], v[4:5], s[0:1]
	s_waitcnt vmcnt(2)
	v_mul_f64 v[12:13], v[6:7], s[0:1]
	v_mul_f64 v[10:11], v[8:9], s[0:1]
	;; [unrolled: 3-line block ×4, first 2 shown]
	s_cbranch_vccnz .LBB80_45
; %bb.40:
	s_max_u32 s8, s6, 1
	s_cmp_eq_u32 s8, 1
	s_cbranch_scc1 .LBB80_43
; %bb.41:
	s_and_b32 s12, s8, 12
	s_add_u32 s9, s10, s4
	s_addc_u32 s14, s11, s5
	s_add_u32 s9, s9, s2
	s_addc_u32 s14, s14, s3
	v_mov_b32_e32 v18, s14
	v_add_co_u32_e32 v19, vcc, s9, v28
	v_addc_co_u32_e32 v20, vcc, v18, v29, vcc
	v_add_co_u32_e32 v18, vcc, 8, v19
	v_addc_co_u32_e32 v19, vcc, 0, v20, vcc
	s_mov_b32 s9, 0
.LBB80_42:                              ; =>This Inner Loop Header: Depth=1
	global_load_dwordx4 v[20:23], v[18:19], off offset:-8
	v_mov_b32_e32 v24, s13
	ds_read_b128 v[30:33], v24
	ds_read_b128 v[34:37], v24 offset:16
	ds_read_b128 v[38:41], v24 offset:32
	;; [unrolled: 1-line block ×7, first 2 shown]
	s_add_i32 s9, s9, 2
	s_addk_i32 s13, 0xc0
	v_add_co_u32_e32 v18, vcc, 16, v18
	v_addc_co_u32_e32 v19, vcc, 0, v19, vcc
	s_cmp_lg_u32 s12, s9
	s_waitcnt vmcnt(0) lgkmcnt(7)
	v_fma_f64 v[14:15], -v[20:21], v[30:31], v[14:15]
	v_fma_f64 v[16:17], -v[20:21], v[32:33], v[16:17]
	s_waitcnt lgkmcnt(6)
	v_fma_f64 v[12:13], -v[20:21], v[34:35], v[12:13]
	v_fma_f64 v[10:11], -v[20:21], v[36:37], v[10:11]
	s_waitcnt lgkmcnt(5)
	;; [unrolled: 3-line block ×7, first 2 shown]
	v_fma_f64 v[4:5], -v[22:23], v[58:59], v[4:5]
	v_fma_f64 v[2:3], -v[22:23], v[60:61], v[2:3]
	s_cbranch_scc1 .LBB80_42
.LBB80_43:
	s_bitcmp0_b32 s8, 0
	s_cbranch_scc1 .LBB80_45
; %bb.44:
	s_lshl_b32 s8, s12, 3
	v_add_co_u32_e32 v18, vcc, s8, v26
	v_addc_co_u32_e32 v19, vcc, 0, v27, vcc
	global_load_dwordx2 v[38:39], v[18:19], off
	s_mul_i32 s8, s12, 12
	s_add_i32 s8, s8, s6
	s_lshl_b32 s8, s8, 3
	v_mov_b32_e32 v34, s8
	ds_read_b128 v[18:21], v34
	ds_read_b128 v[22:25], v34 offset:16
	ds_read_b128 v[30:33], v34 offset:32
	;; [unrolled: 1-line block ×3, first 2 shown]
	s_waitcnt vmcnt(0) lgkmcnt(3)
	v_fma_f64 v[14:15], -v[38:39], v[18:19], v[14:15]
	v_fma_f64 v[16:17], -v[38:39], v[20:21], v[16:17]
	s_waitcnt lgkmcnt(2)
	v_fma_f64 v[12:13], -v[38:39], v[22:23], v[12:13]
	v_fma_f64 v[10:11], -v[38:39], v[24:25], v[10:11]
	s_waitcnt lgkmcnt(1)
	;; [unrolled: 3-line block ×3, first 2 shown]
	v_fma_f64 v[4:5], -v[38:39], v[34:35], v[4:5]
	v_fma_f64 v[2:3], -v[38:39], v[36:37], v[2:3]
.LBB80_45:
	s_mul_i32 s8, s6, 0x68
	v_mov_b32_e32 v54, s8
	ds_read_b128 v[18:21], v54
	ds_read_b128 v[22:25], v54 offset:16
	ds_read2_b64 v[30:33], v54 offset0:13 offset1:14
	ds_read_b128 v[34:37], v54 offset:32
	ds_read_b128 v[38:41], v54 offset:48
	s_waitcnt lgkmcnt(4)
	v_mul_f64 v[14:15], v[14:15], v[18:19]
	v_fma_f64 v[16:17], -v[14:15], v[20:21], v[16:17]
	ds_read2_b64 v[18:21], v54 offset0:15 offset1:16
	ds_read_b128 v[42:45], v54 offset:208
	ds_read2_b64 v[46:49], v54 offset0:39 offset1:40
	s_waitcnt lgkmcnt(5)
	v_mul_f64 v[16:17], v[16:17], v[30:31]
	v_fma_f64 v[12:13], -v[14:15], v[22:23], v[12:13]
	v_fma_f64 v[12:13], -v[16:17], v[32:33], v[12:13]
	;; [unrolled: 1-line block ×3, first 2 shown]
	ds_read2_b64 v[30:33], v54 offset0:17 offset1:18
	s_waitcnt lgkmcnt(2)
	v_mul_f64 v[22:23], v[12:13], v[42:43]
	v_fma_f64 v[10:11], -v[16:17], v[18:19], v[10:11]
	v_fma_f64 v[18:19], -v[22:23], v[44:45], v[10:11]
	ds_read2_b64 v[10:13], v54 offset0:41 offset1:42
	ds_read_b128 v[42:45], v54 offset:224
	s_waitcnt lgkmcnt(3)
	v_mul_f64 v[24:25], v[18:19], v[46:47]
	global_store_dwordx4 v[0:1], v[14:17], off
	global_store_dwordx4 v[0:1], v[22:25], off offset:16
	v_fma_f64 v[8:9], -v[14:15], v[34:35], v[8:9]
	v_fma_f64 v[8:9], -v[16:17], v[20:21], v[8:9]
	ds_read_b128 v[18:21], v54 offset:416
	ds_read_b128 v[50:53], v54 offset:240
	v_fma_f64 v[6:7], -v[14:15], v[36:37], v[6:7]
	ds_read2_b64 v[34:37], v54 offset0:65 offset1:78
	s_waitcnt lgkmcnt(3)
	v_fma_f64 v[8:9], -v[22:23], v[42:43], v[8:9]
	v_fma_f64 v[6:7], -v[16:17], v[30:31], v[6:7]
	;; [unrolled: 1-line block ×4, first 2 shown]
	s_waitcnt lgkmcnt(2)
	v_mul_f64 v[8:9], v[8:9], v[18:19]
	v_fma_f64 v[6:7], -v[24:25], v[10:11], v[6:7]
	v_fma_f64 v[6:7], -v[8:9], v[20:21], v[6:7]
	;; [unrolled: 1-line block ×3, first 2 shown]
	ds_read_b128 v[46:49], v54 offset:432
	s_waitcnt lgkmcnt(1)
	v_mul_f64 v[10:11], v[6:7], v[34:35]
	v_fma_f64 v[4:5], -v[16:17], v[32:33], v[4:5]
	global_store_dwordx4 v[0:1], v[8:11], off offset:32
	v_fma_f64 v[18:19], -v[22:23], v[50:51], v[4:5]
	ds_read_b128 v[4:7], v54 offset:528
	v_fma_f64 v[12:13], -v[24:25], v[12:13], v[18:19]
	ds_read2_b64 v[18:21], v54 offset0:19 offset1:43
	ds_read_b64 v[30:31], v54 offset:632
	s_waitcnt lgkmcnt(3)
	v_fma_f64 v[12:13], -v[8:9], v[46:47], v[12:13]
	v_fma_f64 v[2:3], -v[14:15], v[40:41], v[2:3]
	s_mulk_i32 s7, 0x68
	s_waitcnt lgkmcnt(2)
	v_fma_f64 v[4:5], -v[10:11], v[4:5], v[12:13]
	s_waitcnt lgkmcnt(1)
	v_fma_f64 v[2:3], -v[16:17], v[18:19], v[2:3]
	v_mov_b32_e32 v12, s7
	v_fma_f64 v[2:3], -v[22:23], v[52:53], v[2:3]
	ds_read_b64 v[12:13], v12
	v_fma_f64 v[2:3], -v[24:25], v[20:21], v[2:3]
	v_fma_f64 v[2:3], -v[8:9], v[48:49], v[2:3]
	v_mul_f64 v[4:5], v[4:5], v[36:37]
	v_fma_f64 v[2:3], -v[10:11], v[6:7], v[2:3]
	s_waitcnt lgkmcnt(1)
	v_fma_f64 v[2:3], -v[4:5], v[30:31], v[2:3]
	s_waitcnt lgkmcnt(0)
	v_mul_f64 v[6:7], v[2:3], v[12:13]
	s_add_i32 s6, s6, 8
	global_store_dwordx4 v[0:1], v[4:7], off offset:48
.LBB80_46:
	s_cmp_ge_i32 s6, s16
	s_cbranch_scc1 .LBB80_57
; %bb.47:
	s_add_i32 s8, s6, -1
	s_lshl_b32 s9, s6, 3
	s_add_u32 s4, s10, s4
	s_addc_u32 s5, s11, s5
	s_add_u32 s2, s4, s2
	s_addc_u32 s3, s5, s3
	v_mov_b32_e32 v0, s3
	v_add_co_u32_e32 v8, vcc, s2, v28
	v_addc_co_u32_e32 v9, vcc, v0, v29, vcc
	v_add_co_u32_e32 v0, vcc, 56, v8
	v_addc_co_u32_e32 v1, vcc, 0, v9, vcc
	s_mov_b32 s3, 0
	s_mov_b32 s5, s6
	;; [unrolled: 1-line block ×3, first 2 shown]
	s_branch .LBB80_49
.LBB80_48:                              ;   in Loop: Header=BB80_49 Depth=1
	s_mul_i32 s2, s6, 0x68
	v_mov_b32_e32 v6, s2
	ds_read_b64 v[6:7], v6
	s_add_i32 s6, s6, 1
	s_add_i32 s4, s4, 1
	;; [unrolled: 1-line block ×3, first 2 shown]
	v_add_u16_e64 v10, s5, 1
	s_waitcnt lgkmcnt(0)
	v_mul_f64 v[4:5], v[4:5], v[6:7]
	s_cmp_ge_i32 s6, s16
	v_readfirstlane_b32 s5, v10
	global_store_dwordx2 v[2:3], v[4:5], off
	s_cbranch_scc1 .LBB80_57
.LBB80_49:                              ; =>This Loop Header: Depth=1
                                        ;     Child Loop BB80_52 Depth 2
                                        ;     Child Loop BB80_56 Depth 2
	s_ashr_i32 s7, s6, 31
	s_lshl_b64 s[10:11], s[6:7], 3
	v_mov_b32_e32 v3, s11
	v_add_co_u32_e32 v2, vcc, s10, v26
	v_addc_co_u32_e32 v3, vcc, v27, v3, vcc
	global_load_dwordx2 v[4:5], v[2:3], off
	s_cmp_eq_u32 s6, 0
	s_waitcnt vmcnt(0)
	v_mul_f64 v[4:5], v[4:5], s[0:1]
	s_cbranch_scc1 .LBB80_48
; %bb.50:                               ;   in Loop: Header=BB80_49 Depth=1
	s_add_i32 s2, s8, s4
	s_cmp_lt_u32 s2, 7
	s_cbranch_scc1 .LBB80_54
; %bb.51:                               ;   in Loop: Header=BB80_49 Depth=1
	s_and_b32 s2, s6, -8
	s_mov_b32 s7, 0
	v_pk_mov_b32 v[6:7], v[0:1], v[0:1] op_sel:[0,1]
	s_mov_b32 s10, s9
.LBB80_52:                              ;   Parent Loop BB80_49 Depth=1
                                        ; =>  This Inner Loop Header: Depth=2
	global_load_dwordx4 v[10:13], v[6:7], off offset:-56
	global_load_dwordx4 v[14:17], v[6:7], off offset:-40
	;; [unrolled: 1-line block ×4, first 2 shown]
	v_mov_b32_e32 v40, s10
	ds_read2_b64 v[28:31], v40 offset1:12
	ds_read2_b64 v[32:35], v40 offset0:24 offset1:36
	ds_read2_b64 v[36:39], v40 offset0:48 offset1:60
	;; [unrolled: 1-line block ×3, first 2 shown]
	s_add_i32 s7, s7, 8
	s_addk_i32 s10, 0x300
	v_add_co_u32_e32 v6, vcc, 64, v6
	v_addc_co_u32_e32 v7, vcc, 0, v7, vcc
	s_cmp_lg_u32 s2, s7
	s_waitcnt vmcnt(3) lgkmcnt(3)
	v_fma_f64 v[4:5], -v[10:11], v[28:29], v[4:5]
	v_fma_f64 v[4:5], -v[12:13], v[30:31], v[4:5]
	s_waitcnt vmcnt(2) lgkmcnt(2)
	v_fma_f64 v[4:5], -v[14:15], v[32:33], v[4:5]
	v_fma_f64 v[4:5], -v[16:17], v[34:35], v[4:5]
	;; [unrolled: 3-line block ×4, first 2 shown]
	s_cbranch_scc1 .LBB80_52
; %bb.53:                               ;   in Loop: Header=BB80_49 Depth=1
	s_and_b32 s7, s6, 7
	s_cmp_eq_u32 s7, 0
	s_cbranch_scc0 .LBB80_55
	s_branch .LBB80_48
.LBB80_54:                              ;   in Loop: Header=BB80_49 Depth=1
	s_mov_b32 s2, 0
	s_and_b32 s7, s6, 7
	s_cmp_eq_u32 s7, 0
	s_cbranch_scc1 .LBB80_48
.LBB80_55:                              ;   in Loop: Header=BB80_49 Depth=1
	s_lshl_b64 s[12:13], s[2:3], 3
	v_mov_b32_e32 v7, s13
	v_add_co_u32_e32 v6, vcc, s12, v8
	s_and_b32 s7, s5, 7
	s_mul_i32 s10, s2, 0x60
	v_addc_co_u32_e32 v7, vcc, v9, v7, vcc
.LBB80_56:                              ;   Parent Loop BB80_49 Depth=1
                                        ; =>  This Inner Loop Header: Depth=2
	global_load_dwordx2 v[10:11], v[6:7], off
	s_add_i32 s2, s9, s10
	v_mov_b32_e32 v12, s2
	ds_read_b64 v[12:13], v12
	s_addk_i32 s10, 0x60
	v_add_co_u32_e32 v6, vcc, 8, v6
	s_add_i32 s7, s7, -1
	v_addc_co_u32_e32 v7, vcc, 0, v7, vcc
	s_cmp_lg_u32 s7, 0
	s_waitcnt vmcnt(0) lgkmcnt(0)
	v_fma_f64 v[4:5], -v[10:11], v[12:13], v[4:5]
	s_cbranch_scc1 .LBB80_56
	s_branch .LBB80_48
.LBB80_57:
	s_endpgm
	.section	.rodata,"a",@progbits
	.p2align	6, 0x0
	.amdhsa_kernel _ZL30rocblas_trsm_small_left_deviceILi12ELi12ELb1EddPKdPdEv13rocblas_fill_18rocblas_operation_17rocblas_diagonal_iiT3_T4_lilT5_lili
		.amdhsa_group_segment_fixed_size 1152
		.amdhsa_private_segment_fixed_size 0
		.amdhsa_kernarg_size 360
		.amdhsa_user_sgpr_count 6
		.amdhsa_user_sgpr_private_segment_buffer 1
		.amdhsa_user_sgpr_dispatch_ptr 0
		.amdhsa_user_sgpr_queue_ptr 0
		.amdhsa_user_sgpr_kernarg_segment_ptr 1
		.amdhsa_user_sgpr_dispatch_id 0
		.amdhsa_user_sgpr_flat_scratch_init 0
		.amdhsa_user_sgpr_kernarg_preload_length 0
		.amdhsa_user_sgpr_kernarg_preload_offset 0
		.amdhsa_user_sgpr_private_segment_size 0
		.amdhsa_uses_dynamic_stack 0
		.amdhsa_system_sgpr_private_segment_wavefront_offset 0
		.amdhsa_system_sgpr_workgroup_id_x 1
		.amdhsa_system_sgpr_workgroup_id_y 0
		.amdhsa_system_sgpr_workgroup_id_z 1
		.amdhsa_system_sgpr_workgroup_info 0
		.amdhsa_system_vgpr_workitem_id 0
		.amdhsa_next_free_vgpr 64
		.amdhsa_next_free_sgpr 37
		.amdhsa_accum_offset 64
		.amdhsa_reserve_vcc 1
		.amdhsa_reserve_flat_scratch 0
		.amdhsa_float_round_mode_32 0
		.amdhsa_float_round_mode_16_64 0
		.amdhsa_float_denorm_mode_32 3
		.amdhsa_float_denorm_mode_16_64 3
		.amdhsa_dx10_clamp 1
		.amdhsa_ieee_mode 1
		.amdhsa_fp16_overflow 0
		.amdhsa_tg_split 0
		.amdhsa_exception_fp_ieee_invalid_op 0
		.amdhsa_exception_fp_denorm_src 0
		.amdhsa_exception_fp_ieee_div_zero 0
		.amdhsa_exception_fp_ieee_overflow 0
		.amdhsa_exception_fp_ieee_underflow 0
		.amdhsa_exception_fp_ieee_inexact 0
		.amdhsa_exception_int_div_zero 0
	.end_amdhsa_kernel
	.section	.text._ZL30rocblas_trsm_small_left_deviceILi12ELi12ELb1EddPKdPdEv13rocblas_fill_18rocblas_operation_17rocblas_diagonal_iiT3_T4_lilT5_lili,"axG",@progbits,_ZL30rocblas_trsm_small_left_deviceILi12ELi12ELb1EddPKdPdEv13rocblas_fill_18rocblas_operation_17rocblas_diagonal_iiT3_T4_lilT5_lili,comdat
.Lfunc_end80:
	.size	_ZL30rocblas_trsm_small_left_deviceILi12ELi12ELb1EddPKdPdEv13rocblas_fill_18rocblas_operation_17rocblas_diagonal_iiT3_T4_lilT5_lili, .Lfunc_end80-_ZL30rocblas_trsm_small_left_deviceILi12ELi12ELb1EddPKdPdEv13rocblas_fill_18rocblas_operation_17rocblas_diagonal_iiT3_T4_lilT5_lili
                                        ; -- End function
	.section	.AMDGPU.csdata,"",@progbits
; Kernel info:
; codeLenInByte = 7716
; NumSgprs: 41
; NumVgprs: 64
; NumAgprs: 0
; TotalNumVgprs: 64
; ScratchSize: 0
; MemoryBound: 1
; FloatMode: 240
; IeeeMode: 1
; LDSByteSize: 1152 bytes/workgroup (compile time only)
; SGPRBlocks: 5
; VGPRBlocks: 7
; NumSGPRsForWavesPerEU: 41
; NumVGPRsForWavesPerEU: 64
; AccumOffset: 64
; Occupancy: 8
; WaveLimiterHint : 0
; COMPUTE_PGM_RSRC2:SCRATCH_EN: 0
; COMPUTE_PGM_RSRC2:USER_SGPR: 6
; COMPUTE_PGM_RSRC2:TRAP_HANDLER: 0
; COMPUTE_PGM_RSRC2:TGID_X_EN: 1
; COMPUTE_PGM_RSRC2:TGID_Y_EN: 0
; COMPUTE_PGM_RSRC2:TGID_Z_EN: 1
; COMPUTE_PGM_RSRC2:TIDIG_COMP_CNT: 0
; COMPUTE_PGM_RSRC3_GFX90A:ACCUM_OFFSET: 15
; COMPUTE_PGM_RSRC3_GFX90A:TG_SPLIT: 0
	.section	.text._ZL31rocblas_trsm_small_right_deviceIddPKdPdLi12EEv13rocblas_fill_18rocblas_operation_17rocblas_diagonal_iiT0_T1_lilT2_lili,"axG",@progbits,_ZL31rocblas_trsm_small_right_deviceIddPKdPdLi12EEv13rocblas_fill_18rocblas_operation_17rocblas_diagonal_iiT0_T1_lilT2_lili,comdat
	.globl	_ZL31rocblas_trsm_small_right_deviceIddPKdPdLi12EEv13rocblas_fill_18rocblas_operation_17rocblas_diagonal_iiT0_T1_lilT2_lili ; -- Begin function _ZL31rocblas_trsm_small_right_deviceIddPKdPdLi12EEv13rocblas_fill_18rocblas_operation_17rocblas_diagonal_iiT0_T1_lilT2_lili
	.p2align	8
	.type	_ZL31rocblas_trsm_small_right_deviceIddPKdPdLi12EEv13rocblas_fill_18rocblas_operation_17rocblas_diagonal_iiT0_T1_lilT2_lili,@function
_ZL31rocblas_trsm_small_right_deviceIddPKdPdLi12EEv13rocblas_fill_18rocblas_operation_17rocblas_diagonal_iiT0_T1_lilT2_lili: ; @_ZL31rocblas_trsm_small_right_deviceIddPKdPdLi12EEv13rocblas_fill_18rocblas_operation_17rocblas_diagonal_iiT0_T1_lilT2_lili
; %bb.0:
	s_load_dwordx4 s[8:11], s[4:5], 0x0
	s_load_dword s30, s[4:5], 0x10
	s_load_dwordx4 s[12:15], s[4:5], 0x18
	s_load_dwordx2 s[20:21], s[4:5], 0x28
	s_load_dwordx4 s[0:3], s[4:5], 0x38
	s_load_dwordx2 s[16:17], s[4:5], 0x48
	s_waitcnt lgkmcnt(0)
	s_min_i32 s31, s30, 12
	s_mov_b32 s34, 0
	s_add_i32 s33, s31, -1
	v_cmp_gt_i32_e32 vcc, s31, v0
	s_and_saveexec_b64 s[18:19], vcc
	s_cbranch_execz .LBB81_9
; %bb.1:
	s_load_dword s22, s[4:5], 0x30
	s_mul_i32 s1, s7, s1
	s_mul_hi_u32 s24, s7, s0
	s_add_i32 s1, s24, s1
	s_mul_i32 s0, s7, s0
	s_waitcnt lgkmcnt(0)
	s_ashr_i32 s23, s22, 31
	s_cmp_lt_u32 s33, 3
	s_cbranch_scc1 .LBB81_4
; %bb.2:
	s_lshl_b64 s[24:25], s[0:1], 3
	s_add_u32 s26, s14, s24
	s_addc_u32 s27, s15, s25
	s_lshl_b64 s[24:25], s[20:21], 3
	s_add_u32 s24, s26, s24
	s_addc_u32 s25, s27, s25
	v_lshlrev_b32_e32 v1, 3, v0
	v_mov_b32_e32 v3, s25
	v_add_co_u32_e32 v2, vcc, s24, v1
	s_mul_hi_i32 s37, s22, 24
	s_lshl_b64 s[24:25], s[22:23], 5
	s_lshl_b64 s[26:27], s[22:23], 4
	;; [unrolled: 1-line block ×3, first 2 shown]
	v_addc_co_u32_e32 v3, vcc, 0, v3, vcc
	s_and_b32 s34, s31, -4
	s_mul_i32 s35, s22, 24
	s_mov_b32 s36, 0
	v_mov_b32_e32 v4, s29
	v_mov_b32_e32 v5, s27
	;; [unrolled: 1-line block ×4, first 2 shown]
.LBB81_3:                               ; =>This Inner Loop Header: Depth=1
	v_add_co_u32_e32 v10, vcc, s28, v2
	v_addc_co_u32_e32 v11, vcc, v3, v4, vcc
	v_add_co_u32_e32 v12, vcc, s26, v2
	v_addc_co_u32_e32 v13, vcc, v3, v5, vcc
	v_add_co_u32_e32 v14, vcc, s35, v2
	global_load_dwordx2 v[8:9], v[2:3], off
	v_addc_co_u32_e32 v15, vcc, v3, v6, vcc
	global_load_dwordx2 v[16:17], v[10:11], off
	global_load_dwordx2 v[18:19], v[12:13], off
	;; [unrolled: 1-line block ×3, first 2 shown]
	s_add_i32 s36, s36, 4
	v_add_co_u32_e32 v2, vcc, s24, v2
	v_addc_co_u32_e32 v3, vcc, v3, v7, vcc
	s_cmp_eq_u32 s34, s36
	s_waitcnt vmcnt(2)
	ds_write2_b64 v1, v[8:9], v[16:17] offset1:12
	s_waitcnt vmcnt(0)
	ds_write2_b64 v1, v[18:19], v[20:21] offset0:24 offset1:36
	v_add_u32_e32 v1, 0x180, v1
	s_cbranch_scc0 .LBB81_3
.LBB81_4:
	s_and_b32 s24, s31, 3
	s_cmp_eq_u32 s24, 0
	s_cbranch_scc1 .LBB81_7
; %bb.5:
	s_mul_i32 s25, s34, 0x60
	v_lshl_add_u32 v1, v0, 3, s25
	s_mul_i32 s25, s23, s34
	s_mul_hi_u32 s26, s22, s34
	s_add_i32 s27, s26, s25
	s_mul_i32 s26, s22, s34
	s_lshl_b64 s[0:1], s[0:1], 3
	s_lshl_b64 s[26:27], s[26:27], 3
	s_add_u32 s25, s0, s26
	s_addc_u32 s26, s1, s27
	s_lshl_b64 s[0:1], s[20:21], 3
	s_add_u32 s0, s25, s0
	s_addc_u32 s1, s26, s1
	s_add_u32 s0, s14, s0
	v_lshlrev_b32_e32 v2, 3, v0
	s_addc_u32 s1, s15, s1
	v_mov_b32_e32 v3, s1
	v_add_co_u32_e32 v2, vcc, s0, v2
	s_lshl_b64 s[0:1], s[22:23], 3
	v_addc_co_u32_e32 v3, vcc, 0, v3, vcc
	v_mov_b32_e32 v4, s1
.LBB81_6:                               ; =>This Inner Loop Header: Depth=1
	global_load_dwordx2 v[6:7], v[2:3], off
	v_add_co_u32_e32 v2, vcc, s0, v2
	s_add_i32 s24, s24, -1
	v_addc_co_u32_e32 v3, vcc, v3, v4, vcc
	s_cmp_lg_u32 s24, 0
	s_waitcnt vmcnt(0)
	ds_write_b64 v1, v[6:7]
	v_add_u32_e32 v1, 0x60, v1
	s_cbranch_scc1 .LBB81_6
.LBB81_7:
	s_cmpk_eq_i32 s10, 0x84
	s_cbranch_scc0 .LBB81_9
; %bb.8:
	v_mul_u32_u24_e32 v1, 13, v0
	v_lshlrev_b32_e32 v1, 3, v1
	v_mov_b32_e32 v2, 0
	v_mov_b32_e32 v3, 0x3ff00000
	ds_write_b64 v1, v[2:3]
.LBB81_9:
	s_or_b64 exec, exec, s[18:19]
	s_load_dword s1, s[4:5], 0x68
	s_load_dwordx2 s[14:15], s[4:5], 0x58
	s_load_dword s0, s[4:5], 0x50
	s_mul_i32 s23, s6, 0x60
	s_mul_hi_i32 s22, s6, 0x60
	s_mov_b32 s26, 0
	s_waitcnt lgkmcnt(0)
	s_mul_i32 s5, s7, s15
	s_mul_hi_u32 s10, s7, s14
	s_mul_i32 s4, s7, s14
	s_add_i32 s5, s10, s5
	s_lshl_b64 s[14:15], s[4:5], 3
	s_add_u32 s7, s2, s14
	s_addc_u32 s10, s3, s15
	s_lshl_b64 s[4:5], s[16:17], 3
	s_add_u32 s7, s7, s4
	s_mul_i32 s16, s6, -12
	s_addc_u32 s10, s10, s5
	s_add_i32 s1, s1, -1
	s_add_i32 s16, s16, s11
	s_cmp_ge_u32 s6, s1
	s_cselect_b32 s1, s16, 12
	s_add_u32 s24, s7, s23
	s_addc_u32 s25, s10, s22
	s_cmp_gt_i32 s30, 0
	v_cmp_gt_i32_e32 vcc, s1, v0
	s_cselect_b64 s[6:7], -1, 0
	s_and_b64 s[6:7], vcc, s[6:7]
	s_and_saveexec_b64 s[10:11], s[6:7]
	s_cbranch_execz .LBB81_16
; %bb.10:
	s_ashr_i32 s1, s0, 31
	s_cmp_lt_u32 s30, 4
	s_cbranch_scc1 .LBB81_13
; %bb.11:
	v_lshlrev_b32_e32 v1, 3, v0
	v_mov_b32_e32 v3, s25
	v_add_co_u32_e32 v2, vcc, s24, v1
	s_mul_hi_i32 s29, s0, 24
	s_lshl_b64 s[16:17], s[0:1], 5
	s_lshl_b64 s[18:19], s[0:1], 4
	;; [unrolled: 1-line block ×3, first 2 shown]
	v_mov_b32_e32 v1, 0x480
	v_addc_co_u32_e32 v3, vcc, 0, v3, vcc
	s_and_b32 s26, s30, 0x7ffffffc
	s_mul_i32 s27, s0, 24
	v_lshl_or_b32 v1, v0, 3, v1
	s_mov_b32 s28, 0
	v_mov_b32_e32 v4, s21
	v_mov_b32_e32 v5, s19
	;; [unrolled: 1-line block ×4, first 2 shown]
.LBB81_12:                              ; =>This Inner Loop Header: Depth=1
	v_add_co_u32_e32 v10, vcc, s20, v2
	v_addc_co_u32_e32 v11, vcc, v3, v4, vcc
	v_add_co_u32_e32 v12, vcc, s18, v2
	v_addc_co_u32_e32 v13, vcc, v3, v5, vcc
	global_load_dwordx2 v[8:9], v[2:3], off
	v_add_co_u32_e32 v14, vcc, s27, v2
	v_addc_co_u32_e32 v15, vcc, v3, v6, vcc
	global_load_dwordx2 v[16:17], v[10:11], off
	global_load_dwordx2 v[18:19], v[12:13], off
	;; [unrolled: 1-line block ×3, first 2 shown]
	s_add_i32 s28, s28, 4
	v_add_co_u32_e32 v2, vcc, s16, v2
	v_addc_co_u32_e32 v3, vcc, v3, v7, vcc
	s_cmp_lg_u32 s26, s28
	s_waitcnt vmcnt(3)
	v_mul_f64 v[8:9], v[8:9], s[12:13]
	s_waitcnt vmcnt(2)
	v_mul_f64 v[10:11], v[16:17], s[12:13]
	;; [unrolled: 2-line block ×4, first 2 shown]
	ds_write2_b64 v1, v[8:9], v[10:11] offset1:12
	ds_write2_b64 v1, v[12:13], v[14:15] offset0:24 offset1:36
	v_add_u32_e32 v1, 0x180, v1
	s_cbranch_scc1 .LBB81_12
.LBB81_13:
	s_and_b32 s18, s30, 3
	s_cmp_eq_u32 s18, 0
	s_cbranch_scc1 .LBB81_16
; %bb.14:
	s_mul_i32 s16, s26, 0x60
	v_lshl_add_u32 v1, v0, 3, s16
	s_mul_hi_i32 s17, s0, s26
	s_mul_i32 s16, s0, s26
	s_lshl_b64 s[16:17], s[16:17], 3
	s_add_u32 s16, s14, s16
	s_addc_u32 s17, s15, s17
	s_add_u32 s16, s16, s23
	s_addc_u32 s17, s17, s22
	;; [unrolled: 2-line block ×3, first 2 shown]
	s_add_u32 s16, s2, s16
	v_lshlrev_b32_e32 v2, 3, v0
	s_addc_u32 s17, s3, s17
	v_mov_b32_e32 v3, s17
	v_add_co_u32_e32 v2, vcc, s16, v2
	s_lshl_b64 s[16:17], s[0:1], 3
	v_add_u32_e32 v1, 0x480, v1
	v_addc_co_u32_e32 v3, vcc, 0, v3, vcc
	v_mov_b32_e32 v4, s17
.LBB81_15:                              ; =>This Inner Loop Header: Depth=1
	global_load_dwordx2 v[6:7], v[2:3], off
	v_add_co_u32_e32 v2, vcc, s16, v2
	s_add_i32 s18, s18, -1
	v_addc_co_u32_e32 v3, vcc, v3, v4, vcc
	s_cmp_lg_u32 s18, 0
	s_waitcnt vmcnt(0)
	v_mul_f64 v[6:7], v[6:7], s[12:13]
	ds_write_b64 v1, v[6:7]
	v_add_u32_e32 v1, 0x60, v1
	s_cbranch_scc1 .LBB81_15
.LBB81_16:
	s_or_b64 exec, exec, s[10:11]
	s_cmpk_eq_i32 s9, 0x6f
	s_cselect_b64 s[12:13], -1, 0
	s_cmpk_eq_i32 s8, 0x79
	s_cselect_b64 s[16:17], -1, 0
	s_cmpk_lg_i32 s8, 0x79
	s_cselect_b64 s[10:11], -1, 0
	s_and_b64 s[16:17], s[16:17], s[12:13]
	s_andn2_b64 vcc, exec, s[16:17]
	s_mov_b64 s[16:17], -1
	s_waitcnt lgkmcnt(0)
	; wave barrier
	s_waitcnt lgkmcnt(0)
	s_cbranch_vccz .LBB81_80
; %bb.17:
	s_cmpk_lg_i32 s8, 0x7a
	s_cselect_b64 s[8:9], -1, 0
	s_xor_b64 s[12:13], s[12:13], -1
	s_or_b64 s[12:13], s[8:9], s[12:13]
	s_cmp_gt_i32 s30, 3
	s_cselect_b64 s[8:9], -1, 0
	s_and_b64 vcc, exec, s[12:13]
	s_cbranch_vccz .LBB81_59
; %bb.18:
	s_andn2_b64 vcc, exec, s[10:11]
	s_mov_b64 s[10:11], -1
	s_cbranch_vccnz .LBB81_38
; %bb.19:
	s_andn2_b64 vcc, exec, s[8:9]
	s_mov_b32 s11, 0
	s_cbranch_vccnz .LBB81_26
; %bb.20:
	v_mov_b32_e32 v1, 0x480
	v_lshl_or_b32 v1, v0, 3, v1
	s_mov_b32 s1, 0
	s_mov_b32 s10, 0
.LBB81_21:                              ; =>This Loop Header: Depth=1
                                        ;     Child Loop BB81_23 Depth 2
	s_mul_i32 s12, s10, 12
	v_add_lshl_u32 v10, s12, v0, 3
	s_add_i32 s11, s12, 12
	s_add_i32 s12, s12, 24
	v_add_lshl_u32 v12, s12, v0, 3
	v_add_lshl_u32 v11, s11, v0, 3
	ds_read_b64 v[8:9], v10 offset:1152
	ds_read_b64 v[6:7], v11 offset:1152
	ds_read2_b64 v[2:5], v12 offset0:144 offset1:156
	s_cmp_eq_u32 s10, 0
	s_cbranch_scc1 .LBB81_24
; %bb.22:                               ;   in Loop: Header=BB81_21 Depth=1
	s_mov_b32 s12, 0
	v_mov_b32_e32 v13, v1
	s_mov_b32 s13, s1
.LBB81_23:                              ;   Parent Loop BB81_21 Depth=1
                                        ; =>  This Inner Loop Header: Depth=2
	ds_read2_b64 v[14:17], v13 offset1:12
	v_mov_b32_e32 v50, s13
	ds_read2_b64 v[18:21], v13 offset0:24 offset1:36
	ds_read_b128 v[22:25], v50
	ds_read_b128 v[26:29], v50 offset:16
	ds_read_b128 v[30:33], v50 offset:96
	;; [unrolled: 1-line block ×7, first 2 shown]
	s_add_i32 s12, s12, 4
	s_waitcnt lgkmcnt(7)
	v_fma_f64 v[8:9], -v[14:15], v[22:23], v[8:9]
	v_fma_f64 v[6:7], -v[14:15], v[24:25], v[6:7]
	s_waitcnt lgkmcnt(6)
	v_fma_f64 v[2:3], -v[14:15], v[26:27], v[2:3]
	v_fma_f64 v[4:5], -v[14:15], v[28:29], v[4:5]
	;; [unrolled: 3-line block ×4, first 2 shown]
	s_addk_i32 s13, 0x180
	s_waitcnt lgkmcnt(3)
	v_fma_f64 v[8:9], -v[18:19], v[38:39], v[8:9]
	v_fma_f64 v[6:7], -v[18:19], v[40:41], v[6:7]
	s_waitcnt lgkmcnt(2)
	v_fma_f64 v[2:3], -v[18:19], v[42:43], v[2:3]
	v_fma_f64 v[4:5], -v[18:19], v[44:45], v[4:5]
	v_add_u32_e32 v13, 0x180, v13
	s_cmp_ge_u32 s12, s10
	s_waitcnt lgkmcnt(1)
	v_fma_f64 v[8:9], -v[20:21], v[46:47], v[8:9]
	v_fma_f64 v[6:7], -v[20:21], v[48:49], v[6:7]
	s_waitcnt lgkmcnt(0)
	v_fma_f64 v[2:3], -v[20:21], v[50:51], v[2:3]
	v_fma_f64 v[4:5], -v[20:21], v[52:53], v[4:5]
	s_cbranch_scc0 .LBB81_23
.LBB81_24:                              ;   in Loop: Header=BB81_21 Depth=1
	s_mul_i32 s12, s10, 0x68
	v_add_u32_e32 v13, 0x480, v10
	v_add_u32_e32 v10, 0x480, v12
	v_mov_b32_e32 v12, s12
	ds_read_b128 v[14:17], v12
	ds_read_b128 v[18:21], v12 offset:16
	ds_read2_b64 v[22:25], v12 offset0:13 offset1:14
	ds_read_b128 v[26:29], v12 offset:208
	s_add_i32 s11, s11, s10
	s_lshl_b32 s11, s11, 3
	s_waitcnt lgkmcnt(3)
	v_div_scale_f64 v[30:31], s[12:13], v[14:15], v[14:15], v[8:9]
	v_rcp_f64_e32 v[32:33], v[30:31]
	v_div_scale_f64 v[34:35], vcc, v[8:9], v[14:15], v[8:9]
	v_add_u32_e32 v11, 0x480, v11
	v_fma_f64 v[36:37], -v[30:31], v[32:33], 1.0
	v_fmac_f64_e32 v[32:33], v[32:33], v[36:37]
	v_fma_f64 v[36:37], -v[30:31], v[32:33], 1.0
	v_fmac_f64_e32 v[32:33], v[32:33], v[36:37]
	v_mul_f64 v[36:37], v[34:35], v[32:33]
	v_fma_f64 v[30:31], -v[30:31], v[36:37], v[34:35]
	v_div_fmas_f64 v[30:31], v[30:31], v[32:33], v[36:37]
	v_div_fixup_f64 v[8:9], v[30:31], v[14:15], v[8:9]
	v_fma_f64 v[6:7], -v[8:9], v[16:17], v[6:7]
	s_waitcnt lgkmcnt(1)
	v_div_scale_f64 v[14:15], s[12:13], v[22:23], v[22:23], v[6:7]
	v_rcp_f64_e32 v[16:17], v[14:15]
	v_div_scale_f64 v[30:31], vcc, v[6:7], v[22:23], v[6:7]
	v_fma_f64 v[2:3], -v[8:9], v[18:19], v[2:3]
	v_fma_f64 v[32:33], -v[14:15], v[16:17], 1.0
	v_fmac_f64_e32 v[16:17], v[16:17], v[32:33]
	v_fma_f64 v[32:33], -v[14:15], v[16:17], 1.0
	v_fmac_f64_e32 v[16:17], v[16:17], v[32:33]
	v_mul_f64 v[32:33], v[30:31], v[16:17]
	v_fma_f64 v[14:15], -v[14:15], v[32:33], v[30:31]
	v_div_fmas_f64 v[14:15], v[14:15], v[16:17], v[32:33]
	v_div_fixup_f64 v[6:7], v[14:15], v[22:23], v[6:7]
	v_fma_f64 v[2:3], -v[6:7], v[24:25], v[2:3]
	s_waitcnt lgkmcnt(0)
	v_div_scale_f64 v[14:15], s[12:13], v[26:27], v[26:27], v[2:3]
	v_rcp_f64_e32 v[16:17], v[14:15]
	v_fma_f64 v[4:5], -v[8:9], v[20:21], v[4:5]
	s_add_i32 s1, s1, 32
	v_fma_f64 v[18:19], -v[14:15], v[16:17], 1.0
	v_fmac_f64_e32 v[16:17], v[16:17], v[18:19]
	v_fma_f64 v[18:19], -v[14:15], v[16:17], 1.0
	v_fmac_f64_e32 v[16:17], v[16:17], v[18:19]
	v_div_scale_f64 v[18:19], vcc, v[2:3], v[26:27], v[2:3]
	v_mul_f64 v[22:23], v[18:19], v[16:17]
	v_fma_f64 v[14:15], -v[14:15], v[22:23], v[18:19]
	v_mov_b32_e32 v18, s11
	ds_read_b64 v[18:19], v18 offset:24
	v_div_fmas_f64 v[14:15], v[14:15], v[16:17], v[22:23]
	v_div_fixup_f64 v[2:3], v[14:15], v[26:27], v[2:3]
	ds_read_b64 v[14:15], v12 offset:312
	ds_write_b64 v13, v[8:9]
	ds_write_b64 v11, v[6:7]
	s_waitcnt lgkmcnt(3)
	v_fma_f64 v[4:5], -v[6:7], v[18:19], v[4:5]
	v_fma_f64 v[4:5], -v[2:3], v[28:29], v[4:5]
	s_add_i32 s11, s10, 4
	s_waitcnt lgkmcnt(2)
	v_div_scale_f64 v[16:17], s[12:13], v[14:15], v[14:15], v[4:5]
	v_rcp_f64_e32 v[18:19], v[16:17]
	s_add_i32 s10, s10, 7
	s_cmp_ge_i32 s10, s31
	v_fma_f64 v[6:7], -v[16:17], v[18:19], 1.0
	v_fmac_f64_e32 v[18:19], v[18:19], v[6:7]
	v_fma_f64 v[6:7], -v[16:17], v[18:19], 1.0
	v_fmac_f64_e32 v[18:19], v[18:19], v[6:7]
	v_div_scale_f64 v[6:7], vcc, v[4:5], v[14:15], v[4:5]
	v_mul_f64 v[8:9], v[6:7], v[18:19]
	v_fma_f64 v[6:7], -v[16:17], v[8:9], v[6:7]
	s_nop 1
	v_div_fmas_f64 v[6:7], v[6:7], v[18:19], v[8:9]
	v_div_fixup_f64 v[4:5], v[6:7], v[14:15], v[4:5]
	ds_write2_b64 v10, v[2:3], v[4:5] offset1:12
	s_cbranch_scc1 .LBB81_26
; %bb.25:                               ;   in Loop: Header=BB81_21 Depth=1
	s_mov_b32 s10, s11
	s_branch .LBB81_21
.LBB81_26:
	s_cmp_ge_i32 s11, s31
	s_cbranch_scc1 .LBB81_37
; %bb.27:
	v_mov_b32_e32 v1, 0x480
	s_add_i32 s1, s11, -1
	s_lshl_b32 s10, s11, 3
	v_lshl_or_b32 v1, v0, 3, v1
	s_mov_b32 s12, 0
	s_mov_b32 s13, s11
	s_branch .LBB81_29
.LBB81_28:                              ;   in Loop: Header=BB81_29 Depth=1
	s_mul_i32 s16, s11, 0x68
	v_mov_b32_e32 v5, s16
	ds_read_b64 v[6:7], v5
	v_add_u32_e32 v4, 0x480, v4
	s_add_i32 s11, s11, 1
	s_add_i32 s12, s12, 1
	;; [unrolled: 1-line block ×3, first 2 shown]
	s_waitcnt lgkmcnt(0)
	v_div_scale_f64 v[8:9], s[16:17], v[6:7], v[6:7], v[2:3]
	v_rcp_f64_e32 v[10:11], v[8:9]
	v_div_scale_f64 v[12:13], vcc, v[2:3], v[6:7], v[2:3]
	s_cmp_ge_i32 s11, s31
	v_fma_f64 v[14:15], -v[8:9], v[10:11], 1.0
	v_fmac_f64_e32 v[10:11], v[10:11], v[14:15]
	v_fma_f64 v[14:15], -v[8:9], v[10:11], 1.0
	v_fmac_f64_e32 v[10:11], v[10:11], v[14:15]
	v_mul_f64 v[14:15], v[12:13], v[10:11]
	v_fma_f64 v[8:9], -v[8:9], v[14:15], v[12:13]
	v_div_fmas_f64 v[8:9], v[8:9], v[10:11], v[14:15]
	v_div_fixup_f64 v[2:3], v[8:9], v[6:7], v[2:3]
	ds_write_b64 v4, v[2:3]
	v_add_u16_e64 v2, s13, 1
	v_readfirstlane_b32 s13, v2
	s_cbranch_scc1 .LBB81_37
.LBB81_29:                              ; =>This Loop Header: Depth=1
                                        ;     Child Loop BB81_32 Depth 2
                                        ;     Child Loop BB81_36 Depth 2
	s_mul_i32 s16, s11, 12
	v_add_lshl_u32 v4, s16, v0, 3
	ds_read_b64 v[2:3], v4 offset:1152
	s_cmp_eq_u32 s11, 0
	s_cbranch_scc1 .LBB81_28
; %bb.30:                               ;   in Loop: Header=BB81_29 Depth=1
	s_add_i32 s16, s1, s12
	s_cmp_lt_u32 s16, 7
	s_cbranch_scc1 .LBB81_34
; %bb.31:                               ;   in Loop: Header=BB81_29 Depth=1
	s_and_b32 s16, s11, -8
	s_mov_b32 s17, 0
	v_mov_b32_e32 v5, v1
	s_mov_b32 s18, s10
.LBB81_32:                              ;   Parent Loop BB81_29 Depth=1
                                        ; =>  This Inner Loop Header: Depth=2
	ds_read2_b64 v[6:9], v5 offset1:12
	v_mov_b32_e32 v34, s18
	ds_read2_b64 v[10:13], v5 offset0:24 offset1:36
	ds_read2_b64 v[14:17], v5 offset0:48 offset1:60
	ds_read2_b64 v[18:21], v5 offset0:72 offset1:84
	ds_read2_b64 v[22:25], v34 offset1:12
	ds_read2_b64 v[26:29], v34 offset0:24 offset1:36
	ds_read2_b64 v[30:33], v34 offset0:48 offset1:60
	;; [unrolled: 1-line block ×3, first 2 shown]
	s_add_i32 s17, s17, 8
	s_waitcnt lgkmcnt(3)
	v_fma_f64 v[2:3], -v[6:7], v[22:23], v[2:3]
	v_fma_f64 v[2:3], -v[8:9], v[24:25], v[2:3]
	s_waitcnt lgkmcnt(2)
	v_fma_f64 v[2:3], -v[10:11], v[26:27], v[2:3]
	v_fma_f64 v[2:3], -v[12:13], v[28:29], v[2:3]
	;; [unrolled: 3-line block ×3, first 2 shown]
	s_addk_i32 s18, 0x300
	s_waitcnt lgkmcnt(0)
	v_fma_f64 v[2:3], -v[18:19], v[34:35], v[2:3]
	v_add_u32_e32 v5, 0x300, v5
	s_cmp_eq_u32 s16, s17
	v_fma_f64 v[2:3], -v[20:21], v[36:37], v[2:3]
	s_cbranch_scc0 .LBB81_32
; %bb.33:                               ;   in Loop: Header=BB81_29 Depth=1
	s_and_b32 s17, s11, 7
	s_cmp_eq_u32 s17, 0
	s_cbranch_scc0 .LBB81_35
	s_branch .LBB81_28
.LBB81_34:                              ;   in Loop: Header=BB81_29 Depth=1
	s_mov_b32 s16, 0
	s_and_b32 s17, s11, 7
	s_cmp_eq_u32 s17, 0
	s_cbranch_scc1 .LBB81_28
.LBB81_35:                              ;   in Loop: Header=BB81_29 Depth=1
	s_and_b32 s17, s13, 7
	s_mulk_i32 s16, 0x60
.LBB81_36:                              ;   Parent Loop BB81_29 Depth=1
                                        ; =>  This Inner Loop Header: Depth=2
	v_add_u32_e32 v5, s16, v1
	s_add_i32 s18, s10, s16
	ds_read_b64 v[6:7], v5
	v_mov_b32_e32 v5, s18
	ds_read_b64 v[8:9], v5
	s_addk_i32 s16, 0x60
	s_add_i32 s17, s17, -1
	s_cmp_lg_u32 s17, 0
	s_waitcnt lgkmcnt(0)
	v_fma_f64 v[2:3], -v[6:7], v[8:9], v[2:3]
	s_cbranch_scc1 .LBB81_36
	s_branch .LBB81_28
.LBB81_37:
	s_mov_b64 s[10:11], 0
.LBB81_38:
	s_and_b64 vcc, exec, s[10:11]
	s_cbranch_vccz .LBB81_58
; %bb.39:
	s_andn2_b64 vcc, exec, s[8:9]
	s_mov_b32 s11, s33
	s_cbranch_vccnz .LBB81_45
; %bb.40:
	s_mul_i32 s1, s31, 0x60
	v_lshl_add_u32 v1, v0, 3, s1
	s_mul_i32 s1, s31, 0x68
	v_add_u32_e32 v1, 0x300, v1
	s_addk_i32 s1, 0xfe60
	s_mov_b32 s10, s33
.LBB81_41:                              ; =>This Loop Header: Depth=1
                                        ;     Child Loop BB81_42 Depth 2
	s_mul_i32 s13, s10, 12
	s_sub_i32 s11, s13, 24
	v_add_lshl_u32 v10, s13, v0, 3
	s_add_i32 s12, s13, -12
	v_add_lshl_u32 v12, s11, v0, 3
	v_add_lshl_u32 v11, s12, v0, 3
	ds_read_b64 v[8:9], v10 offset:1152
	ds_read_b64 v[6:7], v11 offset:1152
	ds_read2_b64 v[2:5], v12 offset0:132 offset1:144
	s_cmp_le_i32 s33, s10
	s_mov_b32 s16, s1
	v_mov_b32_e32 v13, v1
	s_mov_b32 s17, s33
	s_cbranch_scc1 .LBB81_43
.LBB81_42:                              ;   Parent Loop BB81_41 Depth=1
                                        ; =>  This Inner Loop Header: Depth=2
	ds_read2_b64 v[14:17], v13 offset0:24 offset1:36
	v_mov_b32_e32 v50, s16
	ds_read2_b64 v[18:21], v13 offset1:12
	ds_read2_b64 v[22:25], v50 offset0:38 offset1:39
	ds_read2_b64 v[26:29], v50 offset0:36 offset1:37
	;; [unrolled: 1-line block ×7, first 2 shown]
	ds_read2_b64 v[50:53], v50 offset1:1
	s_add_i32 s17, s17, -4
	s_waitcnt lgkmcnt(7)
	v_fma_f64 v[8:9], -v[16:17], v[24:25], v[8:9]
	v_fma_f64 v[6:7], -v[16:17], v[22:23], v[6:7]
	s_waitcnt lgkmcnt(6)
	v_fma_f64 v[4:5], -v[16:17], v[28:29], v[4:5]
	v_fma_f64 v[2:3], -v[16:17], v[26:27], v[2:3]
	;; [unrolled: 3-line block ×4, first 2 shown]
	s_addk_i32 s16, 0xfe80
	s_waitcnt lgkmcnt(3)
	v_fma_f64 v[8:9], -v[20:21], v[40:41], v[8:9]
	v_fma_f64 v[6:7], -v[20:21], v[38:39], v[6:7]
	s_waitcnt lgkmcnt(2)
	v_fma_f64 v[4:5], -v[20:21], v[44:45], v[4:5]
	v_fma_f64 v[2:3], -v[20:21], v[42:43], v[2:3]
	v_add_u32_e32 v13, 0xfffffe80, v13
	s_cmp_le_i32 s17, s10
	s_waitcnt lgkmcnt(1)
	v_fma_f64 v[8:9], -v[18:19], v[48:49], v[8:9]
	v_fma_f64 v[6:7], -v[18:19], v[46:47], v[6:7]
	s_waitcnt lgkmcnt(0)
	v_fma_f64 v[4:5], -v[18:19], v[52:53], v[4:5]
	v_fma_f64 v[2:3], -v[18:19], v[50:51], v[2:3]
	s_cbranch_scc0 .LBB81_42
.LBB81_43:                              ;   in Loop: Header=BB81_41 Depth=1
	s_add_i32 s16, s10, s13
	s_lshl_b32 s16, s16, 3
	s_add_i32 s16, s16, -8
	v_add_u32_e32 v13, 0x480, v10
	v_add_u32_e32 v14, 0x480, v12
	;; [unrolled: 1-line block ×3, first 2 shown]
	v_mov_b32_e32 v12, s16
	ds_read2_b64 v[16:19], v12 offset1:1
	s_mul_i32 s18, s10, 0x68
	s_add_i32 s16, s18, 0xffffff98
	v_mov_b32_e32 v12, s16
	ds_read_b64 v[20:21], v12
	s_waitcnt lgkmcnt(1)
	v_div_scale_f64 v[22:23], s[16:17], v[18:19], v[18:19], v[8:9]
	v_rcp_f64_e32 v[24:25], v[22:23]
	v_div_scale_f64 v[26:27], vcc, v[8:9], v[18:19], v[8:9]
	v_add_u32_e32 v11, 0x480, v11
	v_fma_f64 v[28:29], -v[22:23], v[24:25], 1.0
	v_fmac_f64_e32 v[24:25], v[24:25], v[28:29]
	v_fma_f64 v[28:29], -v[22:23], v[24:25], 1.0
	v_fmac_f64_e32 v[24:25], v[24:25], v[28:29]
	v_mul_f64 v[28:29], v[26:27], v[24:25]
	v_fma_f64 v[22:23], -v[22:23], v[28:29], v[26:27]
	v_div_fmas_f64 v[22:23], v[22:23], v[24:25], v[28:29]
	v_div_fixup_f64 v[22:23], v[22:23], v[18:19], v[8:9]
	v_fma_f64 v[24:25], -v[22:23], v[16:17], v[6:7]
	s_waitcnt lgkmcnt(0)
	v_div_scale_f64 v[6:7], s[16:17], v[20:21], v[20:21], v[24:25]
	v_rcp_f64_e32 v[26:27], v[6:7]
	s_add_i32 s16, s10, -3
	s_add_i32 s13, s13, s16
	s_lshl_b32 s13, s13, 3
	v_fma_f64 v[8:9], -v[6:7], v[26:27], 1.0
	v_fmac_f64_e32 v[26:27], v[26:27], v[8:9]
	v_fma_f64 v[8:9], -v[6:7], v[26:27], 1.0
	v_fmac_f64_e32 v[26:27], v[26:27], v[8:9]
	v_div_scale_f64 v[8:9], vcc, v[24:25], v[20:21], v[24:25]
	v_mul_f64 v[28:29], v[8:9], v[26:27]
	s_add_i32 s12, s12, s16
	v_fma_f64 v[30:31], -v[6:7], v[28:29], v[8:9]
	v_mov_b32_e32 v6, s13
	s_lshl_b32 s12, s12, 3
	v_mov_b32_e32 v12, s12
	ds_read2_b64 v[6:9], v6 offset1:1
	ds_read2_b64 v[16:19], v12 offset1:1
	s_add_i32 s11, s11, s16
	v_div_fmas_f64 v[26:27], v[30:31], v[26:27], v[28:29]
	s_lshl_b32 s11, s11, 3
	v_div_fixup_f64 v[24:25], v[26:27], v[20:21], v[24:25]
	s_waitcnt lgkmcnt(1)
	v_fma_f64 v[4:5], -v[22:23], v[8:9], v[4:5]
	v_mov_b32_e32 v8, s11
	s_waitcnt lgkmcnt(0)
	v_fma_f64 v[4:5], -v[24:25], v[18:19], v[4:5]
	ds_read2_b64 v[18:21], v8 offset1:1
	s_add_i32 s11, s18, 0xfffffec8
	v_mov_b32_e32 v8, s11
	ds_read_b64 v[8:9], v8
	v_fma_f64 v[2:3], -v[22:23], v[6:7], v[2:3]
	s_waitcnt lgkmcnt(1)
	v_div_scale_f64 v[26:27], s[12:13], v[20:21], v[20:21], v[4:5]
	v_rcp_f64_e32 v[28:29], v[26:27]
	v_fma_f64 v[2:3], -v[24:25], v[16:17], v[2:3]
	s_add_i32 s11, s10, -4
	s_sub_i32 s1, s1, 32
	v_fma_f64 v[30:31], -v[26:27], v[28:29], 1.0
	v_fmac_f64_e32 v[28:29], v[28:29], v[30:31]
	v_fma_f64 v[30:31], -v[26:27], v[28:29], 1.0
	v_fmac_f64_e32 v[28:29], v[28:29], v[30:31]
	v_div_scale_f64 v[30:31], vcc, v[4:5], v[20:21], v[4:5]
	v_mul_f64 v[32:33], v[30:31], v[28:29]
	v_fma_f64 v[26:27], -v[26:27], v[32:33], v[30:31]
	s_cmp_lt_i32 s10, 7
	s_nop 0
	v_div_fmas_f64 v[26:27], v[26:27], v[28:29], v[32:33]
	v_div_fixup_f64 v[4:5], v[26:27], v[20:21], v[4:5]
	v_fma_f64 v[2:3], -v[4:5], v[18:19], v[2:3]
	s_waitcnt lgkmcnt(0)
	v_div_scale_f64 v[6:7], s[12:13], v[8:9], v[8:9], v[2:3]
	v_rcp_f64_e32 v[16:17], v[6:7]
	ds_write_b64 v13, v[22:23]
	ds_write_b64 v11, v[24:25]
	;; [unrolled: 1-line block ×3, first 2 shown]
	v_fma_f64 v[4:5], -v[6:7], v[16:17], 1.0
	v_fmac_f64_e32 v[16:17], v[16:17], v[4:5]
	v_fma_f64 v[4:5], -v[6:7], v[16:17], 1.0
	v_fmac_f64_e32 v[16:17], v[16:17], v[4:5]
	v_div_scale_f64 v[4:5], vcc, v[2:3], v[8:9], v[2:3]
	v_mul_f64 v[12:13], v[4:5], v[16:17]
	v_fma_f64 v[4:5], -v[6:7], v[12:13], v[4:5]
	s_nop 1
	v_div_fmas_f64 v[4:5], v[4:5], v[16:17], v[12:13]
	v_div_fixup_f64 v[2:3], v[4:5], v[8:9], v[2:3]
	ds_write_b64 v10, v[2:3]
	s_cbranch_scc1 .LBB81_45
; %bb.44:                               ;   in Loop: Header=BB81_41 Depth=1
	s_mov_b32 s10, s11
	s_branch .LBB81_41
.LBB81_45:
	s_cmp_lt_i32 s11, 0
	s_cbranch_scc1 .LBB81_58
; %bb.46:
	s_bitcmp1_b32 s11, 0
	s_cselect_b64 s[12:13], -1, 0
	s_and_b64 vcc, exec, s[12:13]
	s_mov_b32 s1, s11
	s_cbranch_vccnz .LBB81_51
; %bb.47:
	s_mul_i32 s1, s11, 12
	v_add_lshl_u32 v1, s1, v0, 3
	ds_read_b64 v[2:3], v1 offset:1152
	s_cmp_le_i32 s33, s11
	s_cbranch_scc1 .LBB81_50
; %bb.48:
	s_mul_i32 s10, s31, 0x60
	s_lshl_b32 s1, s11, 3
	s_add_i32 s1, s10, s1
	v_lshl_add_u32 v4, v0, 3, s10
	s_addk_i32 s1, 0xffa0
	v_add_u32_e32 v4, 0x420, v4
	s_mov_b32 s10, s33
.LBB81_49:                              ; =>This Inner Loop Header: Depth=1
	v_mov_b32_e32 v5, s1
	ds_read_b64 v[6:7], v4
	ds_read_b64 v[8:9], v5
	s_add_i32 s10, s10, -1
	s_addk_i32 s1, 0xffa0
	v_add_u32_e32 v4, 0xffffffa0, v4
	s_cmp_gt_i32 s10, s11
	s_waitcnt lgkmcnt(0)
	v_fma_f64 v[2:3], -v[6:7], v[8:9], v[2:3]
	s_cbranch_scc1 .LBB81_49
.LBB81_50:
	s_mul_i32 s1, s11, 0x68
	v_mov_b32_e32 v4, s1
	ds_read_b64 v[4:5], v4
	v_add_u32_e32 v1, 0x480, v1
	s_add_i32 s1, s11, -1
	s_waitcnt lgkmcnt(0)
	v_div_scale_f64 v[6:7], s[12:13], v[4:5], v[4:5], v[2:3]
	v_rcp_f64_e32 v[8:9], v[6:7]
	v_div_scale_f64 v[10:11], vcc, v[2:3], v[4:5], v[2:3]
	v_fma_f64 v[12:13], -v[6:7], v[8:9], 1.0
	v_fmac_f64_e32 v[8:9], v[8:9], v[12:13]
	v_fma_f64 v[12:13], -v[6:7], v[8:9], 1.0
	v_fmac_f64_e32 v[8:9], v[8:9], v[12:13]
	v_mul_f64 v[12:13], v[10:11], v[8:9]
	v_fma_f64 v[6:7], -v[6:7], v[12:13], v[10:11]
	v_div_fmas_f64 v[6:7], v[6:7], v[8:9], v[12:13]
	v_div_fixup_f64 v[2:3], v[6:7], v[4:5], v[2:3]
	ds_write_b64 v1, v[2:3]
.LBB81_51:
	s_cmp_eq_u32 s11, 0
	s_cbranch_scc1 .LBB81_58
; %bb.52:
	s_mul_i32 s11, s31, 0x60
	s_lshl_b32 s10, s1, 3
	s_add_i32 s12, s11, s10
	v_lshl_add_u32 v1, v0, 3, s11
	s_add_i32 s10, s12, 0xffffffa0
	v_add_u32_e32 v1, 0x420, v1
	s_add_i32 s11, s12, 0xffffff98
	s_branch .LBB81_54
.LBB81_53:                              ;   in Loop: Header=BB81_54 Depth=1
	s_addk_i32 s12, 0xff98
	v_mov_b32_e32 v4, s12
	ds_read_b64 v[4:5], v4
	s_add_i32 s16, s1, -2
	s_add_i32 s10, s10, -16
	;; [unrolled: 1-line block ×3, first 2 shown]
	s_cmp_lt_i32 s1, 2
	s_waitcnt lgkmcnt(0)
	v_div_scale_f64 v[8:9], s[12:13], v[4:5], v[4:5], v[2:3]
	v_rcp_f64_e32 v[10:11], v[8:9]
	v_div_scale_f64 v[12:13], vcc, v[2:3], v[4:5], v[2:3]
	s_mov_b32 s1, s16
	v_fma_f64 v[14:15], -v[8:9], v[10:11], 1.0
	v_fmac_f64_e32 v[10:11], v[10:11], v[14:15]
	v_fma_f64 v[14:15], -v[8:9], v[10:11], 1.0
	v_fmac_f64_e32 v[10:11], v[10:11], v[14:15]
	v_mul_f64 v[14:15], v[12:13], v[10:11]
	v_fma_f64 v[8:9], -v[8:9], v[14:15], v[12:13]
	v_div_fmas_f64 v[8:9], v[8:9], v[10:11], v[14:15]
	v_div_fixup_f64 v[2:3], v[8:9], v[4:5], v[2:3]
	ds_write_b64 v6, v[2:3]
	s_cbranch_scc1 .LBB81_58
.LBB81_54:                              ; =>This Loop Header: Depth=1
                                        ;     Child Loop BB81_55 Depth 2
                                        ;     Child Loop BB81_57 Depth 2
	s_mul_i32 s12, s1, 12
	v_add_lshl_u32 v2, s12, v0, 3
	ds_read_b64 v[4:5], v2 offset:1152
	s_cmp_le_i32 s33, s1
	v_mov_b32_e32 v3, v1
	s_mov_b32 s12, s10
	s_mov_b32 s13, s33
	s_cbranch_scc1 .LBB81_56
.LBB81_55:                              ;   Parent Loop BB81_54 Depth=1
                                        ; =>  This Inner Loop Header: Depth=2
	v_mov_b32_e32 v8, s12
	ds_read_b64 v[6:7], v3
	ds_read_b64 v[8:9], v8
	s_add_i32 s13, s13, -1
	s_addk_i32 s12, 0xffa0
	v_add_u32_e32 v3, 0xffffffa0, v3
	s_cmp_le_i32 s13, s1
	s_waitcnt lgkmcnt(0)
	v_fma_f64 v[4:5], -v[6:7], v[8:9], v[4:5]
	s_cbranch_scc0 .LBB81_55
.LBB81_56:                              ;   in Loop: Header=BB81_54 Depth=1
	s_mul_i32 s12, s1, 0x68
	v_add_u32_e32 v7, 0x480, v2
	v_mov_b32_e32 v2, s12
	ds_read_b64 v[8:9], v2
	v_add_u32_e32 v6, 0xffffffa0, v7
	ds_read_b64 v[2:3], v6
	s_cmp_lt_i32 s33, s1
	s_mov_b32 s13, s11
	s_waitcnt lgkmcnt(1)
	v_div_scale_f64 v[10:11], s[16:17], v[8:9], v[8:9], v[4:5]
	v_rcp_f64_e32 v[12:13], v[10:11]
	v_div_scale_f64 v[14:15], vcc, v[4:5], v[8:9], v[4:5]
	s_mov_b32 s16, s31
	v_fma_f64 v[16:17], -v[10:11], v[12:13], 1.0
	v_fmac_f64_e32 v[12:13], v[12:13], v[16:17]
	v_fma_f64 v[16:17], -v[10:11], v[12:13], 1.0
	v_fmac_f64_e32 v[12:13], v[12:13], v[16:17]
	v_mul_f64 v[16:17], v[14:15], v[12:13]
	v_fma_f64 v[10:11], -v[10:11], v[16:17], v[14:15]
	v_div_fmas_f64 v[10:11], v[10:11], v[12:13], v[16:17]
	v_div_fixup_f64 v[4:5], v[10:11], v[8:9], v[4:5]
	ds_write_b64 v7, v[4:5]
	v_mov_b32_e32 v4, v1
	s_cbranch_scc1 .LBB81_53
.LBB81_57:                              ;   Parent Loop BB81_54 Depth=1
                                        ; =>  This Inner Loop Header: Depth=2
	v_mov_b32_e32 v5, s13
	ds_read_b64 v[8:9], v4
	ds_read_b64 v[10:11], v5
	s_add_i32 s16, s16, -1
	s_addk_i32 s13, 0xffa0
	v_add_u32_e32 v4, 0xffffffa0, v4
	s_cmp_gt_i32 s16, s1
	s_waitcnt lgkmcnt(0)
	v_fma_f64 v[2:3], -v[8:9], v[10:11], v[2:3]
	s_cbranch_scc1 .LBB81_57
	s_branch .LBB81_53
.LBB81_58:
	s_mov_b64 s[16:17], 0
.LBB81_59:
	s_andn2_b64 vcc, exec, s[16:17]
	s_cbranch_vccnz .LBB81_79
; %bb.60:
	s_andn2_b64 vcc, exec, s[8:9]
	s_mov_b32 s9, s33
	s_cbranch_vccnz .LBB81_66
; %bb.61:
	s_mul_i32 s8, s31, 0x60
	s_mul_i32 s1, s31, 0x68
	v_lshl_add_u32 v1, v0, 3, s8
	s_addk_i32 s1, 0xfe60
	v_add_u32_e32 v1, 0x300, v1
	s_mov_b32 s8, s33
.LBB81_62:                              ; =>This Loop Header: Depth=1
                                        ;     Child Loop BB81_63 Depth 2
	s_mul_i32 s9, s8, 12
	s_add_i32 s10, s9, -12
	v_add_lshl_u32 v10, s9, v0, 3
	v_add_lshl_u32 v11, s10, v0, 3
	s_sub_i32 s10, s9, 24
	s_sub_i32 s9, s9, 36
	v_add_lshl_u32 v12, s10, v0, 3
	v_add_lshl_u32 v13, s9, v0, 3
	ds_read_b64 v[8:9], v10 offset:1152
	ds_read_b64 v[6:7], v11 offset:1152
	;; [unrolled: 1-line block ×4, first 2 shown]
	s_cmp_le_i32 s33, s8
	v_mov_b32_e32 v14, v1
	s_mov_b32 s11, s1
	s_mov_b32 s12, s33
	s_cbranch_scc1 .LBB81_64
.LBB81_63:                              ;   Parent Loop BB81_62 Depth=1
                                        ; =>  This Inner Loop Header: Depth=2
	ds_read2_b64 v[16:19], v14 offset0:24 offset1:36
	v_mov_b32_e32 v15, s11
	ds_read2_b64 v[20:23], v14 offset1:12
	ds_read2_b64 v[24:27], v15 offset0:38 offset1:39
	ds_read2_b64 v[28:31], v15 offset0:36 offset1:37
	;; [unrolled: 1-line block ×7, first 2 shown]
	ds_read2_b64 v[52:55], v15 offset1:1
	s_add_i32 s12, s12, -4
	s_waitcnt lgkmcnt(7)
	v_fma_f64 v[8:9], -v[18:19], v[26:27], v[8:9]
	s_waitcnt lgkmcnt(5)
	v_fma_f64 v[6:7], -v[18:19], v[34:35], v[6:7]
	;; [unrolled: 2-line block ×4, first 2 shown]
	v_fma_f64 v[8:9], -v[16:17], v[24:25], v[8:9]
	v_fma_f64 v[6:7], -v[16:17], v[32:33], v[6:7]
	;; [unrolled: 1-line block ×4, first 2 shown]
	s_sub_i32 s11, s11, 32
	v_fma_f64 v[8:9], -v[22:23], v[30:31], v[8:9]
	v_fma_f64 v[6:7], -v[22:23], v[38:39], v[6:7]
	;; [unrolled: 1-line block ×3, first 2 shown]
	s_waitcnt lgkmcnt(0)
	v_fma_f64 v[2:3], -v[22:23], v[54:55], v[2:3]
	v_add_u32_e32 v14, 0xfffffe80, v14
	s_cmp_le_i32 s12, s8
	v_fma_f64 v[8:9], -v[20:21], v[28:29], v[8:9]
	v_fma_f64 v[6:7], -v[20:21], v[36:37], v[6:7]
	;; [unrolled: 1-line block ×4, first 2 shown]
	s_cbranch_scc0 .LBB81_63
.LBB81_64:                              ;   in Loop: Header=BB81_62 Depth=1
	s_mul_i32 s16, s8, 0x68
	v_add_u32_e32 v14, 0x480, v10
	v_add_u32_e32 v10, 0x480, v13
	v_mov_b32_e32 v13, s16
	ds_read_b64 v[20:21], v13
	s_add_i32 s11, s16, 0xffffff98
	v_mov_b32_e32 v13, s11
	ds_read2_b64 v[16:19], v13 offset1:1
	s_add_i32 s10, s10, s8
	s_waitcnt lgkmcnt(1)
	v_div_scale_f64 v[22:23], s[12:13], v[20:21], v[20:21], v[8:9]
	v_rcp_f64_e32 v[24:25], v[22:23]
	v_div_scale_f64 v[26:27], vcc, v[8:9], v[20:21], v[8:9]
	s_lshl_b32 s10, s10, 3
	v_fma_f64 v[28:29], -v[22:23], v[24:25], 1.0
	v_fmac_f64_e32 v[24:25], v[24:25], v[28:29]
	v_fma_f64 v[28:29], -v[22:23], v[24:25], 1.0
	v_fmac_f64_e32 v[24:25], v[24:25], v[28:29]
	v_mul_f64 v[28:29], v[26:27], v[24:25]
	v_fma_f64 v[22:23], -v[22:23], v[28:29], v[26:27]
	v_div_fmas_f64 v[22:23], v[22:23], v[24:25], v[28:29]
	v_div_fixup_f64 v[24:25], v[22:23], v[20:21], v[8:9]
	s_waitcnt lgkmcnt(0)
	v_fma_f64 v[18:19], -v[24:25], v[18:19], v[6:7]
	v_div_scale_f64 v[6:7], s[12:13], v[16:17], v[16:17], v[18:19]
	v_rcp_f64_e32 v[20:21], v[6:7]
	v_div_scale_f64 v[8:9], vcc, v[18:19], v[16:17], v[18:19]
	s_add_i32 s9, s8, s9
	v_fma_f64 v[22:23], -v[6:7], v[20:21], 1.0
	v_fmac_f64_e32 v[20:21], v[20:21], v[22:23]
	v_fma_f64 v[22:23], -v[6:7], v[20:21], 1.0
	v_fmac_f64_e32 v[20:21], v[20:21], v[22:23]
	v_mul_f64 v[22:23], v[8:9], v[20:21]
	v_fma_f64 v[26:27], -v[6:7], v[22:23], v[8:9]
	v_mov_b32_e32 v6, s10
	s_add_i32 s10, s16, 0xffffff30
	v_mov_b32_e32 v7, s10
	ds_read_b64 v[28:29], v6
	ds_read2_b64 v[6:9], v7 offset1:1
	v_div_fmas_f64 v[20:21], v[26:27], v[20:21], v[22:23]
	v_div_fixup_f64 v[26:27], v[20:21], v[16:17], v[18:19]
	s_lshl_b32 s9, s9, 3
	s_waitcnt lgkmcnt(1)
	v_fma_f64 v[4:5], -v[24:25], v[28:29], v[4:5]
	s_waitcnt lgkmcnt(0)
	v_fma_f64 v[4:5], -v[26:27], v[8:9], v[4:5]
	v_div_scale_f64 v[8:9], s[10:11], v[6:7], v[6:7], v[4:5]
	v_rcp_f64_e32 v[28:29], v[8:9]
	s_add_i32 s9, s9, -8
	v_mov_b32_e32 v13, s9
	s_add_i32 s9, s16, 0xfffffec8
	v_fma_f64 v[16:17], -v[8:9], v[28:29], 1.0
	v_fmac_f64_e32 v[28:29], v[28:29], v[16:17]
	v_fma_f64 v[16:17], -v[8:9], v[28:29], 1.0
	v_fmac_f64_e32 v[28:29], v[28:29], v[16:17]
	v_div_scale_f64 v[16:17], vcc, v[4:5], v[6:7], v[4:5]
	v_mul_f64 v[30:31], v[16:17], v[28:29]
	v_fma_f64 v[8:9], -v[8:9], v[30:31], v[16:17]
	v_mov_b32_e32 v15, s9
	ds_read2_b64 v[16:19], v13 offset1:1
	ds_read2_b64 v[20:23], v15 offset1:1
	v_div_fmas_f64 v[8:9], v[8:9], v[28:29], v[30:31]
	v_div_fixup_f64 v[4:5], v[8:9], v[6:7], v[4:5]
	v_add_u32_e32 v11, 0x480, v11
	s_waitcnt lgkmcnt(1)
	v_fma_f64 v[2:3], -v[24:25], v[18:19], v[2:3]
	v_fma_f64 v[2:3], -v[26:27], v[16:17], v[2:3]
	s_waitcnt lgkmcnt(0)
	v_fma_f64 v[2:3], -v[4:5], v[22:23], v[2:3]
	v_div_scale_f64 v[6:7], s[10:11], v[20:21], v[20:21], v[2:3]
	v_rcp_f64_e32 v[8:9], v[6:7]
	v_add_u32_e32 v12, 0x480, v12
	ds_write_b64 v14, v[24:25]
	ds_write_b64 v11, v[26:27]
	;; [unrolled: 1-line block ×3, first 2 shown]
	s_add_i32 s9, s8, -4
	v_fma_f64 v[4:5], -v[6:7], v[8:9], 1.0
	v_fmac_f64_e32 v[8:9], v[8:9], v[4:5]
	v_fma_f64 v[4:5], -v[6:7], v[8:9], 1.0
	v_fmac_f64_e32 v[8:9], v[8:9], v[4:5]
	v_div_scale_f64 v[4:5], vcc, v[2:3], v[20:21], v[2:3]
	v_mul_f64 v[12:13], v[4:5], v[8:9]
	v_fma_f64 v[4:5], -v[6:7], v[12:13], v[4:5]
	s_addk_i32 s1, 0xfe80
	s_nop 0
	v_div_fmas_f64 v[4:5], v[4:5], v[8:9], v[12:13]
	v_div_fixup_f64 v[2:3], v[4:5], v[20:21], v[2:3]
	s_cmp_lt_i32 s8, 7
	ds_write_b64 v10, v[2:3]
	s_cbranch_scc1 .LBB81_66
; %bb.65:                               ;   in Loop: Header=BB81_62 Depth=1
	s_mov_b32 s8, s9
	s_branch .LBB81_62
.LBB81_66:
	s_cmp_lt_i32 s9, 0
	s_cbranch_scc1 .LBB81_79
; %bb.67:
	s_bitcmp1_b32 s9, 0
	s_cselect_b64 s[10:11], -1, 0
	s_and_b64 vcc, exec, s[10:11]
	s_mov_b32 s1, s9
	s_cbranch_vccnz .LBB81_72
; %bb.68:
	s_mul_i32 s1, s9, 12
	v_add_lshl_u32 v1, s1, v0, 3
	ds_read_b64 v[2:3], v1 offset:1152
	s_cmp_le_i32 s33, s9
	s_cbranch_scc1 .LBB81_71
; %bb.69:
	s_mul_i32 s1, s9, 0x60
	s_lshl_b32 s8, s31, 3
	s_add_i32 s1, s1, s8
	s_mul_i32 s8, s31, 0x60
	v_lshl_add_u32 v4, v0, 3, s8
	s_add_i32 s1, s1, -8
	v_add_u32_e32 v4, 0x420, v4
	s_mov_b32 s8, s33
.LBB81_70:                              ; =>This Inner Loop Header: Depth=1
	v_mov_b32_e32 v5, s1
	ds_read_b64 v[6:7], v4
	ds_read_b64 v[8:9], v5
	s_add_i32 s8, s8, -1
	s_add_i32 s1, s1, -8
	v_add_u32_e32 v4, 0xffffffa0, v4
	s_cmp_gt_i32 s8, s9
	s_waitcnt lgkmcnt(0)
	v_fma_f64 v[2:3], -v[6:7], v[8:9], v[2:3]
	s_cbranch_scc1 .LBB81_70
.LBB81_71:
	s_mul_i32 s1, s9, 0x68
	v_mov_b32_e32 v4, s1
	ds_read_b64 v[4:5], v4
	v_add_u32_e32 v1, 0x480, v1
	s_add_i32 s1, s9, -1
	s_waitcnt lgkmcnt(0)
	v_div_scale_f64 v[6:7], s[10:11], v[4:5], v[4:5], v[2:3]
	v_rcp_f64_e32 v[8:9], v[6:7]
	v_div_scale_f64 v[10:11], vcc, v[2:3], v[4:5], v[2:3]
	v_fma_f64 v[12:13], -v[6:7], v[8:9], 1.0
	v_fmac_f64_e32 v[8:9], v[8:9], v[12:13]
	v_fma_f64 v[12:13], -v[6:7], v[8:9], 1.0
	v_fmac_f64_e32 v[8:9], v[8:9], v[12:13]
	v_mul_f64 v[12:13], v[10:11], v[8:9]
	v_fma_f64 v[6:7], -v[6:7], v[12:13], v[10:11]
	v_div_fmas_f64 v[6:7], v[6:7], v[8:9], v[12:13]
	v_div_fixup_f64 v[2:3], v[6:7], v[4:5], v[2:3]
	ds_write_b64 v1, v[2:3]
.LBB81_72:
	s_cmp_eq_u32 s9, 0
	s_cbranch_scc1 .LBB81_79
; %bb.73:
	s_mul_i32 s8, s1, 0x60
	s_lshl_b32 s9, s31, 3
	s_mul_i32 s10, s31, 0x60
	s_add_i32 s9, s8, s9
	v_lshl_add_u32 v1, v0, 3, s10
	s_add_i32 s8, s9, -8
	v_add_u32_e32 v1, 0x420, v1
	s_addk_i32 s9, 0xff98
	s_branch .LBB81_75
.LBB81_74:                              ;   in Loop: Header=BB81_75 Depth=1
	s_addk_i32 s10, 0xff98
	v_mov_b32_e32 v5, s10
	v_add_u32_e32 v4, 0x480, v6
	ds_read_b64 v[6:7], v5
	s_add_i32 s12, s1, -2
	s_addk_i32 s8, 0xff40
	s_addk_i32 s9, 0xff40
	s_cmp_lt_i32 s1, 2
	s_waitcnt lgkmcnt(0)
	v_div_scale_f64 v[8:9], s[10:11], v[6:7], v[6:7], v[2:3]
	v_rcp_f64_e32 v[10:11], v[8:9]
	v_div_scale_f64 v[12:13], vcc, v[2:3], v[6:7], v[2:3]
	s_mov_b32 s1, s12
	v_fma_f64 v[14:15], -v[8:9], v[10:11], 1.0
	v_fmac_f64_e32 v[10:11], v[10:11], v[14:15]
	v_fma_f64 v[14:15], -v[8:9], v[10:11], 1.0
	v_fmac_f64_e32 v[10:11], v[10:11], v[14:15]
	v_mul_f64 v[14:15], v[12:13], v[10:11]
	v_fma_f64 v[8:9], -v[8:9], v[14:15], v[12:13]
	v_div_fmas_f64 v[8:9], v[8:9], v[10:11], v[14:15]
	v_div_fixup_f64 v[2:3], v[8:9], v[6:7], v[2:3]
	ds_write_b64 v4, v[2:3]
	s_cbranch_scc1 .LBB81_79
.LBB81_75:                              ; =>This Loop Header: Depth=1
                                        ;     Child Loop BB81_76 Depth 2
                                        ;     Child Loop BB81_78 Depth 2
	s_mul_i32 s11, s1, 12
	v_add_lshl_u32 v2, s11, v0, 3
	ds_read_b64 v[4:5], v2 offset:1152
	s_cmp_le_i32 s33, s1
	v_mov_b32_e32 v3, v1
	s_mov_b32 s10, s8
	s_mov_b32 s12, s33
	s_cbranch_scc1 .LBB81_77
.LBB81_76:                              ;   Parent Loop BB81_75 Depth=1
                                        ; =>  This Inner Loop Header: Depth=2
	v_mov_b32_e32 v8, s10
	ds_read_b64 v[6:7], v3
	ds_read_b64 v[8:9], v8
	s_add_i32 s12, s12, -1
	s_add_i32 s10, s10, -8
	v_add_u32_e32 v3, 0xffffffa0, v3
	s_cmp_le_i32 s12, s1
	s_waitcnt lgkmcnt(0)
	v_fma_f64 v[4:5], -v[6:7], v[8:9], v[4:5]
	s_cbranch_scc0 .LBB81_76
.LBB81_77:                              ;   in Loop: Header=BB81_75 Depth=1
	s_mul_i32 s10, s1, 0x68
	v_add_u32_e32 v7, 0x480, v2
	v_mov_b32_e32 v2, s10
	ds_read_b64 v[8:9], v2
	s_add_i32 s11, s11, -12
	v_add_lshl_u32 v6, s11, v0, 3
	ds_read_b64 v[2:3], v6 offset:1152
	s_cmp_lt_i32 s33, s1
	s_waitcnt lgkmcnt(1)
	v_div_scale_f64 v[10:11], s[12:13], v[8:9], v[8:9], v[4:5]
	v_rcp_f64_e32 v[12:13], v[10:11]
	v_div_scale_f64 v[14:15], vcc, v[4:5], v[8:9], v[4:5]
	s_mov_b32 s11, s9
	v_fma_f64 v[16:17], -v[10:11], v[12:13], 1.0
	v_fmac_f64_e32 v[12:13], v[12:13], v[16:17]
	v_fma_f64 v[16:17], -v[10:11], v[12:13], 1.0
	v_fmac_f64_e32 v[12:13], v[12:13], v[16:17]
	v_mul_f64 v[16:17], v[14:15], v[12:13]
	v_fma_f64 v[10:11], -v[10:11], v[16:17], v[14:15]
	v_div_fmas_f64 v[10:11], v[10:11], v[12:13], v[16:17]
	v_div_fixup_f64 v[4:5], v[10:11], v[8:9], v[4:5]
	ds_write_b64 v7, v[4:5]
	v_mov_b32_e32 v4, v1
	s_mov_b32 s12, s31
	s_cbranch_scc1 .LBB81_74
.LBB81_78:                              ;   Parent Loop BB81_75 Depth=1
                                        ; =>  This Inner Loop Header: Depth=2
	v_mov_b32_e32 v5, s11
	ds_read_b64 v[8:9], v4
	ds_read_b64 v[10:11], v5
	s_add_i32 s12, s12, -1
	s_add_i32 s11, s11, -8
	v_add_u32_e32 v4, 0xffffffa0, v4
	s_cmp_gt_i32 s12, s1
	s_waitcnt lgkmcnt(0)
	v_fma_f64 v[2:3], -v[8:9], v[10:11], v[2:3]
	s_cbranch_scc1 .LBB81_78
	s_branch .LBB81_74
.LBB81_79:
	s_mov_b64 s[16:17], 0
.LBB81_80:
	s_andn2_b64 vcc, exec, s[16:17]
	s_cbranch_vccnz .LBB81_99
; %bb.81:
	s_cmp_lt_i32 s30, 4
	s_mov_b32 s9, 0
	s_cbranch_scc1 .LBB81_88
; %bb.82:
	v_mov_b32_e32 v1, 0x480
	v_lshl_or_b32 v1, v0, 3, v1
	s_mov_b32 s1, 0
	s_mov_b32 s8, 0
.LBB81_83:                              ; =>This Loop Header: Depth=1
                                        ;     Child Loop BB81_85 Depth 2
	s_mul_i32 s9, s8, 12
	v_add_lshl_u32 v10, s9, v0, 3
	s_add_i32 s11, s9, 12
	s_add_i32 s10, s9, 24
	;; [unrolled: 1-line block ×3, first 2 shown]
	v_add_lshl_u32 v11, s11, v0, 3
	v_add_lshl_u32 v12, s10, v0, 3
	;; [unrolled: 1-line block ×3, first 2 shown]
	ds_read_b64 v[8:9], v10 offset:1152
	ds_read_b64 v[6:7], v11 offset:1152
	;; [unrolled: 1-line block ×4, first 2 shown]
	s_cmp_eq_u32 s8, 0
	s_cbranch_scc1 .LBB81_86
; %bb.84:                               ;   in Loop: Header=BB81_83 Depth=1
	s_mov_b32 s12, 0
	v_mov_b32_e32 v14, v1
	s_mov_b32 s13, s1
.LBB81_85:                              ;   Parent Loop BB81_83 Depth=1
                                        ; =>  This Inner Loop Header: Depth=2
	ds_read2_b64 v[16:19], v14 offset1:12
	v_mov_b32_e32 v15, s13
	ds_read2_b64 v[20:23], v14 offset0:24 offset1:36
	ds_read_b128 v[24:27], v15
	ds_read_b128 v[28:31], v15 offset:16
	ds_read_b128 v[32:35], v15 offset:96
	;; [unrolled: 1-line block ×7, first 2 shown]
	s_add_i32 s12, s12, 4
	s_waitcnt lgkmcnt(7)
	v_fma_f64 v[8:9], -v[16:17], v[24:25], v[8:9]
	s_waitcnt lgkmcnt(5)
	v_fma_f64 v[6:7], -v[16:17], v[32:33], v[6:7]
	;; [unrolled: 2-line block ×4, first 2 shown]
	v_fma_f64 v[8:9], -v[18:19], v[26:27], v[8:9]
	v_fma_f64 v[6:7], -v[18:19], v[34:35], v[6:7]
	;; [unrolled: 1-line block ×4, first 2 shown]
	s_add_i32 s13, s13, 32
	v_fma_f64 v[8:9], -v[20:21], v[28:29], v[8:9]
	v_fma_f64 v[6:7], -v[20:21], v[36:37], v[6:7]
	v_fma_f64 v[4:5], -v[20:21], v[44:45], v[4:5]
	s_waitcnt lgkmcnt(0)
	v_fma_f64 v[2:3], -v[20:21], v[52:53], v[2:3]
	v_add_u32_e32 v14, 0x180, v14
	s_cmp_ge_u32 s12, s8
	v_fma_f64 v[8:9], -v[22:23], v[30:31], v[8:9]
	v_fma_f64 v[6:7], -v[22:23], v[38:39], v[6:7]
	;; [unrolled: 1-line block ×4, first 2 shown]
	s_cbranch_scc0 .LBB81_85
.LBB81_86:                              ;   in Loop: Header=BB81_83 Depth=1
	s_mul_i32 s12, s8, 0x68
	v_add_u32_e32 v14, 0x480, v10
	v_add_u32_e32 v10, 0x480, v13
	v_mov_b32_e32 v13, s12
	ds_read2_b64 v[16:19], v13 offset1:26
	s_add_i32 s11, s11, s8
	s_lshl_b32 s11, s11, 3
	v_mov_b32_e32 v13, s11
	s_add_i32 s10, s10, s8
	s_waitcnt lgkmcnt(0)
	v_div_scale_f64 v[20:21], s[12:13], v[16:17], v[16:17], v[8:9]
	v_rcp_f64_e32 v[22:23], v[20:21]
	v_div_scale_f64 v[24:25], vcc, v[8:9], v[16:17], v[8:9]
	s_lshl_b32 s10, s10, 3
	v_fma_f64 v[26:27], -v[20:21], v[22:23], 1.0
	v_fmac_f64_e32 v[22:23], v[22:23], v[26:27]
	v_fma_f64 v[26:27], -v[20:21], v[22:23], 1.0
	v_fmac_f64_e32 v[22:23], v[22:23], v[26:27]
	v_mul_f64 v[26:27], v[24:25], v[22:23]
	v_fma_f64 v[20:21], -v[20:21], v[26:27], v[24:25]
	v_div_fmas_f64 v[20:21], v[20:21], v[22:23], v[26:27]
	v_div_fixup_f64 v[8:9], v[20:21], v[16:17], v[8:9]
	ds_read_b128 v[20:23], v13
	v_mov_b32_e32 v13, s10
	ds_read_b128 v[24:27], v13
	s_add_i32 s9, s9, s8
	s_lshl_b32 s9, s9, 3
	s_waitcnt lgkmcnt(1)
	v_fma_f64 v[6:7], -v[8:9], v[20:21], v[6:7]
	v_div_scale_f64 v[16:17], s[10:11], v[22:23], v[22:23], v[6:7]
	v_rcp_f64_e32 v[20:21], v[16:17]
	s_waitcnt lgkmcnt(0)
	v_fma_f64 v[4:5], -v[8:9], v[24:25], v[4:5]
	v_mov_b32_e32 v13, s9
	v_add_u32_e32 v11, 0x480, v11
	v_fma_f64 v[28:29], -v[16:17], v[20:21], 1.0
	v_fmac_f64_e32 v[20:21], v[20:21], v[28:29]
	v_fma_f64 v[28:29], -v[16:17], v[20:21], 1.0
	v_fmac_f64_e32 v[20:21], v[20:21], v[28:29]
	v_div_scale_f64 v[28:29], vcc, v[6:7], v[22:23], v[6:7]
	v_mul_f64 v[30:31], v[28:29], v[20:21]
	v_fma_f64 v[16:17], -v[16:17], v[30:31], v[28:29]
	v_add_u32_e32 v12, 0x480, v12
	s_nop 0
	v_div_fmas_f64 v[16:17], v[16:17], v[20:21], v[30:31]
	v_div_fixup_f64 v[16:17], v[16:17], v[22:23], v[6:7]
	v_fma_f64 v[24:25], -v[16:17], v[26:27], v[4:5]
	v_div_scale_f64 v[4:5], s[10:11], v[18:19], v[18:19], v[24:25]
	v_rcp_f64_e32 v[26:27], v[4:5]
	s_add_i32 s9, s8, 4
	s_add_i32 s8, s8, 7
	s_addk_i32 s1, 0x180
	v_fma_f64 v[6:7], -v[4:5], v[26:27], 1.0
	v_fmac_f64_e32 v[26:27], v[26:27], v[6:7]
	v_fma_f64 v[6:7], -v[4:5], v[26:27], 1.0
	v_fmac_f64_e32 v[26:27], v[26:27], v[6:7]
	v_div_scale_f64 v[6:7], vcc, v[24:25], v[18:19], v[24:25]
	v_mul_f64 v[28:29], v[6:7], v[26:27]
	v_fma_f64 v[30:31], -v[4:5], v[28:29], v[6:7]
	ds_read_b128 v[4:7], v13
	ds_read_b128 v[20:23], v13 offset:16
	v_div_fmas_f64 v[26:27], v[30:31], v[26:27], v[28:29]
	v_div_fixup_f64 v[18:19], v[26:27], v[18:19], v[24:25]
	ds_write_b64 v14, v[8:9]
	ds_write_b64 v11, v[16:17]
	;; [unrolled: 1-line block ×3, first 2 shown]
	s_waitcnt lgkmcnt(4)
	v_fma_f64 v[2:3], -v[8:9], v[4:5], v[2:3]
	v_fma_f64 v[2:3], -v[16:17], v[6:7], v[2:3]
	s_waitcnt lgkmcnt(3)
	v_fma_f64 v[2:3], -v[18:19], v[20:21], v[2:3]
	v_div_scale_f64 v[4:5], s[10:11], v[22:23], v[22:23], v[2:3]
	v_rcp_f64_e32 v[6:7], v[4:5]
	s_cmp_ge_i32 s8, s31
	v_fma_f64 v[8:9], -v[4:5], v[6:7], 1.0
	v_fmac_f64_e32 v[6:7], v[6:7], v[8:9]
	v_fma_f64 v[8:9], -v[4:5], v[6:7], 1.0
	v_fmac_f64_e32 v[6:7], v[6:7], v[8:9]
	v_div_scale_f64 v[8:9], vcc, v[2:3], v[22:23], v[2:3]
	v_mul_f64 v[12:13], v[8:9], v[6:7]
	v_fma_f64 v[4:5], -v[4:5], v[12:13], v[8:9]
	s_nop 1
	v_div_fmas_f64 v[4:5], v[4:5], v[6:7], v[12:13]
	v_div_fixup_f64 v[2:3], v[4:5], v[22:23], v[2:3]
	ds_write_b64 v10, v[2:3]
	s_cbranch_scc1 .LBB81_88
; %bb.87:                               ;   in Loop: Header=BB81_83 Depth=1
	s_mov_b32 s8, s9
	s_branch .LBB81_83
.LBB81_88:
	s_cmp_ge_i32 s9, s31
	s_cbranch_scc1 .LBB81_99
; %bb.89:
	v_mov_b32_e32 v1, 0x480
	s_add_i32 s1, s9, -1
	s_mul_i32 s8, s9, 0x60
	v_lshl_or_b32 v1, v0, 3, v1
	s_mov_b32 s10, 0
	s_mov_b32 s11, s9
	s_branch .LBB81_91
.LBB81_90:                              ;   in Loop: Header=BB81_91 Depth=1
	s_mul_i32 s12, s9, 0x68
	v_mov_b32_e32 v5, s12
	ds_read_b64 v[6:7], v5
	v_add_u32_e32 v4, 0x480, v4
	s_add_i32 s9, s9, 1
	s_add_i32 s10, s10, 1
	s_addk_i32 s8, 0x60
	s_waitcnt lgkmcnt(0)
	v_div_scale_f64 v[8:9], s[12:13], v[6:7], v[6:7], v[2:3]
	v_rcp_f64_e32 v[10:11], v[8:9]
	v_div_scale_f64 v[12:13], vcc, v[2:3], v[6:7], v[2:3]
	s_cmp_ge_i32 s9, s31
	v_fma_f64 v[14:15], -v[8:9], v[10:11], 1.0
	v_fmac_f64_e32 v[10:11], v[10:11], v[14:15]
	v_fma_f64 v[14:15], -v[8:9], v[10:11], 1.0
	v_fmac_f64_e32 v[10:11], v[10:11], v[14:15]
	v_mul_f64 v[14:15], v[12:13], v[10:11]
	v_fma_f64 v[8:9], -v[8:9], v[14:15], v[12:13]
	v_div_fmas_f64 v[8:9], v[8:9], v[10:11], v[14:15]
	v_div_fixup_f64 v[2:3], v[8:9], v[6:7], v[2:3]
	ds_write_b64 v4, v[2:3]
	v_add_u16_e64 v2, s11, 1
	v_readfirstlane_b32 s11, v2
	s_cbranch_scc1 .LBB81_99
.LBB81_91:                              ; =>This Loop Header: Depth=1
                                        ;     Child Loop BB81_94 Depth 2
                                        ;     Child Loop BB81_98 Depth 2
	s_mul_i32 s12, s9, 12
	v_add_lshl_u32 v4, s12, v0, 3
	ds_read_b64 v[2:3], v4 offset:1152
	s_cmp_eq_u32 s9, 0
	s_cbranch_scc1 .LBB81_90
; %bb.92:                               ;   in Loop: Header=BB81_91 Depth=1
	s_add_i32 s12, s1, s10
	s_cmp_lt_u32 s12, 7
	s_cbranch_scc1 .LBB81_96
; %bb.93:                               ;   in Loop: Header=BB81_91 Depth=1
	s_and_b32 s12, s9, -8
	s_mov_b32 s13, 0
	v_mov_b32_e32 v5, v1
	s_mov_b32 s16, s8
.LBB81_94:                              ;   Parent Loop BB81_91 Depth=1
                                        ; =>  This Inner Loop Header: Depth=2
	ds_read2_b64 v[6:9], v5 offset1:12
	v_mov_b32_e32 v34, s16
	ds_read2_b64 v[10:13], v5 offset0:24 offset1:36
	ds_read2_b64 v[14:17], v5 offset0:48 offset1:60
	;; [unrolled: 1-line block ×3, first 2 shown]
	ds_read_b128 v[22:25], v34
	ds_read_b128 v[26:29], v34 offset:16
	ds_read_b128 v[30:33], v34 offset:32
	;; [unrolled: 1-line block ×3, first 2 shown]
	s_add_i32 s13, s13, 8
	s_waitcnt lgkmcnt(3)
	v_fma_f64 v[2:3], -v[6:7], v[22:23], v[2:3]
	v_fma_f64 v[2:3], -v[8:9], v[24:25], v[2:3]
	s_waitcnt lgkmcnt(2)
	v_fma_f64 v[2:3], -v[10:11], v[26:27], v[2:3]
	v_fma_f64 v[2:3], -v[12:13], v[28:29], v[2:3]
	;; [unrolled: 3-line block ×3, first 2 shown]
	s_add_i32 s16, s16, 64
	s_waitcnt lgkmcnt(0)
	v_fma_f64 v[2:3], -v[18:19], v[34:35], v[2:3]
	v_add_u32_e32 v5, 0x300, v5
	s_cmp_eq_u32 s12, s13
	v_fma_f64 v[2:3], -v[20:21], v[36:37], v[2:3]
	s_cbranch_scc0 .LBB81_94
; %bb.95:                               ;   in Loop: Header=BB81_91 Depth=1
	s_and_b32 s13, s9, 7
	s_cmp_eq_u32 s13, 0
	s_cbranch_scc0 .LBB81_97
	s_branch .LBB81_90
.LBB81_96:                              ;   in Loop: Header=BB81_91 Depth=1
	s_mov_b32 s12, 0
	s_and_b32 s13, s9, 7
	s_cmp_eq_u32 s13, 0
	s_cbranch_scc1 .LBB81_90
.LBB81_97:                              ;   in Loop: Header=BB81_91 Depth=1
	s_lshl_b32 s16, s12, 3
	s_mulk_i32 s12, 0x60
	s_and_b32 s13, s11, 7
	v_add_u32_e32 v5, s12, v1
.LBB81_98:                              ;   Parent Loop BB81_91 Depth=1
                                        ; =>  This Inner Loop Header: Depth=2
	s_add_i32 s12, s8, s16
	v_mov_b32_e32 v8, s12
	ds_read_b64 v[6:7], v5
	ds_read_b64 v[8:9], v8
	s_add_i32 s16, s16, 8
	s_add_i32 s13, s13, -1
	v_add_u32_e32 v5, 0x60, v5
	s_cmp_lg_u32 s13, 0
	s_waitcnt lgkmcnt(0)
	v_fma_f64 v[2:3], -v[6:7], v[8:9], v[2:3]
	s_cbranch_scc1 .LBB81_98
	s_branch .LBB81_90
.LBB81_99:
	s_and_saveexec_b64 s[8:9], s[6:7]
	s_cbranch_execz .LBB81_106
; %bb.100:
	s_ashr_i32 s1, s0, 31
	s_mov_b32 s12, 0
	s_cmp_lt_u32 s30, 4
	v_lshlrev_b32_e32 v1, 3, v0
	s_cbranch_scc1 .LBB81_103
; %bb.101:
	v_mov_b32_e32 v3, s25
	v_add_co_u32_e32 v2, vcc, s24, v1
	s_mul_hi_i32 s17, s0, 24
	s_lshl_b64 s[6:7], s[0:1], 5
	s_lshl_b64 s[8:9], s[0:1], 4
	;; [unrolled: 1-line block ×3, first 2 shown]
	v_mov_b32_e32 v4, 0x480
	v_addc_co_u32_e32 v3, vcc, 0, v3, vcc
	s_and_b32 s12, s30, 0x7ffffffc
	s_mul_i32 s13, s0, 24
	v_lshl_or_b32 v4, v0, 3, v4
	s_mov_b32 s16, 0
	v_mov_b32_e32 v5, s11
	v_mov_b32_e32 v6, s9
	v_mov_b32_e32 v7, s17
	v_mov_b32_e32 v8, s7
.LBB81_102:                             ; =>This Inner Loop Header: Depth=1
	v_add_co_u32_e32 v18, vcc, s10, v2
	ds_read2_b64 v[10:13], v4 offset1:12
	v_addc_co_u32_e32 v19, vcc, v3, v5, vcc
	v_add_co_u32_e32 v20, vcc, s8, v2
	ds_read2_b64 v[14:17], v4 offset0:24 offset1:36
	v_addc_co_u32_e32 v21, vcc, v3, v6, vcc
	v_add_co_u32_e32 v22, vcc, s13, v2
	v_addc_co_u32_e32 v23, vcc, v3, v7, vcc
	s_add_i32 s16, s16, 4
	s_waitcnt lgkmcnt(1)
	global_store_dwordx2 v[2:3], v[10:11], off
	global_store_dwordx2 v[18:19], v[12:13], off
	s_waitcnt lgkmcnt(0)
	global_store_dwordx2 v[20:21], v[14:15], off
	global_store_dwordx2 v[22:23], v[16:17], off
	v_add_co_u32_e32 v2, vcc, s6, v2
	v_add_u32_e32 v4, 0x180, v4
	s_cmp_lg_u32 s12, s16
	v_addc_co_u32_e32 v3, vcc, v3, v8, vcc
	s_cbranch_scc1 .LBB81_102
.LBB81_103:
	s_and_b32 s6, s30, 3
	s_cmp_eq_u32 s6, 0
	s_cbranch_scc1 .LBB81_106
; %bb.104:
	s_mul_hi_i32 s9, s0, s12
	s_mul_i32 s8, s0, s12
	s_lshl_b64 s[8:9], s[8:9], 3
	s_add_u32 s7, s14, s8
	s_addc_u32 s8, s15, s9
	s_add_u32 s7, s7, s23
	s_addc_u32 s8, s8, s22
	;; [unrolled: 2-line block ×4, first 2 shown]
	v_add_co_u32_e32 v2, vcc, s2, v1
	s_mul_i32 s2, s12, 0x60
	v_mov_b32_e32 v3, s3
	s_lshl_b64 s[0:1], s[0:1], 3
	v_lshl_add_u32 v0, v0, 3, s2
	v_addc_co_u32_e32 v3, vcc, 0, v3, vcc
	v_add_u32_e32 v0, 0x480, v0
	v_mov_b32_e32 v1, s1
.LBB81_105:                             ; =>This Inner Loop Header: Depth=1
	ds_read_b64 v[4:5], v0
	s_add_i32 s6, s6, -1
	v_add_u32_e32 v0, 0x60, v0
	s_cmp_lg_u32 s6, 0
	s_waitcnt lgkmcnt(0)
	global_store_dwordx2 v[2:3], v[4:5], off
	v_add_co_u32_e32 v2, vcc, s0, v2
	v_addc_co_u32_e32 v3, vcc, v3, v1, vcc
	s_cbranch_scc1 .LBB81_105
.LBB81_106:
	s_endpgm
	.section	.rodata,"a",@progbits
	.p2align	6, 0x0
	.amdhsa_kernel _ZL31rocblas_trsm_small_right_deviceIddPKdPdLi12EEv13rocblas_fill_18rocblas_operation_17rocblas_diagonal_iiT0_T1_lilT2_lili
		.amdhsa_group_segment_fixed_size 2304
		.amdhsa_private_segment_fixed_size 0
		.amdhsa_kernarg_size 360
		.amdhsa_user_sgpr_count 6
		.amdhsa_user_sgpr_private_segment_buffer 1
		.amdhsa_user_sgpr_dispatch_ptr 0
		.amdhsa_user_sgpr_queue_ptr 0
		.amdhsa_user_sgpr_kernarg_segment_ptr 1
		.amdhsa_user_sgpr_dispatch_id 0
		.amdhsa_user_sgpr_flat_scratch_init 0
		.amdhsa_user_sgpr_kernarg_preload_length 0
		.amdhsa_user_sgpr_kernarg_preload_offset 0
		.amdhsa_user_sgpr_private_segment_size 0
		.amdhsa_uses_dynamic_stack 0
		.amdhsa_system_sgpr_private_segment_wavefront_offset 0
		.amdhsa_system_sgpr_workgroup_id_x 1
		.amdhsa_system_sgpr_workgroup_id_y 0
		.amdhsa_system_sgpr_workgroup_id_z 1
		.amdhsa_system_sgpr_workgroup_info 0
		.amdhsa_system_vgpr_workitem_id 0
		.amdhsa_next_free_vgpr 56
		.amdhsa_next_free_sgpr 38
		.amdhsa_accum_offset 56
		.amdhsa_reserve_vcc 1
		.amdhsa_reserve_flat_scratch 0
		.amdhsa_float_round_mode_32 0
		.amdhsa_float_round_mode_16_64 0
		.amdhsa_float_denorm_mode_32 3
		.amdhsa_float_denorm_mode_16_64 3
		.amdhsa_dx10_clamp 1
		.amdhsa_ieee_mode 1
		.amdhsa_fp16_overflow 0
		.amdhsa_tg_split 0
		.amdhsa_exception_fp_ieee_invalid_op 0
		.amdhsa_exception_fp_denorm_src 0
		.amdhsa_exception_fp_ieee_div_zero 0
		.amdhsa_exception_fp_ieee_overflow 0
		.amdhsa_exception_fp_ieee_underflow 0
		.amdhsa_exception_fp_ieee_inexact 0
		.amdhsa_exception_int_div_zero 0
	.end_amdhsa_kernel
	.section	.text._ZL31rocblas_trsm_small_right_deviceIddPKdPdLi12EEv13rocblas_fill_18rocblas_operation_17rocblas_diagonal_iiT0_T1_lilT2_lili,"axG",@progbits,_ZL31rocblas_trsm_small_right_deviceIddPKdPdLi12EEv13rocblas_fill_18rocblas_operation_17rocblas_diagonal_iiT0_T1_lilT2_lili,comdat
.Lfunc_end81:
	.size	_ZL31rocblas_trsm_small_right_deviceIddPKdPdLi12EEv13rocblas_fill_18rocblas_operation_17rocblas_diagonal_iiT0_T1_lilT2_lili, .Lfunc_end81-_ZL31rocblas_trsm_small_right_deviceIddPKdPdLi12EEv13rocblas_fill_18rocblas_operation_17rocblas_diagonal_iiT0_T1_lilT2_lili
                                        ; -- End function
	.section	.AMDGPU.csdata,"",@progbits
; Kernel info:
; codeLenInByte = 8016
; NumSgprs: 42
; NumVgprs: 56
; NumAgprs: 0
; TotalNumVgprs: 56
; ScratchSize: 0
; MemoryBound: 0
; FloatMode: 240
; IeeeMode: 1
; LDSByteSize: 2304 bytes/workgroup (compile time only)
; SGPRBlocks: 5
; VGPRBlocks: 6
; NumSGPRsForWavesPerEU: 42
; NumVGPRsForWavesPerEU: 56
; AccumOffset: 56
; Occupancy: 7
; WaveLimiterHint : 0
; COMPUTE_PGM_RSRC2:SCRATCH_EN: 0
; COMPUTE_PGM_RSRC2:USER_SGPR: 6
; COMPUTE_PGM_RSRC2:TRAP_HANDLER: 0
; COMPUTE_PGM_RSRC2:TGID_X_EN: 1
; COMPUTE_PGM_RSRC2:TGID_Y_EN: 0
; COMPUTE_PGM_RSRC2:TGID_Z_EN: 1
; COMPUTE_PGM_RSRC2:TIDIG_COMP_CNT: 0
; COMPUTE_PGM_RSRC3_GFX90A:ACCUM_OFFSET: 13
; COMPUTE_PGM_RSRC3_GFX90A:TG_SPLIT: 0
	.section	.text._ZL38rocblas_trsm_small_left_device_sharedBILi16ELi16ELb0EddPKdPdEv13rocblas_fill_18rocblas_operation_17rocblas_diagonal_iiT3_T4_lilT5_lili,"axG",@progbits,_ZL38rocblas_trsm_small_left_device_sharedBILi16ELi16ELb0EddPKdPdEv13rocblas_fill_18rocblas_operation_17rocblas_diagonal_iiT3_T4_lilT5_lili,comdat
	.globl	_ZL38rocblas_trsm_small_left_device_sharedBILi16ELi16ELb0EddPKdPdEv13rocblas_fill_18rocblas_operation_17rocblas_diagonal_iiT3_T4_lilT5_lili ; -- Begin function _ZL38rocblas_trsm_small_left_device_sharedBILi16ELi16ELb0EddPKdPdEv13rocblas_fill_18rocblas_operation_17rocblas_diagonal_iiT3_T4_lilT5_lili
	.p2align	8
	.type	_ZL38rocblas_trsm_small_left_device_sharedBILi16ELi16ELb0EddPKdPdEv13rocblas_fill_18rocblas_operation_17rocblas_diagonal_iiT3_T4_lilT5_lili,@function
_ZL38rocblas_trsm_small_left_device_sharedBILi16ELi16ELb0EddPKdPdEv13rocblas_fill_18rocblas_operation_17rocblas_diagonal_iiT3_T4_lilT5_lili: ; @_ZL38rocblas_trsm_small_left_device_sharedBILi16ELi16ELb0EddPKdPdEv13rocblas_fill_18rocblas_operation_17rocblas_diagonal_iiT3_T4_lilT5_lili
; %bb.0:
	s_load_dwordx4 s[8:11], s[4:5], 0x4
	s_load_dwordx4 s[12:15], s[4:5], 0x18
	s_load_dwordx2 s[20:21], s[4:5], 0x28
	s_load_dwordx4 s[0:3], s[4:5], 0x38
	s_load_dwordx2 s[16:17], s[4:5], 0x48
	s_waitcnt lgkmcnt(0)
	s_min_i32 s30, s10, 16
	s_mov_b32 s33, 0
	s_add_i32 s31, s30, -1
	v_cmp_gt_i32_e32 vcc, s30, v0
	s_and_saveexec_b64 s[18:19], vcc
	s_cbranch_execz .LBB82_10
; %bb.1:
	s_load_dword s22, s[4:5], 0x30
	s_mul_i32 s1, s7, s1
	s_mul_hi_u32 s24, s7, s0
	s_add_i32 s1, s24, s1
	s_mul_i32 s0, s7, s0
	s_waitcnt lgkmcnt(0)
	s_ashr_i32 s23, s22, 31
	s_cmp_lt_u32 s31, 3
	s_cbranch_scc1 .LBB82_4
; %bb.2:
	s_lshl_b64 s[24:25], s[0:1], 3
	s_add_u32 s26, s14, s24
	s_addc_u32 s27, s15, s25
	s_lshl_b64 s[24:25], s[20:21], 3
	s_add_u32 s24, s26, s24
	s_addc_u32 s25, s27, s25
	v_lshlrev_b32_e32 v1, 3, v0
	v_mov_b32_e32 v3, s25
	v_add_co_u32_e32 v2, vcc, s24, v1
	s_mul_hi_i32 s36, s22, 24
	s_lshl_b64 s[24:25], s[22:23], 5
	s_lshl_b64 s[26:27], s[22:23], 4
	;; [unrolled: 1-line block ×3, first 2 shown]
	v_addc_co_u32_e32 v3, vcc, 0, v3, vcc
	s_and_b32 s33, s30, -4
	s_mul_i32 s34, s22, 24
	s_mov_b32 s35, 0
	v_mov_b32_e32 v4, s29
	v_mov_b32_e32 v5, s27
	;; [unrolled: 1-line block ×4, first 2 shown]
.LBB82_3:                               ; =>This Inner Loop Header: Depth=1
	v_add_co_u32_e32 v10, vcc, s28, v2
	v_addc_co_u32_e32 v11, vcc, v3, v4, vcc
	v_add_co_u32_e32 v12, vcc, s26, v2
	v_addc_co_u32_e32 v13, vcc, v3, v5, vcc
	v_add_co_u32_e32 v14, vcc, s34, v2
	global_load_dwordx2 v[8:9], v[2:3], off
	v_addc_co_u32_e32 v15, vcc, v3, v6, vcc
	global_load_dwordx2 v[16:17], v[10:11], off
	global_load_dwordx2 v[18:19], v[12:13], off
	;; [unrolled: 1-line block ×3, first 2 shown]
	s_add_i32 s35, s35, 4
	v_add_co_u32_e32 v2, vcc, s24, v2
	v_addc_co_u32_e32 v3, vcc, v3, v7, vcc
	s_cmp_eq_u32 s33, s35
	s_waitcnt vmcnt(2)
	ds_write2_b64 v1, v[8:9], v[16:17] offset1:16
	s_waitcnt vmcnt(0)
	ds_write2_b64 v1, v[18:19], v[20:21] offset0:32 offset1:48
	v_add_u32_e32 v1, 0x200, v1
	s_cbranch_scc0 .LBB82_3
.LBB82_4:
	s_and_b32 s24, s30, 3
	s_cmp_eq_u32 s24, 0
	s_cbranch_scc1 .LBB82_7
; %bb.5:
	s_mul_i32 s25, s23, s33
	s_mul_hi_u32 s26, s22, s33
	s_add_i32 s27, s26, s25
	s_mul_i32 s26, s22, s33
	s_lshl_b64 s[0:1], s[0:1], 3
	s_lshl_b64 s[26:27], s[26:27], 3
	s_add_u32 s25, s0, s26
	s_addc_u32 s26, s1, s27
	s_lshl_b64 s[0:1], s[20:21], 3
	s_add_u32 s0, s25, s0
	s_addc_u32 s1, s26, s1
	s_add_u32 s0, s14, s0
	v_lshlrev_b32_e32 v2, 3, v0
	s_addc_u32 s1, s15, s1
	v_lshl_or_b32 v1, s33, 7, v2
	v_mov_b32_e32 v3, s1
	v_add_co_u32_e32 v2, vcc, s0, v2
	s_lshl_b64 s[0:1], s[22:23], 3
	v_addc_co_u32_e32 v3, vcc, 0, v3, vcc
	v_mov_b32_e32 v4, s1
.LBB82_6:                               ; =>This Inner Loop Header: Depth=1
	global_load_dwordx2 v[6:7], v[2:3], off
	v_add_co_u32_e32 v2, vcc, s0, v2
	s_add_i32 s24, s24, -1
	v_addc_co_u32_e32 v3, vcc, v3, v4, vcc
	s_cmp_lg_u32 s24, 0
	s_waitcnt vmcnt(0)
	ds_write_b64 v1, v[6:7]
	v_add_u32_e32 v1, 0x80, v1
	s_cbranch_scc1 .LBB82_6
.LBB82_7:
	v_mul_u32_u24_e32 v1, 17, v0
	v_mov_b32_e32 v2, 0
	s_cmpk_lg_i32 s9, 0x84
	v_lshlrev_b32_e32 v1, 3, v1
	v_mov_b32_e32 v3, 0x3ff00000
	s_cbranch_scc0 .LBB82_9
; %bb.8:
	ds_read_b64 v[2:3], v1
	s_waitcnt lgkmcnt(0)
	v_div_scale_f64 v[4:5], s[0:1], v[2:3], v[2:3], 1.0
	v_rcp_f64_e32 v[6:7], v[4:5]
	v_div_scale_f64 v[8:9], vcc, 1.0, v[2:3], 1.0
	v_fma_f64 v[10:11], -v[4:5], v[6:7], 1.0
	v_fmac_f64_e32 v[6:7], v[6:7], v[10:11]
	v_fma_f64 v[10:11], -v[4:5], v[6:7], 1.0
	v_fmac_f64_e32 v[6:7], v[6:7], v[10:11]
	v_mul_f64 v[10:11], v[8:9], v[6:7]
	v_fma_f64 v[4:5], -v[4:5], v[10:11], v[8:9]
	v_div_fmas_f64 v[4:5], v[4:5], v[6:7], v[10:11]
	v_div_fixup_f64 v[2:3], v[4:5], v[2:3], 1.0
.LBB82_9:
	ds_write_b64 v1, v[2:3]
.LBB82_10:
	s_or_b64 exec, exec, s[18:19]
	s_load_dword s9, s[4:5], 0x68
	s_load_dword s22, s[4:5], 0x50
	s_load_dwordx2 s[0:1], s[4:5], 0x58
	s_mov_b32 s18, 0
	s_waitcnt lgkmcnt(0)
	s_ashr_i32 s23, s22, 31
	s_mul_i32 s1, s7, s1
	s_mul_hi_u32 s4, s7, s0
	s_mul_i32 s0, s7, s0
	s_add_i32 s1, s4, s1
	s_lshl_b64 s[0:1], s[0:1], 3
	s_add_u32 s7, s2, s0
	s_addc_u32 s14, s3, s1
	s_lshl_b64 s[4:5], s[16:17], 3
	s_add_u32 s16, s7, s4
	s_addc_u32 s17, s14, s5
	s_lshl_b32 s14, s6, 4
	s_add_i32 s9, s9, -1
	s_sub_i32 s7, s11, s14
	s_cmp_ge_u32 s6, s9
	s_cselect_b32 s9, s7, 16
	s_mul_hi_i32 s7, s22, s14
	s_mul_i32 s6, s22, s14
	s_ashr_i32 s15, s14, 31
	s_lshl_b64 s[6:7], s[6:7], 3
	s_add_u32 s11, s16, s6
	s_addc_u32 s24, s17, s7
	s_cmp_gt_i32 s10, 0
	v_cmp_gt_i32_e32 vcc, s9, v0
	s_cselect_b64 s[6:7], -1, 0
	s_and_b64 s[6:7], vcc, s[6:7]
	s_and_saveexec_b64 s[16:17], s[6:7]
	s_cbranch_execz .LBB82_17
; %bb.11:
	s_cmp_lt_i32 s10, 8
	s_cbranch_scc1 .LBB82_14
; %bb.12:
	v_mad_i64_i32 v[2:3], s[18:19], s22, v0, 0
	v_lshlrev_b64 v[2:3], 3, v[2:3]
	v_mov_b32_e32 v4, s24
	v_add_co_u32_e32 v1, vcc, s11, v2
	v_addc_co_u32_e32 v2, vcc, v4, v3, vcc
	v_mov_b32_e32 v3, 0x800
	s_lshl_b32 s9, s30, 3
	v_lshl_or_b32 v3, v0, 3, v3
	s_and_b32 s9, s9, 0xc0
	s_mov_b32 s18, 0
	s_mov_b64 s[20:21], 0
.LBB82_13:                              ; =>This Inner Loop Header: Depth=1
	v_mov_b32_e32 v4, s21
	v_add_co_u32_e32 v20, vcc, s20, v1
	v_addc_co_u32_e32 v21, vcc, v2, v4, vcc
	global_load_dwordx4 v[4:7], v[20:21], off
	global_load_dwordx4 v[8:11], v[20:21], off offset:16
	global_load_dwordx4 v[12:15], v[20:21], off offset:32
	;; [unrolled: 1-line block ×3, first 2 shown]
	s_add_i32 s18, s18, 8
	s_add_u32 s20, s20, 64
	s_addc_u32 s21, s21, 0
	s_cmp_lg_u32 s9, s20
	s_waitcnt vmcnt(3)
	v_mul_f64 v[4:5], v[4:5], s[12:13]
	v_mul_f64 v[6:7], v[6:7], s[12:13]
	s_waitcnt vmcnt(2)
	v_mul_f64 v[8:9], v[8:9], s[12:13]
	v_mul_f64 v[10:11], v[10:11], s[12:13]
	;; [unrolled: 3-line block ×4, first 2 shown]
	ds_write2_b64 v3, v[4:5], v[6:7] offset1:16
	ds_write2_b64 v3, v[8:9], v[10:11] offset0:32 offset1:48
	ds_write2_b64 v3, v[12:13], v[14:15] offset0:64 offset1:80
	;; [unrolled: 1-line block ×3, first 2 shown]
	v_add_u32_e32 v3, 0x400, v3
	s_cbranch_scc1 .LBB82_13
.LBB82_14:
	s_and_b32 s9, s30, 7
	s_cmp_eq_u32 s9, 0
	s_mov_b32 s19, 0
	s_cbranch_scc1 .LBB82_17
; %bb.15:
	v_lshlrev_b32_e32 v2, 3, v0
	v_lshl_or_b32 v1, s18, 7, v2
	s_lshl_b64 s[20:21], s[14:15], 3
	s_lshl_b64 s[18:19], s[18:19], 3
	s_add_u32 s18, s2, s18
	s_addc_u32 s19, s3, s19
	s_add_u32 s18, s18, s4
	s_addc_u32 s19, s19, s5
	s_add_u32 s18, s18, s0
	v_mov_b32_e32 v3, s21
	v_add_co_u32_e32 v4, vcc, s20, v2
	s_addc_u32 s19, s19, s1
	v_addc_co_u32_e32 v5, vcc, 0, v3, vcc
	v_pk_mov_b32 v[2:3], s[18:19], s[18:19] op_sel:[0,1]
	v_mad_u64_u32 v[2:3], s[18:19], v4, s22, v[2:3]
	v_mul_lo_u32 v4, v4, s23
	v_mul_lo_u32 v5, v5, s22
	v_add_u32_e32 v1, 0x800, v1
	v_add3_u32 v3, v5, v3, v4
.LBB82_16:                              ; =>This Inner Loop Header: Depth=1
	global_load_dwordx2 v[4:5], v[2:3], off
	v_add_co_u32_e32 v2, vcc, 8, v2
	s_add_i32 s9, s9, -1
	v_addc_co_u32_e32 v3, vcc, 0, v3, vcc
	s_cmp_lg_u32 s9, 0
	s_waitcnt vmcnt(0)
	v_mul_f64 v[4:5], v[4:5], s[12:13]
	ds_write_b64 v1, v[4:5]
	v_add_u32_e32 v1, 0x80, v1
	s_cbranch_scc1 .LBB82_16
.LBB82_17:
	s_or_b64 exec, exec, s[16:17]
	s_cmpk_eq_i32 s8, 0x6f
	s_mov_b64 s[8:9], -1
	s_waitcnt lgkmcnt(0)
	; wave barrier
	s_waitcnt lgkmcnt(0)
	s_cbranch_scc1 .LBB82_42
; %bb.18:
	s_cmp_gt_i32 s10, 15
	s_cselect_b64 s[8:9], -1, 0
	s_and_b64 vcc, exec, s[8:9]
	s_cbranch_vccz .LBB82_20
; %bb.19:
	v_lshlrev_b32_e32 v1, 3, v0
	v_add_u32_e32 v1, 0x800, v1
	v_mov_b32_e32 v34, 0
	ds_read2_b64 v[18:21], v1 offset1:16
	ds_read2_b64 v[22:25], v1 offset0:32 offset1:48
	ds_read2_b64 v[26:29], v1 offset0:64 offset1:80
	;; [unrolled: 1-line block ×4, first 2 shown]
	ds_read2_b64 v[36:39], v34 offset1:34
	ds_read2_b64 v[10:13], v1 offset0:160 offset1:176
	ds_read_b128 v[40:43], v34 offset:128
	ds_read2_b64 v[6:9], v1 offset0:192 offset1:208
	ds_read2_b64 v[2:5], v1 offset0:224 offset1:240
	ds_read_b128 v[44:47], v34 offset:256
	s_waitcnt lgkmcnt(5)
	v_mul_f64 v[18:19], v[18:19], v[36:37]
	s_waitcnt lgkmcnt(3)
	v_fma_f64 v[20:21], -v[18:19], v[40:41], v[20:21]
	v_mul_f64 v[20:21], v[20:21], v[42:43]
	ds_read_b128 v[40:43], v34 offset:384
	s_waitcnt lgkmcnt(1)
	v_fma_f64 v[22:23], -v[18:19], v[44:45], v[22:23]
	v_fma_f64 v[22:23], -v[20:21], v[46:47], v[22:23]
	ds_read_b128 v[44:47], v34 offset:400
	v_mul_f64 v[22:23], v[22:23], v[38:39]
	ds_read_b128 v[36:39], v34 offset:512
	s_waitcnt lgkmcnt(2)
	v_fma_f64 v[24:25], -v[18:19], v[40:41], v[24:25]
	v_fma_f64 v[24:25], -v[20:21], v[42:43], v[24:25]
	ds_read_b128 v[40:43], v34 offset:528
	s_waitcnt lgkmcnt(2)
	v_fma_f64 v[24:25], -v[22:23], v[44:45], v[24:25]
	v_mul_f64 v[24:25], v[24:25], v[46:47]
	ds_write2_b64 v1, v[18:19], v[20:21] offset1:16
	ds_write2_b64 v1, v[22:23], v[24:25] offset0:32 offset1:48
	s_waitcnt lgkmcnt(3)
	v_fma_f64 v[26:27], -v[18:19], v[36:37], v[26:27]
	v_fma_f64 v[26:27], -v[20:21], v[38:39], v[26:27]
	ds_read2_b64 v[36:39], v34 offset0:68 offset1:102
	ds_read_b128 v[44:47], v34 offset:640
	s_waitcnt lgkmcnt(4)
	v_fma_f64 v[26:27], -v[22:23], v[40:41], v[26:27]
	v_fma_f64 v[26:27], -v[24:25], v[42:43], v[26:27]
	ds_read_b128 v[40:43], v34 offset:656
	ds_read_b128 v[48:51], v34 offset:672
	s_waitcnt lgkmcnt(2)
	v_fma_f64 v[28:29], -v[18:19], v[44:45], v[28:29]
	v_fma_f64 v[28:29], -v[20:21], v[46:47], v[28:29]
	v_mul_f64 v[26:27], v[26:27], v[36:37]
	s_waitcnt lgkmcnt(1)
	v_fma_f64 v[28:29], -v[22:23], v[40:41], v[28:29]
	v_fma_f64 v[28:29], -v[24:25], v[42:43], v[28:29]
	ds_read_b128 v[40:43], v34 offset:768
	ds_read_b128 v[44:47], v34 offset:784
	s_waitcnt lgkmcnt(2)
	v_fma_f64 v[28:29], -v[26:27], v[48:49], v[28:29]
	v_mul_f64 v[28:29], v[28:29], v[50:51]
	ds_read_b128 v[48:51], v34 offset:800
	s_waitcnt lgkmcnt(2)
	v_fma_f64 v[30:31], -v[18:19], v[40:41], v[30:31]
	v_fma_f64 v[30:31], -v[20:21], v[42:43], v[30:31]
	ds_read_b128 v[40:43], v34 offset:896
	s_waitcnt lgkmcnt(2)
	v_fma_f64 v[30:31], -v[22:23], v[44:45], v[30:31]
	v_fma_f64 v[30:31], -v[24:25], v[46:47], v[30:31]
	s_waitcnt lgkmcnt(1)
	v_fma_f64 v[30:31], -v[26:27], v[48:49], v[30:31]
	ds_read_b128 v[44:47], v34 offset:912
	v_fma_f64 v[30:31], -v[28:29], v[50:51], v[30:31]
	v_mul_f64 v[30:31], v[30:31], v[38:39]
	ds_read_b128 v[36:39], v34 offset:928
	s_waitcnt lgkmcnt(2)
	v_fma_f64 v[32:33], -v[18:19], v[40:41], v[32:33]
	v_fma_f64 v[32:33], -v[20:21], v[42:43], v[32:33]
	ds_read_b128 v[40:43], v34 offset:944
	s_waitcnt lgkmcnt(2)
	v_fma_f64 v[32:33], -v[22:23], v[44:45], v[32:33]
	v_fma_f64 v[32:33], -v[24:25], v[46:47], v[32:33]
	s_waitcnt lgkmcnt(1)
	v_fma_f64 v[32:33], -v[26:27], v[36:37], v[32:33]
	v_fma_f64 v[32:33], -v[28:29], v[38:39], v[32:33]
	ds_read_b128 v[36:39], v34 offset:1024
	s_waitcnt lgkmcnt(1)
	v_fma_f64 v[32:33], -v[30:31], v[40:41], v[32:33]
	v_mul_f64 v[32:33], v[32:33], v[42:43]
	ds_read_b128 v[40:43], v34 offset:1040
	ds_read_b128 v[44:47], v34 offset:1056
	s_waitcnt lgkmcnt(2)
	v_fma_f64 v[14:15], -v[18:19], v[36:37], v[14:15]
	v_fma_f64 v[14:15], -v[20:21], v[38:39], v[14:15]
	ds_read_b128 v[36:39], v34 offset:1072
	s_waitcnt lgkmcnt(2)
	v_fma_f64 v[14:15], -v[22:23], v[40:41], v[14:15]
	v_fma_f64 v[14:15], -v[24:25], v[42:43], v[14:15]
	ds_write2_b64 v1, v[26:27], v[28:29] offset0:64 offset1:80
	ds_write2_b64 v1, v[30:31], v[32:33] offset0:96 offset1:112
	s_waitcnt lgkmcnt(3)
	v_fma_f64 v[14:15], -v[26:27], v[44:45], v[14:15]
	v_fma_f64 v[14:15], -v[28:29], v[46:47], v[14:15]
	ds_read2_b64 v[40:43], v34 offset0:136 offset1:170
	ds_read_b128 v[44:47], v34 offset:1152
	s_waitcnt lgkmcnt(4)
	v_fma_f64 v[14:15], -v[30:31], v[36:37], v[14:15]
	v_fma_f64 v[14:15], -v[32:33], v[38:39], v[14:15]
	ds_read_b128 v[36:39], v34 offset:1168
	ds_read_b128 v[48:51], v34 offset:1184
	s_waitcnt lgkmcnt(2)
	v_fma_f64 v[16:17], -v[18:19], v[44:45], v[16:17]
	v_fma_f64 v[16:17], -v[20:21], v[46:47], v[16:17]
	ds_read_b128 v[44:47], v34 offset:1200
	s_waitcnt lgkmcnt(2)
	v_fma_f64 v[16:17], -v[22:23], v[36:37], v[16:17]
	v_fma_f64 v[16:17], -v[24:25], v[38:39], v[16:17]
	;; [unrolled: 4-line block ×3, first 2 shown]
	s_waitcnt lgkmcnt(1)
	v_fma_f64 v[16:17], -v[30:31], v[44:45], v[16:17]
	v_mul_f64 v[14:15], v[14:15], v[40:41]
	v_fma_f64 v[16:17], -v[32:33], v[46:47], v[16:17]
	ds_read_b128 v[44:47], v34 offset:1280
	s_waitcnt lgkmcnt(1)
	v_fma_f64 v[16:17], -v[14:15], v[36:37], v[16:17]
	v_mul_f64 v[16:17], v[16:17], v[38:39]
	ds_read_b128 v[36:39], v34 offset:1296
	ds_read_b128 v[48:51], v34 offset:1312
	s_waitcnt lgkmcnt(2)
	v_fma_f64 v[10:11], -v[18:19], v[44:45], v[10:11]
	v_fma_f64 v[10:11], -v[20:21], v[46:47], v[10:11]
	ds_read_b128 v[44:47], v34 offset:1328
	s_waitcnt lgkmcnt(2)
	v_fma_f64 v[10:11], -v[22:23], v[36:37], v[10:11]
	v_fma_f64 v[10:11], -v[24:25], v[38:39], v[10:11]
	;; [unrolled: 4-line block ×3, first 2 shown]
	s_waitcnt lgkmcnt(1)
	v_fma_f64 v[10:11], -v[30:31], v[44:45], v[10:11]
	v_fma_f64 v[10:11], -v[32:33], v[46:47], v[10:11]
	ds_read_b128 v[44:47], v34 offset:1408
	s_waitcnt lgkmcnt(1)
	v_fma_f64 v[10:11], -v[14:15], v[36:37], v[10:11]
	v_fma_f64 v[10:11], -v[16:17], v[38:39], v[10:11]
	ds_read_b128 v[36:39], v34 offset:1424
	v_mul_f64 v[10:11], v[10:11], v[42:43]
	ds_read_b128 v[40:43], v34 offset:1440
	s_waitcnt lgkmcnt(2)
	v_fma_f64 v[12:13], -v[18:19], v[44:45], v[12:13]
	v_fma_f64 v[12:13], -v[20:21], v[46:47], v[12:13]
	ds_read_b128 v[44:47], v34 offset:1456
	s_waitcnt lgkmcnt(2)
	v_fma_f64 v[12:13], -v[22:23], v[36:37], v[12:13]
	v_fma_f64 v[12:13], -v[24:25], v[38:39], v[12:13]
	;; [unrolled: 4-line block ×4, first 2 shown]
	s_waitcnt lgkmcnt(1)
	v_fma_f64 v[12:13], -v[14:15], v[36:37], v[12:13]
	v_fma_f64 v[12:13], -v[16:17], v[38:39], v[12:13]
	ds_read_b128 v[36:39], v34 offset:1536
	s_waitcnt lgkmcnt(1)
	v_fma_f64 v[12:13], -v[10:11], v[40:41], v[12:13]
	v_mul_f64 v[12:13], v[12:13], v[42:43]
	ds_read_b128 v[40:43], v34 offset:1552
	ds_read_b128 v[44:47], v34 offset:1568
	s_waitcnt lgkmcnt(2)
	v_fma_f64 v[6:7], -v[18:19], v[36:37], v[6:7]
	v_fma_f64 v[6:7], -v[20:21], v[38:39], v[6:7]
	ds_read_b128 v[36:39], v34 offset:1584
	s_waitcnt lgkmcnt(2)
	v_fma_f64 v[6:7], -v[22:23], v[40:41], v[6:7]
	v_fma_f64 v[6:7], -v[24:25], v[42:43], v[6:7]
	;; [unrolled: 4-line block ×3, first 2 shown]
	s_waitcnt lgkmcnt(1)
	v_fma_f64 v[6:7], -v[30:31], v[36:37], v[6:7]
	ds_read_b128 v[44:47], v34 offset:1616
	v_fma_f64 v[6:7], -v[32:33], v[38:39], v[6:7]
	s_waitcnt lgkmcnt(1)
	v_fma_f64 v[6:7], -v[14:15], v[40:41], v[6:7]
	v_fma_f64 v[6:7], -v[16:17], v[42:43], v[6:7]
	ds_read_b128 v[40:43], v34 offset:1664
	ds_write2_b64 v1, v[14:15], v[16:17] offset0:128 offset1:144
	ds_write2_b64 v1, v[10:11], v[12:13] offset0:160 offset1:176
	s_waitcnt lgkmcnt(3)
	v_fma_f64 v[6:7], -v[10:11], v[44:45], v[6:7]
	ds_read2_b64 v[36:39], v34 offset0:204 offset1:238
	v_fma_f64 v[6:7], -v[12:13], v[46:47], v[6:7]
	ds_read_b128 v[44:47], v34 offset:1680
	ds_read_b128 v[48:51], v34 offset:1696
	;; [unrolled: 1-line block ×3, first 2 shown]
	s_waitcnt lgkmcnt(6)
	v_fma_f64 v[8:9], -v[18:19], v[40:41], v[8:9]
	v_fma_f64 v[8:9], -v[20:21], v[42:43], v[8:9]
	s_waitcnt lgkmcnt(2)
	v_fma_f64 v[8:9], -v[22:23], v[44:45], v[8:9]
	v_fma_f64 v[8:9], -v[24:25], v[46:47], v[8:9]
	ds_read_b128 v[40:43], v34 offset:1728
	ds_read_b128 v[44:47], v34 offset:1744
	s_waitcnt lgkmcnt(3)
	v_fma_f64 v[8:9], -v[26:27], v[48:49], v[8:9]
	v_fma_f64 v[8:9], -v[28:29], v[50:51], v[8:9]
	s_waitcnt lgkmcnt(2)
	v_fma_f64 v[8:9], -v[30:31], v[52:53], v[8:9]
	v_fma_f64 v[8:9], -v[32:33], v[54:55], v[8:9]
	ds_read_b128 v[48:51], v34 offset:1760
	s_waitcnt lgkmcnt(2)
	v_fma_f64 v[8:9], -v[14:15], v[40:41], v[8:9]
	v_fma_f64 v[8:9], -v[16:17], v[42:43], v[8:9]
	ds_read_b128 v[40:43], v34 offset:1792
	s_waitcnt lgkmcnt(2)
	v_fma_f64 v[8:9], -v[10:11], v[44:45], v[8:9]
	v_mul_f64 v[6:7], v[6:7], v[36:37]
	v_fma_f64 v[8:9], -v[12:13], v[46:47], v[8:9]
	ds_read_b128 v[44:47], v34 offset:1808
	s_waitcnt lgkmcnt(2)
	v_fma_f64 v[8:9], -v[6:7], v[48:49], v[8:9]
	v_mul_f64 v[8:9], v[8:9], v[50:51]
	ds_read_b128 v[48:51], v34 offset:1824
	s_waitcnt lgkmcnt(2)
	v_fma_f64 v[2:3], -v[18:19], v[40:41], v[2:3]
	v_fma_f64 v[2:3], -v[20:21], v[42:43], v[2:3]
	ds_read_b128 v[40:43], v34 offset:1840
	s_waitcnt lgkmcnt(2)
	v_fma_f64 v[2:3], -v[22:23], v[44:45], v[2:3]
	v_fma_f64 v[2:3], -v[24:25], v[46:47], v[2:3]
	;; [unrolled: 4-line block ×5, first 2 shown]
	s_waitcnt lgkmcnt(1)
	v_fma_f64 v[2:3], -v[10:11], v[48:49], v[2:3]
	v_fma_f64 v[2:3], -v[12:13], v[50:51], v[2:3]
	s_waitcnt lgkmcnt(0)
	v_fma_f64 v[2:3], -v[6:7], v[40:41], v[2:3]
	v_fma_f64 v[2:3], -v[8:9], v[42:43], v[2:3]
	ds_read_b128 v[40:43], v34 offset:1920
	ds_write2_b64 v1, v[6:7], v[8:9] offset0:192 offset1:208
	v_mul_f64 v[52:53], v[2:3], v[38:39]
	ds_read_b128 v[36:39], v34 offset:1936
	ds_read_b128 v[44:47], v34 offset:1952
	;; [unrolled: 1-line block ×3, first 2 shown]
	s_mov_b32 s12, 16
	s_waitcnt lgkmcnt(4)
	v_fma_f64 v[2:3], -v[18:19], v[40:41], v[4:5]
	v_fma_f64 v[2:3], -v[20:21], v[42:43], v[2:3]
	s_waitcnt lgkmcnt(2)
	v_fma_f64 v[2:3], -v[22:23], v[36:37], v[2:3]
	v_fma_f64 v[2:3], -v[24:25], v[38:39], v[2:3]
	s_waitcnt lgkmcnt(1)
	v_fma_f64 v[18:19], -v[26:27], v[44:45], v[2:3]
	ds_read_b128 v[2:5], v34 offset:1984
	v_fma_f64 v[18:19], -v[28:29], v[46:47], v[18:19]
	s_waitcnt lgkmcnt(1)
	v_fma_f64 v[18:19], -v[30:31], v[48:49], v[18:19]
	v_fma_f64 v[22:23], -v[32:33], v[50:51], v[18:19]
	ds_read_b128 v[18:21], v34 offset:2000
	s_waitcnt lgkmcnt(1)
	v_fma_f64 v[2:3], -v[14:15], v[2:3], v[22:23]
	ds_read_b128 v[22:25], v34 offset:2016
	v_fma_f64 v[14:15], -v[16:17], v[4:5], v[2:3]
	ds_read_b128 v[2:5], v34 offset:2032
	s_waitcnt lgkmcnt(2)
	v_fma_f64 v[10:11], -v[10:11], v[18:19], v[14:15]
	v_fma_f64 v[10:11], -v[12:13], v[20:21], v[10:11]
	s_waitcnt lgkmcnt(1)
	v_fma_f64 v[6:7], -v[6:7], v[22:23], v[10:11]
	v_fma_f64 v[6:7], -v[8:9], v[24:25], v[6:7]
	s_waitcnt lgkmcnt(0)
	v_fma_f64 v[2:3], -v[52:53], v[2:3], v[6:7]
	v_mul_f64 v[2:3], v[2:3], v[4:5]
	ds_write2_b64 v1, v[52:53], v[2:3] offset0:224 offset1:240
	s_cmp_lt_i32 s12, s30
	s_cbranch_scc1 .LBB82_21
	s_branch .LBB82_41
.LBB82_20:
	s_mov_b32 s12, 0
	s_cmp_lt_i32 s12, s30
	s_cbranch_scc0 .LBB82_41
.LBB82_21:
	s_or_b32 s16, s12, 11
	s_cmp_ge_u32 s16, s30
	s_cbranch_scc1 .LBB82_30
; %bb.22:
	s_lshl_b32 s13, s12, 4
	v_or_b32_e32 v1, s13, v0
	v_lshlrev_b32_e32 v22, 3, v1
	v_add_u32_e32 v1, 0x800, v22
	ds_read2_b64 v[18:21], v1 offset1:16
	ds_read2_b64 v[14:17], v1 offset0:32 offset1:48
	ds_read2_b64 v[10:13], v1 offset0:64 offset1:80
	;; [unrolled: 1-line block ×4, first 2 shown]
	s_lshl_b32 s16, s16, 4
	v_or_b32_e32 v23, s16, v0
	v_lshlrev_b32_e32 v30, 3, v23
	ds_read_b64 v[28:29], v22 offset:3328
	ds_read_b64 v[26:27], v30 offset:2048
	s_andn2_b64 vcc, exec, s[8:9]
	s_cbranch_vccnz .LBB82_29
; %bb.23:
	s_max_u32 s9, s12, 1
	s_cmp_eq_u32 s9, 1
	s_cbranch_scc1 .LBB82_26
; %bb.24:
	v_mov_b32_e32 v22, 0x800
	s_and_b32 s8, s9, 16
	s_lshl_b32 s17, s12, 7
	v_lshl_or_b32 v31, v0, 3, v22
	s_mov_b32 s18, 0
.LBB82_25:                              ; =>This Inner Loop Header: Depth=1
	v_mov_b32_e32 v76, s17
	ds_read2_b64 v[22:25], v31 offset1:16
	ds_read_b128 v[32:35], v76
	ds_read_b128 v[36:39], v76 offset:128
	ds_read_b128 v[40:43], v76 offset:256
	;; [unrolled: 1-line block ×11, first 2 shown]
	s_add_i32 s18, s18, 2
	s_add_i32 s17, s17, 16
	v_add_u32_e32 v31, 0x100, v31
	s_waitcnt lgkmcnt(11)
	v_fma_f64 v[18:19], -v[22:23], v[32:33], v[18:19]
	s_waitcnt lgkmcnt(10)
	v_fma_f64 v[20:21], -v[22:23], v[36:37], v[20:21]
	;; [unrolled: 2-line block ×12, first 2 shown]
	s_cmp_lg_u32 s8, s18
	v_fma_f64 v[18:19], -v[24:25], v[34:35], v[18:19]
	v_fma_f64 v[20:21], -v[24:25], v[38:39], v[20:21]
	;; [unrolled: 1-line block ×12, first 2 shown]
	s_cbranch_scc1 .LBB82_25
	s_branch .LBB82_27
.LBB82_26:
	s_mov_b32 s8, 0
.LBB82_27:
	s_bitcmp0_b32 s9, 0
	s_cbranch_scc1 .LBB82_29
; %bb.28:
	s_add_i32 s9, s13, s8
	v_lshlrev_b32_e32 v22, 3, v0
	s_lshl_b32 s9, s9, 3
	v_lshl_or_b32 v31, s8, 7, v22
	v_mov_b32_e32 v46, s9
	ds_read2_b64 v[22:25], v46 offset1:16
	ds_read2_b64 v[32:35], v46 offset0:32 offset1:48
	ds_read_b64 v[40:41], v31 offset:2048
	s_add_i32 s8, s16, s8
	s_lshl_b32 s8, s8, 3
	v_mov_b32_e32 v31, s8
	ds_read_b64 v[42:43], v46 offset:1280
	ds_read_b64 v[44:45], v31
	s_waitcnt lgkmcnt(2)
	v_fma_f64 v[18:19], -v[40:41], v[22:23], v[18:19]
	v_fma_f64 v[20:21], -v[40:41], v[24:25], v[20:21]
	ds_read2_b64 v[22:25], v46 offset0:64 offset1:80
	v_fma_f64 v[14:15], -v[40:41], v[32:33], v[14:15]
	ds_read2_b64 v[36:39], v46 offset0:96 offset1:112
	;; [unrolled: 2-line block ×3, first 2 shown]
	s_waitcnt lgkmcnt(2)
	v_fma_f64 v[10:11], -v[40:41], v[22:23], v[10:11]
	v_fma_f64 v[12:13], -v[40:41], v[24:25], v[12:13]
	s_waitcnt lgkmcnt(1)
	v_fma_f64 v[6:7], -v[40:41], v[36:37], v[6:7]
	v_fma_f64 v[8:9], -v[40:41], v[38:39], v[8:9]
	;; [unrolled: 3-line block ×3, first 2 shown]
	v_fma_f64 v[28:29], -v[40:41], v[42:43], v[28:29]
	v_fma_f64 v[26:27], -v[40:41], v[44:45], v[26:27]
.LBB82_29:
	s_mul_i32 s8, s12, 0x88
	v_mov_b32_e32 v23, s8
	v_add_u32_e32 v22, 0x800, v30
	ds_read2_b64 v[30:33], v23 offset1:34
	s_or_b32 s8, s13, 16
	s_add_i32 s9, s8, s12
	s_lshl_b32 s9, s9, 3
	v_mov_b32_e32 v24, s9
	s_or_b32 s9, s13, 32
	s_or_b32 s17, s9, s12
	s_waitcnt lgkmcnt(0)
	v_mul_f64 v[18:19], v[18:19], v[30:31]
	s_lshl_b32 s17, s17, 3
	ds_write_b64 v1, v[18:19]
	ds_read_b128 v[34:37], v24
	v_mov_b32_e32 v1, s17
	ds_read_b128 v[38:41], v1
	v_or_b32_e32 v1, s8, v0
	s_or_b32 s8, s13, 48
	s_waitcnt lgkmcnt(1)
	v_fma_f64 v[20:21], -v[18:19], v[34:35], v[20:21]
	s_add_i32 s17, s8, s12
	v_mul_f64 v[20:21], v[20:21], v[36:37]
	v_lshlrev_b32_e32 v1, 3, v1
	s_waitcnt lgkmcnt(0)
	v_fma_f64 v[14:15], -v[18:19], v[38:39], v[14:15]
	s_lshl_b32 s17, s17, 3
	ds_write_b64 v1, v[20:21] offset:2048
	v_fma_f64 v[14:15], -v[20:21], v[40:41], v[14:15]
	v_mov_b32_e32 v1, s17
	v_mul_f64 v[14:15], v[14:15], v[32:33]
	ds_read_b128 v[30:33], v1
	ds_read_b128 v[34:37], v1 offset:16
	v_or_b32_e32 v24, s9, v0
	v_lshlrev_b32_e32 v1, 3, v24
	ds_write_b64 v1, v[14:15] offset:2048
	v_or_b32_e32 v1, s8, v0
	s_or_b32 s8, s13, 64
	s_or_b32 s9, s8, s12
	s_lshl_b32 s9, s9, 3
	s_waitcnt lgkmcnt(2)
	v_fma_f64 v[16:17], -v[18:19], v[30:31], v[16:17]
	v_mov_b32_e32 v24, s9
	v_fma_f64 v[16:17], -v[20:21], v[32:33], v[16:17]
	ds_read_b128 v[30:33], v24
	s_or_b32 s9, s13, 0x50
	s_waitcnt lgkmcnt(2)
	v_fma_f64 v[16:17], -v[14:15], v[34:35], v[16:17]
	s_add_i32 s17, s9, s12
	v_mul_f64 v[16:17], v[16:17], v[36:37]
	ds_read_b128 v[34:37], v24 offset:16
	v_lshlrev_b32_e32 v1, 3, v1
	s_lshl_b32 s17, s17, 3
	ds_write_b64 v1, v[16:17] offset:2048
	s_waitcnt lgkmcnt(2)
	v_fma_f64 v[10:11], -v[18:19], v[30:31], v[10:11]
	v_mov_b32_e32 v1, s17
	v_fma_f64 v[10:11], -v[20:21], v[32:33], v[10:11]
	ds_read_b128 v[30:33], v1
	s_waitcnt lgkmcnt(2)
	v_fma_f64 v[10:11], -v[14:15], v[34:35], v[10:11]
	v_fma_f64 v[10:11], -v[16:17], v[36:37], v[10:11]
	ds_read_b128 v[34:37], v1 offset:16
	ds_read2_b64 v[38:41], v23 offset0:68 offset1:102
	s_waitcnt lgkmcnt(2)
	v_fma_f64 v[12:13], -v[18:19], v[30:31], v[12:13]
	v_or_b32_e32 v24, s8, v0
	v_fma_f64 v[12:13], -v[20:21], v[32:33], v[12:13]
	s_or_b32 s8, s13, 0x60
	ds_read_b128 v[30:33], v1 offset:32
	s_or_b32 s17, s8, s12
	s_lshl_b32 s17, s17, 3
	s_waitcnt lgkmcnt(2)
	v_fma_f64 v[12:13], -v[14:15], v[34:35], v[12:13]
	v_mov_b32_e32 v1, s17
	s_waitcnt lgkmcnt(1)
	v_mul_f64 v[10:11], v[10:11], v[38:39]
	v_fma_f64 v[12:13], -v[16:17], v[36:37], v[12:13]
	ds_read_b128 v[34:37], v1
	s_waitcnt lgkmcnt(1)
	v_fma_f64 v[12:13], -v[10:11], v[30:31], v[12:13]
	v_mul_f64 v[12:13], v[12:13], v[32:33]
	ds_read_b128 v[30:33], v1 offset:16
	ds_read_b128 v[42:45], v1 offset:32
	v_lshlrev_b32_e32 v24, 3, v24
	s_waitcnt lgkmcnt(2)
	v_fma_f64 v[6:7], -v[18:19], v[34:35], v[6:7]
	v_or_b32_e32 v1, s8, v0
	s_or_b32 s8, s13, 0x70
	ds_write_b64 v24, v[10:11] offset:2048
	v_or_b32_e32 v24, s9, v0
	v_fma_f64 v[6:7], -v[20:21], v[36:37], v[6:7]
	s_add_i32 s9, s8, s12
	v_lshlrev_b32_e32 v24, 3, v24
	s_waitcnt lgkmcnt(2)
	v_fma_f64 v[6:7], -v[14:15], v[30:31], v[6:7]
	s_lshl_b32 s9, s9, 3
	ds_write_b64 v24, v[12:13] offset:2048
	v_fma_f64 v[6:7], -v[16:17], v[32:33], v[6:7]
	v_mov_b32_e32 v24, s9
	s_waitcnt lgkmcnt(2)
	v_fma_f64 v[6:7], -v[10:11], v[42:43], v[6:7]
	ds_read_b128 v[30:33], v24
	v_fma_f64 v[6:7], -v[12:13], v[44:45], v[6:7]
	v_mul_f64 v[6:7], v[6:7], v[40:41]
	v_lshlrev_b32_e32 v1, 3, v1
	ds_write_b64 v1, v[6:7] offset:2048
	ds_read_b128 v[34:37], v24 offset:16
	ds_read_b128 v[38:41], v24 offset:32
	ds_read_b64 v[24:25], v24 offset:48
	s_waitcnt lgkmcnt(4)
	v_fma_f64 v[8:9], -v[18:19], v[30:31], v[8:9]
	v_fma_f64 v[8:9], -v[20:21], v[32:33], v[8:9]
	s_waitcnt lgkmcnt(2)
	v_fma_f64 v[8:9], -v[14:15], v[34:35], v[8:9]
	v_fma_f64 v[8:9], -v[16:17], v[36:37], v[8:9]
	v_or_b32_e32 v1, s8, v0
	s_or_b32 s8, s13, 0x80
	ds_read2_b64 v[30:33], v23 offset0:119 offset1:136
	s_waitcnt lgkmcnt(2)
	v_fma_f64 v[8:9], -v[10:11], v[38:39], v[8:9]
	s_or_b32 s9, s8, s12
	v_fma_f64 v[8:9], -v[12:13], v[40:41], v[8:9]
	s_lshl_b32 s9, s9, 3
	s_waitcnt lgkmcnt(1)
	v_fma_f64 v[8:9], -v[6:7], v[24:25], v[8:9]
	v_mov_b32_e32 v24, s9
	ds_read_b128 v[34:37], v24
	s_waitcnt lgkmcnt(1)
	v_mul_f64 v[8:9], v[8:9], v[30:31]
	v_lshlrev_b32_e32 v1, 3, v1
	ds_write_b64 v1, v[8:9] offset:2048
	ds_read_b128 v[38:41], v24 offset:16
	ds_read_b128 v[42:45], v24 offset:32
	ds_read_b128 v[46:49], v24 offset:48
	s_waitcnt lgkmcnt(4)
	v_fma_f64 v[2:3], -v[18:19], v[34:35], v[2:3]
	v_fma_f64 v[2:3], -v[20:21], v[36:37], v[2:3]
	s_waitcnt lgkmcnt(2)
	v_fma_f64 v[2:3], -v[14:15], v[38:39], v[2:3]
	v_fma_f64 v[2:3], -v[16:17], v[40:41], v[2:3]
	s_waitcnt lgkmcnt(1)
	v_fma_f64 v[2:3], -v[10:11], v[42:43], v[2:3]
	v_or_b32_e32 v1, s8, v0
	s_or_b32 s8, s13, 0x90
	v_fma_f64 v[2:3], -v[12:13], v[44:45], v[2:3]
	s_add_i32 s9, s8, s12
	s_waitcnt lgkmcnt(0)
	v_fma_f64 v[2:3], -v[6:7], v[46:47], v[2:3]
	s_lshl_b32 s9, s9, 3
	v_fma_f64 v[2:3], -v[8:9], v[48:49], v[2:3]
	v_mov_b32_e32 v46, s9
	v_mul_f64 v[24:25], v[2:3], v[32:33]
	ds_read_b128 v[30:33], v46
	v_lshlrev_b32_e32 v1, 3, v1
	ds_write_b64 v1, v[24:25] offset:2048
	ds_read_b128 v[34:37], v46 offset:16
	ds_read_b128 v[38:41], v46 offset:32
	;; [unrolled: 1-line block ×3, first 2 shown]
	s_or_b32 s9, s13, 0xa0
	s_waitcnt lgkmcnt(4)
	v_fma_f64 v[2:3], -v[18:19], v[30:31], v[4:5]
	v_fma_f64 v[2:3], -v[20:21], v[32:33], v[2:3]
	s_waitcnt lgkmcnt(2)
	v_fma_f64 v[2:3], -v[14:15], v[34:35], v[2:3]
	v_fma_f64 v[2:3], -v[16:17], v[36:37], v[2:3]
	;; [unrolled: 3-line block ×3, first 2 shown]
	s_waitcnt lgkmcnt(0)
	v_fma_f64 v[2:3], -v[6:7], v[42:43], v[2:3]
	ds_read_b64 v[36:37], v46 offset:64
	v_fma_f64 v[34:35], -v[8:9], v[44:45], v[2:3]
	ds_read2_b64 v[2:5], v23 offset0:153 offset1:170
	s_or_b32 s13, s9, s12
	s_lshl_b32 s13, s13, 3
	v_mov_b32_e32 v1, s13
	ds_read_b128 v[30:33], v1
	s_waitcnt lgkmcnt(2)
	v_fma_f64 v[34:35], -v[24:25], v[36:37], v[34:35]
	s_waitcnt lgkmcnt(1)
	v_mul_f64 v[42:43], v[34:35], v[2:3]
	ds_read_b128 v[34:37], v1 offset:16
	v_or_b32_e32 v2, s8, v0
	v_lshlrev_b32_e32 v2, 3, v2
	ds_read_b128 v[38:41], v1 offset:32
	ds_write_b64 v2, v[42:43] offset:2048
	s_waitcnt lgkmcnt(3)
	v_fma_f64 v[2:3], -v[18:19], v[30:31], v[28:29]
	ds_read_b128 v[28:31], v1 offset:48
	v_fma_f64 v[2:3], -v[20:21], v[32:33], v[2:3]
	s_waitcnt lgkmcnt(3)
	v_fma_f64 v[2:3], -v[14:15], v[34:35], v[2:3]
	v_fma_f64 v[2:3], -v[16:17], v[36:37], v[2:3]
	ds_read_b128 v[32:35], v1 offset:64
	s_waitcnt lgkmcnt(3)
	v_fma_f64 v[2:3], -v[10:11], v[38:39], v[2:3]
	v_fma_f64 v[2:3], -v[12:13], v[40:41], v[2:3]
	s_waitcnt lgkmcnt(1)
	v_fma_f64 v[2:3], -v[6:7], v[28:29], v[2:3]
	v_fma_f64 v[2:3], -v[8:9], v[30:31], v[2:3]
	s_add_i32 s16, s16, s12
	s_waitcnt lgkmcnt(0)
	v_fma_f64 v[2:3], -v[24:25], v[32:33], v[2:3]
	s_lshl_b32 s8, s16, 3
	v_fma_f64 v[2:3], -v[42:43], v[34:35], v[2:3]
	v_mov_b32_e32 v44, s8
	v_mul_f64 v[40:41], v[2:3], v[4:5]
	ds_read_b128 v[2:5], v44
	v_or_b32_e32 v1, s9, v0
	v_lshlrev_b32_e32 v1, 3, v1
	ds_write_b64 v1, v[40:41] offset:2048
	ds_read_b128 v[28:31], v44 offset:16
	ds_read_b128 v[32:35], v44 offset:32
	;; [unrolled: 1-line block ×3, first 2 shown]
	s_waitcnt lgkmcnt(4)
	v_fma_f64 v[2:3], -v[18:19], v[2:3], v[26:27]
	v_fma_f64 v[2:3], -v[20:21], v[4:5], v[2:3]
	s_waitcnt lgkmcnt(2)
	v_fma_f64 v[2:3], -v[14:15], v[28:29], v[2:3]
	v_fma_f64 v[2:3], -v[16:17], v[30:31], v[2:3]
	s_waitcnt lgkmcnt(1)
	v_fma_f64 v[2:3], -v[10:11], v[32:33], v[2:3]
	v_fma_f64 v[10:11], -v[12:13], v[34:35], v[2:3]
	ds_read_b128 v[2:5], v44 offset:64
	s_waitcnt lgkmcnt(1)
	v_fma_f64 v[6:7], -v[6:7], v[36:37], v[10:11]
	ds_read_b64 v[10:11], v44 offset:80
	ds_read_b64 v[12:13], v23 offset:1496
	v_fma_f64 v[6:7], -v[8:9], v[38:39], v[6:7]
	s_or_b32 s12, s12, 12
	s_waitcnt lgkmcnt(2)
	v_fma_f64 v[2:3], -v[24:25], v[2:3], v[6:7]
	v_fma_f64 v[2:3], -v[42:43], v[4:5], v[2:3]
	s_waitcnt lgkmcnt(1)
	v_fma_f64 v[2:3], -v[40:41], v[10:11], v[2:3]
	s_waitcnt lgkmcnt(0)
	v_mul_f64 v[2:3], v[2:3], v[12:13]
	ds_write_b64 v22, v[2:3]
.LBB82_30:
	s_cmp_ge_i32 s12, s30
	s_cbranch_scc1 .LBB82_41
; %bb.31:
	v_mov_b32_e32 v1, 0x800
	s_add_i32 s8, s12, -1
	v_lshl_or_b32 v1, v0, 3, v1
	s_lshl_b32 s9, s12, 7
	s_mov_b32 s13, 0
	v_lshlrev_b32_e32 v4, 3, v0
	s_mov_b32 s16, s12
	s_branch .LBB82_33
.LBB82_32:                              ;   in Loop: Header=BB82_33 Depth=1
	s_mul_i32 s17, s12, 0x88
	v_mov_b32_e32 v6, s17
	ds_read_b64 v[6:7], v6
	s_add_i32 s12, s12, 1
	s_add_i32 s13, s13, 1
	s_addk_i32 s9, 0x80
	v_add_u16_e64 v8, s16, 1
	v_add_u32_e32 v5, 0x800, v5
	s_waitcnt lgkmcnt(0)
	v_mul_f64 v[2:3], v[2:3], v[6:7]
	s_cmp_ge_i32 s12, s30
	v_readfirstlane_b32 s16, v8
	ds_write_b64 v5, v[2:3]
	s_cbranch_scc1 .LBB82_41
.LBB82_33:                              ; =>This Loop Header: Depth=1
                                        ;     Child Loop BB82_36 Depth 2
                                        ;     Child Loop BB82_40 Depth 2
	v_lshl_or_b32 v5, s12, 7, v4
	ds_read_b64 v[2:3], v5 offset:2048
	s_cmp_eq_u32 s12, 0
	s_cbranch_scc1 .LBB82_32
; %bb.34:                               ;   in Loop: Header=BB82_33 Depth=1
	s_add_i32 s17, s8, s13
	s_cmp_lt_u32 s17, 7
	s_cbranch_scc1 .LBB82_38
; %bb.35:                               ;   in Loop: Header=BB82_33 Depth=1
	s_and_b32 s17, s12, -8
	s_mov_b32 s18, 0
	s_mov_b32 s19, s9
	v_mov_b32_e32 v6, v1
.LBB82_36:                              ;   Parent Loop BB82_33 Depth=1
                                        ; =>  This Inner Loop Header: Depth=2
	ds_read2_b64 v[8:11], v6 offset1:16
	v_mov_b32_e32 v7, s19
	ds_read2_b64 v[12:15], v6 offset0:32 offset1:48
	ds_read2_b64 v[16:19], v6 offset0:64 offset1:80
	;; [unrolled: 1-line block ×3, first 2 shown]
	ds_read_b128 v[24:27], v7
	ds_read_b128 v[28:31], v7 offset:16
	ds_read_b128 v[32:35], v7 offset:32
	;; [unrolled: 1-line block ×3, first 2 shown]
	s_add_i32 s18, s18, 8
	s_waitcnt lgkmcnt(3)
	v_fma_f64 v[2:3], -v[8:9], v[24:25], v[2:3]
	v_fma_f64 v[2:3], -v[10:11], v[26:27], v[2:3]
	s_waitcnt lgkmcnt(2)
	v_fma_f64 v[2:3], -v[12:13], v[28:29], v[2:3]
	v_fma_f64 v[2:3], -v[14:15], v[30:31], v[2:3]
	;; [unrolled: 3-line block ×3, first 2 shown]
	s_add_i32 s19, s19, 64
	s_waitcnt lgkmcnt(0)
	v_fma_f64 v[2:3], -v[20:21], v[36:37], v[2:3]
	v_add_u32_e32 v6, 0x400, v6
	s_cmp_lg_u32 s17, s18
	v_fma_f64 v[2:3], -v[22:23], v[38:39], v[2:3]
	s_cbranch_scc1 .LBB82_36
; %bb.37:                               ;   in Loop: Header=BB82_33 Depth=1
	s_and_b32 s18, s12, 7
	s_cmp_eq_u32 s18, 0
	s_cbranch_scc0 .LBB82_39
	s_branch .LBB82_32
.LBB82_38:                              ;   in Loop: Header=BB82_33 Depth=1
	s_mov_b32 s17, 0
	s_and_b32 s18, s12, 7
	s_cmp_eq_u32 s18, 0
	s_cbranch_scc1 .LBB82_32
.LBB82_39:                              ;   in Loop: Header=BB82_33 Depth=1
	s_and_b32 s18, s16, 7
	s_lshl_b32 s19, s17, 3
	v_lshl_add_u32 v6, s17, 7, v1
.LBB82_40:                              ;   Parent Loop BB82_33 Depth=1
                                        ; =>  This Inner Loop Header: Depth=2
	s_add_i32 s17, s9, s19
	v_mov_b32_e32 v7, s17
	ds_read_b64 v[8:9], v6
	ds_read_b64 v[10:11], v7
	s_add_i32 s19, s19, 8
	s_add_i32 s18, s18, -1
	v_add_u32_e32 v6, 0x80, v6
	s_cmp_lg_u32 s18, 0
	s_waitcnt lgkmcnt(0)
	v_fma_f64 v[2:3], -v[8:9], v[10:11], v[2:3]
	s_cbranch_scc1 .LBB82_40
	s_branch .LBB82_32
.LBB82_41:
	s_mov_b64 s[8:9], 0
.LBB82_42:
	s_and_b64 vcc, exec, s[8:9]
	s_cbranch_vccz .LBB82_64
; %bb.43:
	s_cmp_gt_i32 s10, 15
	s_cbranch_scc0 .LBB82_45
; %bb.44:
	s_lshl_b32 s19, s31, 4
	s_lshl_b32 s20, s30, 4
	v_or_b32_e32 v1, s19, v0
	s_sub_i32 s8, s20, 32
	s_sub_i32 s18, s20, 48
	v_lshlrev_b32_e32 v36, 3, v1
	v_or_b32_e32 v1, s8, v0
	v_or_b32_e32 v2, s18, v0
	s_sub_i32 s8, s20, 64
	v_lshlrev_b32_e32 v1, 3, v1
	v_lshlrev_b32_e32 v40, 3, v2
	v_or_b32_e32 v2, s8, v0
	s_add_i32 s17, s20, 0xffffffb0
	v_lshlrev_b32_e32 v2, 3, v2
	ds_read_b64 v[4:5], v36 offset:2048
	ds_read_b64 v[10:11], v1 offset:2048
	;; [unrolled: 1-line block ×4, first 2 shown]
	v_or_b32_e32 v1, s17, v0
	s_add_i32 s8, s20, 0xffffffa0
	s_add_i32 s16, s20, 0xffffff90
	v_lshlrev_b32_e32 v58, 3, v1
	v_or_b32_e32 v1, s8, v0
	v_or_b32_e32 v2, s16, v0
	s_add_i32 s8, s20, 0xffffff80
	v_lshlrev_b32_e32 v1, 3, v1
	v_lshlrev_b32_e32 v59, 3, v2
	v_or_b32_e32 v2, s8, v0
	s_add_i32 s13, s20, 0xffffff70
	v_lshlrev_b32_e32 v2, 3, v2
	ds_read_b64 v[44:45], v58 offset:2048
	ds_read_b64 v[54:55], v1 offset:2048
	;; [unrolled: 1-line block ×4, first 2 shown]
	v_or_b32_e32 v1, s13, v0
	s_add_i32 s8, s20, 0xffffff60
	s_add_i32 s12, s20, 0xffffff50
	v_lshlrev_b32_e32 v66, 3, v1
	v_or_b32_e32 v1, s8, v0
	v_or_b32_e32 v2, s12, v0
	s_add_i32 s8, s20, 0xffffff40
	v_lshlrev_b32_e32 v1, 3, v1
	v_lshlrev_b32_e32 v35, 3, v2
	v_or_b32_e32 v2, s8, v0
	s_add_i32 s9, s20, 0xffffff30
	v_lshlrev_b32_e32 v2, 3, v2
	ds_read_b64 v[26:27], v66 offset:2048
	ds_read_b64 v[28:29], v1 offset:2048
	;; [unrolled: 1-line block ×4, first 2 shown]
	v_or_b32_e32 v1, s9, v0
	s_add_i32 s8, s20, 0xffffff20
	v_lshlrev_b32_e32 v34, 3, v1
	v_or_b32_e32 v1, s8, v0
	s_add_i32 s8, s20, 0xffffff10
	s_addk_i32 s20, 0xff00
	v_or_b32_e32 v3, s20, v0
	s_add_i32 s20, s30, -2
	s_add_i32 s21, s20, s19
	s_lshl_b32 s21, s21, 3
	v_lshlrev_b32_e32 v2, 3, v1
	v_or_b32_e32 v1, s8, v0
	v_lshlrev_b32_e32 v3, 3, v3
	v_mov_b32_e32 v6, s21
	s_mul_i32 s27, s31, 0x88
	v_lshlrev_b32_e32 v1, 3, v1
	ds_read_b64 v[24:25], v34 offset:2048
	ds_read_b64 v[18:19], v2 offset:2048
	;; [unrolled: 1-line block ×4, first 2 shown]
	ds_read2_b64 v[6:9], v6 offset1:1
	s_add_i32 s21, s27, 0xffffff78
	v_mov_b32_e32 v12, s21
	ds_read_b64 v[12:13], v12
	s_lshl_b32 s20, s20, 4
	s_waitcnt lgkmcnt(1)
	v_mul_f64 v[4:5], v[4:5], v[8:9]
	s_add_i32 s21, s30, -4
	v_fma_f64 v[6:7], -v[4:5], v[6:7], v[10:11]
	v_or_b32_e32 v8, s20, v0
	s_add_i32 s25, s21, s19
	s_waitcnt lgkmcnt(0)
	v_mul_f64 v[6:7], v[6:7], v[12:13]
	v_lshlrev_b32_e32 v8, 3, v8
	s_lshl_b32 s25, s25, 3
	ds_write_b64 v8, v[6:7] offset:2048
	v_mov_b32_e32 v8, s25
	ds_read2_b64 v[10:13], v8 offset1:1
	s_add_i32 s25, s21, s20
	s_lshl_b32 s25, s25, 3
	v_mov_b32_e32 v8, s25
	ds_write_b64 v36, v[4:5] offset:2048
	ds_read2_b64 v[36:39], v8 offset1:1
	s_add_i32 s25, s21, s18
	s_lshl_b32 s25, s25, 3
	s_waitcnt lgkmcnt(2)
	v_fma_f64 v[8:9], -v[4:5], v[12:13], v[14:15]
	v_mov_b32_e32 v12, s25
	ds_read2_b64 v[12:15], v12 offset1:1
	s_add_i32 s25, s27, 0xfffffe68
	s_waitcnt lgkmcnt(1)
	v_fma_f64 v[8:9], -v[6:7], v[38:39], v[8:9]
	v_mov_b32_e32 v38, s25
	ds_read_b64 v[38:39], v38
	s_add_i32 s25, s30, -6
	v_fma_f64 v[10:11], -v[4:5], v[10:11], v[20:21]
	s_add_i32 s26, s25, s19
	s_waitcnt lgkmcnt(1)
	v_mul_f64 v[8:9], v[8:9], v[14:15]
	v_fma_f64 v[10:11], -v[6:7], v[36:37], v[10:11]
	s_lshl_b32 s26, s26, 3
	v_fma_f64 v[10:11], -v[8:9], v[12:13], v[10:11]
	v_mov_b32_e32 v12, s26
	s_add_i32 s26, s25, s20
	ds_write_b64 v40, v[8:9] offset:2048
	s_lshl_b32 s26, s26, 3
	s_waitcnt lgkmcnt(1)
	v_mul_f64 v[10:11], v[10:11], v[38:39]
	v_mov_b32_e32 v13, s26
	ds_read2_b64 v[36:39], v12 offset1:1
	ds_read2_b64 v[40:43], v13 offset1:1
	s_lshl_b32 s21, s21, 4
	s_add_i32 s26, s25, s18
	v_or_b32_e32 v12, s21, v0
	s_lshl_b32 s26, s26, 3
	v_lshlrev_b32_e32 v12, 3, v12
	v_mov_b32_e32 v14, s26
	s_add_i32 s26, s25, s21
	ds_write_b64 v12, v[10:11] offset:2048
	s_waitcnt lgkmcnt(2)
	v_fma_f64 v[12:13], -v[4:5], v[38:39], v[44:45]
	s_lshl_b32 s26, s26, 3
	s_waitcnt lgkmcnt(1)
	v_fma_f64 v[12:13], -v[6:7], v[42:43], v[12:13]
	ds_read2_b64 v[42:45], v14 offset1:1
	v_mov_b32_e32 v14, s26
	s_add_i32 s26, s25, s17
	s_lshl_b32 s26, s26, 3
	ds_read2_b64 v[46:49], v14 offset1:1
	v_mov_b32_e32 v14, s26
	ds_read2_b64 v[50:53], v14 offset1:1
	s_add_i32 s26, s27, 0xfffffd58
	v_mov_b32_e32 v14, s26
	ds_read_b64 v[14:15], v14
	v_fma_f64 v[20:21], -v[4:5], v[36:37], v[54:55]
	s_waitcnt lgkmcnt(3)
	v_fma_f64 v[12:13], -v[8:9], v[44:45], v[12:13]
	v_fma_f64 v[20:21], -v[6:7], v[40:41], v[20:21]
	s_waitcnt lgkmcnt(2)
	v_fma_f64 v[12:13], -v[10:11], v[48:49], v[12:13]
	v_fma_f64 v[20:21], -v[8:9], v[42:43], v[20:21]
	s_add_i32 s26, s30, -8
	s_waitcnt lgkmcnt(1)
	v_mul_f64 v[12:13], v[12:13], v[52:53]
	v_fma_f64 v[20:21], -v[10:11], v[46:47], v[20:21]
	s_add_i32 s28, s26, s19
	v_fma_f64 v[20:21], -v[12:13], v[50:51], v[20:21]
	s_lshl_b32 s28, s28, 3
	s_waitcnt lgkmcnt(0)
	v_mul_f64 v[14:15], v[20:21], v[14:15]
	v_mov_b32_e32 v20, s28
	s_add_i32 s28, s26, s20
	ds_write_b64 v58, v[12:13] offset:2048
	s_lshl_b32 s28, s28, 3
	v_mov_b32_e32 v21, s28
	ds_read2_b64 v[36:39], v20 offset1:1
	ds_read2_b64 v[40:43], v21 offset1:1
	s_lshl_b32 s25, s25, 4
	v_or_b32_e32 v20, s25, v0
	s_add_i32 s28, s26, s18
	v_lshlrev_b32_e32 v20, 3, v20
	s_lshl_b32 s28, s28, 3
	ds_write_b64 v20, v[14:15] offset:2048
	s_waitcnt lgkmcnt(2)
	v_fma_f64 v[20:21], -v[4:5], v[38:39], v[56:57]
	v_mov_b32_e32 v38, s28
	s_add_i32 s28, s26, s21
	s_lshl_b32 s28, s28, 3
	v_mov_b32_e32 v39, s28
	s_add_i32 s28, s26, s17
	s_lshl_b32 s28, s28, 3
	s_waitcnt lgkmcnt(1)
	v_fma_f64 v[20:21], -v[6:7], v[42:43], v[20:21]
	ds_read2_b64 v[42:45], v38 offset1:1
	ds_read2_b64 v[46:49], v39 offset1:1
	v_mov_b32_e32 v38, s28
	s_add_i32 s28, s26, s25
	s_lshl_b32 s28, s28, 3
	v_mov_b32_e32 v39, s28
	s_add_i32 s28, s27, 0xfffffcd0
	ds_read2_b64 v[50:53], v38 offset1:1
	ds_read2_b64 v[54:57], v39 offset1:1
	v_mov_b32_e32 v38, s28
	s_add_i32 s28, s26, s16
	ds_read_b64 v[38:39], v38
	s_lshl_b32 s28, s28, 3
	s_waitcnt lgkmcnt(4)
	v_fma_f64 v[20:21], -v[8:9], v[44:45], v[20:21]
	v_fma_f64 v[22:23], -v[4:5], v[36:37], v[22:23]
	v_mov_b32_e32 v36, s28
	s_waitcnt lgkmcnt(3)
	v_fma_f64 v[20:21], -v[10:11], v[48:49], v[20:21]
	v_fma_f64 v[22:23], -v[6:7], v[40:41], v[22:23]
	ds_read_b64 v[36:37], v36
	s_waitcnt lgkmcnt(3)
	v_fma_f64 v[20:21], -v[12:13], v[52:53], v[20:21]
	v_fma_f64 v[22:23], -v[8:9], v[42:43], v[22:23]
	s_waitcnt lgkmcnt(2)
	v_fma_f64 v[20:21], -v[14:15], v[56:57], v[20:21]
	v_fma_f64 v[22:23], -v[10:11], v[46:47], v[22:23]
	s_add_i32 s28, s27, 0xfffffc48
	s_waitcnt lgkmcnt(1)
	v_mul_f64 v[20:21], v[20:21], v[38:39]
	v_mov_b32_e32 v38, s28
	v_fma_f64 v[22:23], -v[12:13], v[50:51], v[22:23]
	s_add_i32 s28, s30, -10
	v_fma_f64 v[22:23], -v[14:15], v[54:55], v[22:23]
	s_lshl_b32 s26, s26, 4
	s_add_i32 s29, s28, s19
	ds_read_b64 v[38:39], v38
	s_waitcnt lgkmcnt(1)
	v_fma_f64 v[22:23], -v[20:21], v[36:37], v[22:23]
	v_or_b32_e32 v36, s26, v0
	s_lshl_b32 s29, s29, 3
	v_lshlrev_b32_e32 v52, 3, v36
	v_mov_b32_e32 v36, s29
	s_add_i32 s29, s28, s20
	s_lshl_b32 s29, s29, 3
	v_mov_b32_e32 v40, s29
	s_add_i32 s29, s28, s18
	ds_write_b64 v59, v[20:21] offset:2048
	s_lshl_b32 s29, s29, 3
	s_waitcnt lgkmcnt(1)
	v_mul_f64 v[22:23], v[22:23], v[38:39]
	ds_read2_b64 v[36:39], v36 offset1:1
	ds_read2_b64 v[40:43], v40 offset1:1
	v_mov_b32_e32 v44, s29
	s_add_i32 s29, s28, s21
	s_lshl_b32 s29, s29, 3
	v_mov_b32_e32 v48, s29
	s_add_i32 s29, s28, s17
	ds_read2_b64 v[44:47], v44 offset1:1
	ds_read2_b64 v[48:51], v48 offset1:1
	s_lshl_b32 s29, s29, 3
	s_waitcnt lgkmcnt(3)
	v_fma_f64 v[26:27], -v[4:5], v[38:39], v[26:27]
	v_mov_b32_e32 v38, s29
	s_add_i32 s29, s28, s25
	s_lshl_b32 s29, s29, 3
	s_waitcnt lgkmcnt(2)
	v_fma_f64 v[26:27], -v[6:7], v[42:43], v[26:27]
	v_mov_b32_e32 v39, s29
	s_add_i32 s29, s28, s16
	ds_write_b64 v52, v[22:23] offset:2048
	s_waitcnt lgkmcnt(2)
	v_fma_f64 v[26:27], -v[8:9], v[46:47], v[26:27]
	s_lshl_b32 s29, s29, 3
	s_waitcnt lgkmcnt(1)
	v_fma_f64 v[26:27], -v[10:11], v[50:51], v[26:27]
	ds_read2_b64 v[50:53], v38 offset1:1
	ds_read2_b64 v[54:57], v39 offset1:1
	v_mov_b32_e32 v38, s29
	s_add_i32 s29, s28, s26
	s_lshl_b32 s29, s29, 3
	v_mov_b32_e32 v39, s29
	s_add_i32 s29, s27, 0xfffffbc0
	ds_read2_b64 v[58:61], v38 offset1:1
	ds_read2_b64 v[62:65], v39 offset1:1
	v_mov_b32_e32 v38, s29
	v_fma_f64 v[28:29], -v[4:5], v[36:37], v[28:29]
	s_add_i32 s29, s28, s13
	v_fma_f64 v[28:29], -v[6:7], v[40:41], v[28:29]
	s_lshl_b32 s29, s29, 3
	ds_read_b64 v[38:39], v38
	v_fma_f64 v[28:29], -v[8:9], v[44:45], v[28:29]
	v_mov_b32_e32 v36, s29
	s_waitcnt lgkmcnt(4)
	v_fma_f64 v[26:27], -v[12:13], v[52:53], v[26:27]
	v_fma_f64 v[28:29], -v[10:11], v[48:49], v[28:29]
	ds_read_b64 v[36:37], v36
	s_waitcnt lgkmcnt(4)
	v_fma_f64 v[26:27], -v[14:15], v[56:57], v[26:27]
	v_fma_f64 v[28:29], -v[12:13], v[50:51], v[28:29]
	s_waitcnt lgkmcnt(3)
	v_fma_f64 v[26:27], -v[20:21], v[60:61], v[26:27]
	v_fma_f64 v[28:29], -v[14:15], v[54:55], v[28:29]
	s_waitcnt lgkmcnt(2)
	v_fma_f64 v[26:27], -v[22:23], v[64:65], v[26:27]
	s_addk_i32 s27, 0xfb38
	v_fma_f64 v[28:29], -v[20:21], v[58:59], v[28:29]
	s_add_i32 s29, s30, -12
	s_waitcnt lgkmcnt(1)
	v_mul_f64 v[26:27], v[26:27], v[38:39]
	v_mov_b32_e32 v38, s27
	v_fma_f64 v[28:29], -v[22:23], v[62:63], v[28:29]
	s_lshl_b32 s27, s28, 4
	s_add_i32 s28, s29, s19
	s_waitcnt lgkmcnt(0)
	v_fma_f64 v[28:29], -v[26:27], v[36:37], v[28:29]
	v_or_b32_e32 v36, s27, v0
	s_lshl_b32 s28, s28, 3
	ds_read_b64 v[38:39], v38
	v_lshlrev_b32_e32 v52, 3, v36
	v_mov_b32_e32 v36, s28
	s_add_i32 s28, s29, s20
	s_lshl_b32 s28, s28, 3
	v_mov_b32_e32 v40, s28
	s_add_i32 s28, s29, s18
	s_lshl_b32 s28, s28, 3
	ds_write_b64 v66, v[26:27] offset:2048
	v_mov_b32_e32 v44, s28
	s_add_i32 s28, s29, s21
	s_waitcnt lgkmcnt(1)
	v_mul_f64 v[28:29], v[28:29], v[38:39]
	ds_read2_b64 v[36:39], v36 offset1:1
	ds_read2_b64 v[40:43], v40 offset1:1
	s_lshl_b32 s28, s28, 3
	v_mov_b32_e32 v48, s28
	ds_read2_b64 v[44:47], v44 offset1:1
	ds_read2_b64 v[48:51], v48 offset1:1
	s_add_i32 s28, s29, s17
	s_waitcnt lgkmcnt(3)
	v_fma_f64 v[32:33], -v[4:5], v[38:39], v[32:33]
	s_lshl_b32 s28, s28, 3
	s_waitcnt lgkmcnt(2)
	v_fma_f64 v[32:33], -v[6:7], v[42:43], v[32:33]
	v_mov_b32_e32 v38, s28
	s_add_i32 s28, s29, s25
	s_waitcnt lgkmcnt(1)
	v_fma_f64 v[32:33], -v[8:9], v[46:47], v[32:33]
	s_lshl_b32 s28, s28, 3
	ds_write_b64 v52, v[28:29] offset:2048
	s_waitcnt lgkmcnt(1)
	v_fma_f64 v[32:33], -v[10:11], v[50:51], v[32:33]
	ds_read2_b64 v[50:53], v38 offset1:1
	v_mov_b32_e32 v38, s28
	s_add_i32 s28, s29, s16
	s_lshl_b32 s28, s28, 3
	ds_read2_b64 v[54:57], v38 offset1:1
	v_mov_b32_e32 v38, s28
	s_add_i32 s28, s29, s26
	s_lshl_b32 s28, s28, 3
	v_mov_b32_e32 v39, s28
	s_add_i32 s28, s29, s13
	s_lshl_b32 s28, s28, 3
	ds_read2_b64 v[58:61], v38 offset1:1
	ds_read2_b64 v[62:65], v39 offset1:1
	v_mov_b32_e32 v38, s28
	s_add_i32 s28, s29, s27
	s_lshl_b32 s28, s28, 3
	s_waitcnt lgkmcnt(3)
	v_fma_f64 v[32:33], -v[12:13], v[52:53], v[32:33]
	v_mov_b32_e32 v39, s28
	ds_read2_b64 v[66:69], v38 offset1:1
	ds_read2_b64 v[70:73], v39 offset1:1
	s_waitcnt lgkmcnt(4)
	v_fma_f64 v[32:33], -v[14:15], v[56:57], v[32:33]
	s_add_i32 s28, s29, s12
	s_waitcnt lgkmcnt(3)
	v_fma_f64 v[32:33], -v[20:21], v[60:61], v[32:33]
	s_lshl_b32 s28, s28, 3
	v_fma_f64 v[30:31], -v[4:5], v[36:37], v[30:31]
	s_waitcnt lgkmcnt(2)
	v_fma_f64 v[32:33], -v[22:23], v[64:65], v[32:33]
	v_mov_b32_e32 v38, s28
	s_mul_i32 s28, s30, 0x88
	v_fma_f64 v[30:31], -v[6:7], v[40:41], v[30:31]
	s_waitcnt lgkmcnt(1)
	v_fma_f64 v[32:33], -v[26:27], v[68:69], v[32:33]
	s_add_i32 s33, s28, 0xfffff9a0
	v_fma_f64 v[30:31], -v[8:9], v[44:45], v[30:31]
	s_waitcnt lgkmcnt(0)
	v_fma_f64 v[32:33], -v[28:29], v[72:73], v[32:33]
	ds_read2_b64 v[72:75], v38 offset1:1
	v_mov_b32_e32 v38, s33
	v_fma_f64 v[30:31], -v[10:11], v[48:49], v[30:31]
	s_add_i32 s33, s30, -14
	v_fma_f64 v[30:31], -v[12:13], v[50:51], v[30:31]
	s_add_i32 s34, s33, s19
	v_fma_f64 v[30:31], -v[14:15], v[54:55], v[30:31]
	s_lshl_b32 s34, s34, 3
	ds_read_b64 v[38:39], v38
	v_fma_f64 v[30:31], -v[20:21], v[58:59], v[30:31]
	v_mov_b32_e32 v36, s34
	s_add_i32 s34, s33, s20
	v_fma_f64 v[30:31], -v[22:23], v[62:63], v[30:31]
	s_lshl_b32 s34, s34, 3
	v_fma_f64 v[30:31], -v[26:27], v[66:67], v[30:31]
	v_mov_b32_e32 v40, s34
	s_add_i32 s34, s33, s18
	s_waitcnt lgkmcnt(1)
	v_mul_f64 v[32:33], v[32:33], v[74:75]
	v_fma_f64 v[30:31], -v[28:29], v[70:71], v[30:31]
	s_lshl_b32 s34, s34, 3
	ds_write_b64 v35, v[32:33] offset:2048
	v_fma_f64 v[30:31], -v[32:33], v[72:73], v[30:31]
	v_mov_b32_e32 v44, s34
	s_add_i32 s34, s33, s21
	s_waitcnt lgkmcnt(1)
	v_mul_f64 v[30:31], v[30:31], v[38:39]
	ds_read2_b64 v[36:39], v36 offset1:1
	ds_read2_b64 v[40:43], v40 offset1:1
	s_lshl_b32 s34, s34, 3
	v_mov_b32_e32 v48, s34
	s_lshl_b32 s29, s29, 4
	ds_read2_b64 v[44:47], v44 offset1:1
	ds_read2_b64 v[48:51], v48 offset1:1
	v_or_b32_e32 v35, s29, v0
	s_add_i32 s34, s33, s17
	v_lshlrev_b32_e32 v35, 3, v35
	s_waitcnt lgkmcnt(3)
	v_fma_f64 v[24:25], -v[4:5], v[38:39], v[24:25]
	s_lshl_b32 s34, s34, 3
	ds_write_b64 v35, v[30:31] offset:2048
	s_waitcnt lgkmcnt(3)
	v_fma_f64 v[24:25], -v[6:7], v[42:43], v[24:25]
	v_mov_b32_e32 v35, s34
	s_add_i32 s34, s33, s25
	s_waitcnt lgkmcnt(2)
	v_fma_f64 v[24:25], -v[8:9], v[46:47], v[24:25]
	s_lshl_b32 s34, s34, 3
	s_waitcnt lgkmcnt(1)
	v_fma_f64 v[24:25], -v[10:11], v[50:51], v[24:25]
	ds_read2_b64 v[50:53], v35 offset1:1
	v_mov_b32_e32 v35, s34
	s_add_i32 s34, s33, s16
	s_lshl_b32 s34, s34, 3
	ds_read2_b64 v[54:57], v35 offset1:1
	v_mov_b32_e32 v35, s34
	s_add_i32 s34, s33, s26
	s_lshl_b32 s34, s34, 3
	v_mov_b32_e32 v38, s34
	s_add_i32 s34, s33, s13
	s_lshl_b32 s34, s34, 3
	ds_read2_b64 v[58:61], v35 offset1:1
	ds_read2_b64 v[62:65], v38 offset1:1
	v_mov_b32_e32 v35, s34
	s_add_i32 s34, s33, s27
	s_lshl_b32 s34, s34, 3
	s_waitcnt lgkmcnt(3)
	v_fma_f64 v[24:25], -v[12:13], v[52:53], v[24:25]
	v_mov_b32_e32 v38, s34
	ds_read2_b64 v[66:69], v35 offset1:1
	ds_read2_b64 v[70:73], v38 offset1:1
	s_waitcnt lgkmcnt(4)
	v_fma_f64 v[24:25], -v[14:15], v[56:57], v[24:25]
	s_add_i32 s34, s33, s12
	s_waitcnt lgkmcnt(3)
	v_fma_f64 v[24:25], -v[20:21], v[60:61], v[24:25]
	s_lshl_b32 s34, s34, 3
	v_fma_f64 v[18:19], -v[4:5], v[36:37], v[18:19]
	s_waitcnt lgkmcnt(2)
	v_fma_f64 v[24:25], -v[22:23], v[64:65], v[24:25]
	v_mov_b32_e32 v35, s34
	s_add_i32 s34, s33, s29
	v_fma_f64 v[18:19], -v[6:7], v[40:41], v[18:19]
	s_waitcnt lgkmcnt(1)
	v_fma_f64 v[24:25], -v[26:27], v[68:69], v[24:25]
	s_lshl_b32 s34, s34, 3
	v_fma_f64 v[18:19], -v[8:9], v[44:45], v[18:19]
	s_waitcnt lgkmcnt(0)
	v_fma_f64 v[24:25], -v[28:29], v[72:73], v[24:25]
	ds_read2_b64 v[72:75], v35 offset1:1
	v_mov_b32_e32 v35, s34
	s_add_i32 s34, s33, s9
	v_fma_f64 v[18:19], -v[10:11], v[48:49], v[18:19]
	s_lshl_b32 s34, s34, 3
	v_fma_f64 v[18:19], -v[12:13], v[50:51], v[18:19]
	ds_read2_b64 v[76:79], v35 offset1:1
	v_mov_b32_e32 v35, s34
	v_fma_f64 v[18:19], -v[14:15], v[54:55], v[18:19]
	ds_read2_b64 v[80:83], v35 offset1:1
	s_add_i32 s34, s28, 0xfffff890
	v_fma_f64 v[18:19], -v[20:21], v[58:59], v[18:19]
	v_mov_b32_e32 v35, s34
	v_fma_f64 v[18:19], -v[22:23], v[62:63], v[18:19]
	ds_read_b64 v[38:39], v35
	v_fma_f64 v[18:19], -v[26:27], v[66:67], v[18:19]
	s_waitcnt lgkmcnt(3)
	v_fma_f64 v[24:25], -v[32:33], v[74:75], v[24:25]
	v_fma_f64 v[18:19], -v[28:29], v[70:71], v[18:19]
	s_waitcnt lgkmcnt(2)
	v_fma_f64 v[24:25], -v[30:31], v[78:79], v[24:25]
	v_fma_f64 v[18:19], -v[32:33], v[72:73], v[18:19]
	s_waitcnt lgkmcnt(1)
	v_mul_f64 v[24:25], v[24:25], v[82:83]
	v_fma_f64 v[18:19], -v[30:31], v[76:77], v[18:19]
	v_fma_f64 v[18:19], -v[24:25], v[80:81], v[18:19]
	s_lshl_b32 s34, s33, 4
	s_add_i32 s33, s30, -16
	s_waitcnt lgkmcnt(0)
	v_mul_f64 v[86:87], v[18:19], v[38:39]
	v_or_b32_e32 v18, s34, v0
	s_add_i32 s19, s33, s19
	v_lshlrev_b32_e32 v18, 3, v18
	s_lshl_b32 s19, s19, 3
	ds_write_b64 v18, v[86:87] offset:2048
	v_mov_b32_e32 v18, s19
	ds_write_b64 v34, v[24:25] offset:2048
	ds_read2_b64 v[34:37], v18 offset1:1
	s_add_i32 s19, s33, s20
	s_add_i32 s18, s33, s18
	s_lshl_b32 s19, s19, 3
	s_lshl_b32 s18, s18, 3
	v_mov_b32_e32 v18, s19
	s_waitcnt lgkmcnt(0)
	v_fma_f64 v[36:37], -v[4:5], v[36:37], v[16:17]
	v_mov_b32_e32 v16, s18
	s_add_i32 s18, s33, s21
	s_add_i32 s17, s33, s17
	ds_read2_b64 v[38:41], v18 offset1:1
	s_lshl_b32 s18, s18, 3
	s_lshl_b32 s17, s17, 3
	v_mov_b32_e32 v42, s18
	v_mov_b32_e32 v46, s17
	s_add_i32 s17, s33, s25
	ds_read2_b64 v[16:19], v16 offset1:1
	ds_read2_b64 v[42:45], v42 offset1:1
	s_lshl_b32 s17, s17, 3
	v_mov_b32_e32 v50, s17
	ds_read2_b64 v[46:49], v46 offset1:1
	ds_read2_b64 v[50:53], v50 offset1:1
	s_waitcnt lgkmcnt(4)
	v_fma_f64 v[36:37], -v[6:7], v[40:41], v[36:37]
	s_add_i32 s16, s33, s16
	s_waitcnt lgkmcnt(3)
	v_fma_f64 v[18:19], -v[8:9], v[18:19], v[36:37]
	s_lshl_b32 s16, s16, 3
	s_waitcnt lgkmcnt(2)
	v_fma_f64 v[18:19], -v[10:11], v[44:45], v[18:19]
	v_mov_b32_e32 v36, s16
	s_add_i32 s16, s33, s26
	s_waitcnt lgkmcnt(1)
	v_fma_f64 v[18:19], -v[12:13], v[48:49], v[18:19]
	s_lshl_b32 s16, s16, 3
	s_add_i32 s13, s33, s13
	s_waitcnt lgkmcnt(0)
	v_fma_f64 v[18:19], -v[14:15], v[52:53], v[18:19]
	ds_read2_b64 v[52:55], v36 offset1:1
	v_mov_b32_e32 v36, s16
	s_lshl_b32 s13, s13, 3
	ds_read2_b64 v[56:59], v36 offset1:1
	v_mov_b32_e32 v36, s13
	s_add_i32 s13, s33, s27
	s_add_i32 s12, s33, s12
	s_lshl_b32 s13, s13, 3
	s_lshl_b32 s12, s12, 3
	v_mov_b32_e32 v37, s13
	ds_read2_b64 v[60:63], v36 offset1:1
	ds_read2_b64 v[64:67], v37 offset1:1
	v_mov_b32_e32 v36, s12
	s_add_i32 s12, s33, s29
	s_lshl_b32 s12, s12, 3
	v_fma_f64 v[2:3], -v[4:5], v[34:35], v[2:3]
	s_waitcnt lgkmcnt(3)
	v_fma_f64 v[18:19], -v[20:21], v[54:55], v[18:19]
	v_mov_b32_e32 v37, s12
	ds_read2_b64 v[68:71], v36 offset1:1
	ds_read2_b64 v[72:75], v37 offset1:1
	v_fma_f64 v[2:3], -v[6:7], v[38:39], v[2:3]
	s_waitcnt lgkmcnt(4)
	v_fma_f64 v[18:19], -v[22:23], v[58:59], v[18:19]
	s_add_i32 s9, s33, s9
	v_fma_f64 v[2:3], -v[8:9], v[16:17], v[2:3]
	s_waitcnt lgkmcnt(3)
	v_fma_f64 v[18:19], -v[26:27], v[62:63], v[18:19]
	s_lshl_b32 s9, s9, 3
	v_fma_f64 v[2:3], -v[10:11], v[42:43], v[2:3]
	s_waitcnt lgkmcnt(2)
	v_fma_f64 v[18:19], -v[28:29], v[66:67], v[18:19]
	v_mov_b32_e32 v36, s9
	s_add_i32 s9, s33, s34
	v_fma_f64 v[2:3], -v[12:13], v[46:47], v[2:3]
	s_waitcnt lgkmcnt(1)
	v_fma_f64 v[18:19], -v[32:33], v[70:71], v[18:19]
	s_lshl_b32 s9, s9, 3
	s_add_i32 s8, s33, s8
	v_fma_f64 v[2:3], -v[14:15], v[50:51], v[2:3]
	s_waitcnt lgkmcnt(0)
	v_fma_f64 v[18:19], -v[30:31], v[74:75], v[18:19]
	ds_read2_b64 v[74:77], v36 offset1:1
	v_mov_b32_e32 v36, s9
	s_lshl_b32 s8, s8, 3
	v_fma_f64 v[2:3], -v[20:21], v[52:53], v[2:3]
	ds_read2_b64 v[78:81], v36 offset1:1
	v_mov_b32_e32 v36, s8
	v_fma_f64 v[2:3], -v[22:23], v[56:57], v[2:3]
	ds_read2_b64 v[82:85], v36 offset1:1
	s_add_i32 s8, s28, 0xfffff780
	v_fma_f64 v[2:3], -v[26:27], v[60:61], v[2:3]
	v_mov_b32_e32 v36, s8
	v_fma_f64 v[2:3], -v[28:29], v[64:65], v[2:3]
	ds_read_b64 v[36:37], v36
	v_fma_f64 v[2:3], -v[32:33], v[68:69], v[2:3]
	s_waitcnt lgkmcnt(3)
	v_fma_f64 v[18:19], -v[24:25], v[76:77], v[18:19]
	v_fma_f64 v[2:3], -v[30:31], v[72:73], v[2:3]
	s_waitcnt lgkmcnt(2)
	v_fma_f64 v[18:19], -v[86:87], v[80:81], v[18:19]
	v_fma_f64 v[2:3], -v[24:25], v[74:75], v[2:3]
	s_waitcnt lgkmcnt(1)
	v_mul_f64 v[18:19], v[18:19], v[84:85]
	v_fma_f64 v[2:3], -v[86:87], v[78:79], v[2:3]
	ds_write_b64 v1, v[18:19] offset:2048
	v_fma_f64 v[2:3], -v[18:19], v[82:83], v[2:3]
	v_lshlrev_b32_e32 v1, 3, v0
	s_waitcnt lgkmcnt(1)
	v_mul_f64 v[2:3], v[2:3], v[36:37]
	v_lshl_or_b32 v1, s33, 7, v1
	s_sub_i32 s8, s30, 17
	ds_write_b64 v1, v[2:3] offset:2048
	s_cmp_gt_i32 s8, -1
	s_cbranch_scc1 .LBB82_46
	s_branch .LBB82_64
.LBB82_45:
	s_mov_b32 s8, s31
	s_cmp_gt_i32 s8, -1
	s_cbranch_scc0 .LBB82_64
.LBB82_46:
	s_cmp_lt_u32 s8, 11
	s_cbranch_scc1 .LBB82_51
; %bb.47:
	s_lshl_b32 s9, s8, 4
	v_or_b32_e32 v1, s9, v0
	v_lshlrev_b32_e32 v1, 3, v1
	v_add_u32_e32 v2, 0x400, v1
	ds_read2_b64 v[18:21], v1 offset0:208 offset1:224
	ds_read2_b64 v[22:25], v2 offset0:112 offset1:128
	;; [unrolled: 1-line block ×6, first 2 shown]
	s_waitcnt lgkmcnt(4)
	v_mov_b32_e32 v28, v24
	v_mov_b32_e32 v29, v25
	s_waitcnt lgkmcnt(3)
	v_mov_b32_e32 v26, v16
	v_mov_b32_e32 v27, v17
	;; [unrolled: 3-line block ×4, first 2 shown]
	s_cmp_le_i32 s31, s8
	s_cbranch_scc1 .LBB82_50
; %bb.48:
	s_lshl_b32 s13, s30, 7
	s_lshl_b32 s12, s8, 3
	s_add_i32 s12, s13, s12
	v_lshl_or_b32 v8, v0, 3, s13
	s_addk_i32 s12, 0xff28
	v_add_u32_e32 v8, 0x780, v8
	s_mov_b32 s13, s31
.LBB82_49:                              ; =>This Inner Loop Header: Depth=1
	v_mov_b32_e32 v9, s12
	ds_read_b64 v[12:13], v8
	ds_read2_b64 v[30:33], v9 offset0:10 offset1:11
	ds_read2_b64 v[34:37], v9 offset0:8 offset1:9
	;; [unrolled: 1-line block ×5, first 2 shown]
	ds_read2_b64 v[50:53], v9 offset1:1
	s_add_i32 s13, s13, -1
	s_addk_i32 s12, 0xff80
	v_add_u32_e32 v8, 0xffffff80, v8
	s_cmp_gt_i32 s13, s8
	s_waitcnt lgkmcnt(5)
	v_fma_f64 v[28:29], -v[12:13], v[32:33], v[28:29]
	v_fma_f64 v[22:23], -v[12:13], v[30:31], v[22:23]
	s_waitcnt lgkmcnt(4)
	v_fma_f64 v[20:21], -v[12:13], v[36:37], v[20:21]
	v_fma_f64 v[18:19], -v[12:13], v[34:35], v[18:19]
	;; [unrolled: 3-line block ×6, first 2 shown]
	s_cbranch_scc1 .LBB82_49
.LBB82_50:
	s_add_i32 s13, s8, -1
	s_add_i32 s12, s13, s9
	s_lshl_b32 s12, s12, 3
	v_mov_b32_e32 v8, s12
	s_mul_i32 s12, s8, 0x88
	ds_read2_b64 v[30:33], v8 offset1:1
	s_add_i32 s16, s12, 0xffffff78
	v_mov_b32_e32 v8, s16
	ds_read_b64 v[12:13], v8
	v_add_u32_e32 v1, 0x800, v1
	s_waitcnt lgkmcnt(1)
	v_mul_f64 v[8:9], v[28:29], v[32:33]
	s_lshl_b32 s13, s13, 4
	s_add_i32 s17, s8, -3
	ds_write_b64 v1, v[8:9]
	v_fma_f64 v[22:23], -v[8:9], v[30:31], v[22:23]
	v_or_b32_e32 v1, s13, v0
	s_add_i32 s16, s17, s9
	s_waitcnt lgkmcnt(1)
	v_mul_f64 v[12:13], v[22:23], v[12:13]
	v_lshlrev_b32_e32 v1, 3, v1
	s_lshl_b32 s16, s16, 3
	ds_write_b64 v1, v[12:13] offset:2048
	v_mov_b32_e32 v1, s16
	s_add_i32 s16, s17, s13
	s_lshl_b32 s16, s16, 3
	ds_read2_b64 v[28:31], v1 offset1:1
	v_mov_b32_e32 v1, s16
	s_sub_i32 s16, s9, 32
	s_add_i32 s18, s17, s16
	s_lshl_b32 s18, s18, 3
	ds_read2_b64 v[32:35], v1 offset1:1
	v_mov_b32_e32 v1, s18
	ds_read2_b64 v[36:39], v1 offset1:1
	s_add_i32 s18, s12, 0xfffffe68
	v_mov_b32_e32 v1, s18
	s_waitcnt lgkmcnt(2)
	v_fma_f64 v[20:21], -v[8:9], v[30:31], v[20:21]
	ds_read_b64 v[22:23], v1
	s_add_i32 s19, s8, -5
	s_waitcnt lgkmcnt(2)
	v_fma_f64 v[20:21], -v[12:13], v[34:35], v[20:21]
	v_or_b32_e32 v1, s16, v0
	s_add_i32 s18, s19, s9
	s_waitcnt lgkmcnt(1)
	v_mul_f64 v[20:21], v[20:21], v[38:39]
	v_lshlrev_b32_e32 v1, 3, v1
	v_fma_f64 v[18:19], -v[8:9], v[28:29], v[18:19]
	s_lshl_b32 s18, s18, 3
	ds_write_b64 v1, v[20:21] offset:2048
	v_fma_f64 v[18:19], -v[12:13], v[32:33], v[18:19]
	v_mov_b32_e32 v1, s18
	s_add_i32 s18, s19, s13
	v_fma_f64 v[18:19], -v[20:21], v[36:37], v[18:19]
	s_lshl_b32 s18, s18, 3
	s_lshl_b32 s17, s17, 4
	s_waitcnt lgkmcnt(1)
	v_mul_f64 v[18:19], v[18:19], v[22:23]
	v_mov_b32_e32 v22, s18
	ds_read2_b64 v[28:31], v1 offset1:1
	ds_read2_b64 v[32:35], v22 offset1:1
	v_or_b32_e32 v1, s17, v0
	s_add_i32 s18, s19, s16
	v_lshlrev_b32_e32 v1, 3, v1
	s_lshl_b32 s18, s18, 3
	ds_write_b64 v1, v[18:19] offset:2048
	v_mov_b32_e32 v1, s18
	s_add_i32 s18, s19, s17
	s_waitcnt lgkmcnt(2)
	v_fma_f64 v[22:23], -v[8:9], v[30:31], v[26:27]
	s_lshl_b32 s18, s18, 3
	s_waitcnt lgkmcnt(1)
	v_fma_f64 v[22:23], -v[12:13], v[34:35], v[22:23]
	ds_read2_b64 v[34:37], v1 offset1:1
	v_mov_b32_e32 v1, s18
	s_sub_i32 s18, s9, 64
	s_add_i32 s20, s19, s18
	s_lshl_b32 s20, s20, 3
	ds_read2_b64 v[38:41], v1 offset1:1
	v_mov_b32_e32 v1, s20
	ds_read2_b64 v[42:45], v1 offset1:1
	s_add_i32 s20, s12, 0xfffffd58
	s_waitcnt lgkmcnt(2)
	v_fma_f64 v[22:23], -v[20:21], v[36:37], v[22:23]
	v_mov_b32_e32 v1, s20
	s_add_i32 s21, s8, -7
	s_waitcnt lgkmcnt(1)
	v_fma_f64 v[22:23], -v[18:19], v[40:41], v[22:23]
	ds_read_b64 v[26:27], v1
	v_or_b32_e32 v1, s18, v0
	v_fma_f64 v[14:15], -v[8:9], v[28:29], v[14:15]
	s_add_i32 s20, s21, s9
	s_waitcnt lgkmcnt(1)
	v_mul_f64 v[22:23], v[22:23], v[44:45]
	v_lshlrev_b32_e32 v1, 3, v1
	v_fma_f64 v[14:15], -v[12:13], v[32:33], v[14:15]
	s_lshl_b32 s20, s20, 3
	ds_write_b64 v1, v[22:23] offset:2048
	v_fma_f64 v[14:15], -v[20:21], v[34:35], v[14:15]
	v_mov_b32_e32 v1, s20
	s_add_i32 s20, s21, s13
	v_fma_f64 v[14:15], -v[18:19], v[38:39], v[14:15]
	s_lshl_b32 s20, s20, 3
	v_fma_f64 v[14:15], -v[22:23], v[42:43], v[14:15]
	v_mov_b32_e32 v30, s20
	s_lshl_b32 s19, s19, 4
	s_waitcnt lgkmcnt(1)
	v_mul_f64 v[14:15], v[14:15], v[26:27]
	ds_read2_b64 v[26:29], v1 offset1:1
	ds_read2_b64 v[30:33], v30 offset1:1
	v_or_b32_e32 v1, s19, v0
	s_add_i32 s20, s21, s16
	v_lshlrev_b32_e32 v1, 3, v1
	s_lshl_b32 s20, s20, 3
	ds_write_b64 v1, v[14:15] offset:2048
	v_mov_b32_e32 v1, s20
	s_add_i32 s20, s21, s17
	s_waitcnt lgkmcnt(2)
	v_fma_f64 v[24:25], -v[8:9], v[28:29], v[24:25]
	s_lshl_b32 s20, s20, 3
	s_waitcnt lgkmcnt(1)
	v_fma_f64 v[24:25], -v[12:13], v[32:33], v[24:25]
	ds_read2_b64 v[32:35], v1 offset1:1
	v_mov_b32_e32 v1, s20
	s_add_i32 s20, s21, s18
	s_lshl_b32 s20, s20, 3
	ds_read2_b64 v[36:39], v1 offset1:1
	v_mov_b32_e32 v1, s20
	s_add_i32 s20, s21, s19
	s_lshl_b32 s20, s20, 3
	v_mov_b32_e32 v28, s20
	s_add_i32 s20, s12, 0xfffffcd0
	ds_read2_b64 v[40:43], v1 offset1:1
	ds_read2_b64 v[44:47], v28 offset1:1
	v_mov_b32_e32 v1, s20
	ds_read_b64 v[28:29], v1
	s_waitcnt lgkmcnt(4)
	v_fma_f64 v[24:25], -v[20:21], v[34:35], v[24:25]
	s_waitcnt lgkmcnt(3)
	v_fma_f64 v[24:25], -v[18:19], v[38:39], v[24:25]
	;; [unrolled: 2-line block ×3, first 2 shown]
	s_add_i32 s20, s9, 0xffffffa0
	s_waitcnt lgkmcnt(1)
	v_fma_f64 v[24:25], -v[14:15], v[46:47], v[24:25]
	v_or_b32_e32 v1, s20, v0
	s_add_i32 s25, s21, s20
	s_waitcnt lgkmcnt(0)
	v_mul_f64 v[24:25], v[24:25], v[28:29]
	v_lshlrev_b32_e32 v1, 3, v1
	s_lshl_b32 s25, s25, 3
	ds_write_b64 v1, v[24:25] offset:2048
	v_fma_f64 v[10:11], -v[8:9], v[26:27], v[10:11]
	v_mov_b32_e32 v1, s25
	v_fma_f64 v[10:11], -v[12:13], v[30:31], v[10:11]
	ds_read_b64 v[26:27], v1
	v_fma_f64 v[10:11], -v[20:21], v[32:33], v[10:11]
	s_add_i32 s25, s12, 0xfffffc48
	v_fma_f64 v[10:11], -v[18:19], v[36:37], v[10:11]
	v_mov_b32_e32 v1, s25
	s_add_i32 s25, s8, -9
	v_fma_f64 v[10:11], -v[22:23], v[40:41], v[10:11]
	s_add_i32 s26, s25, s9
	v_fma_f64 v[10:11], -v[14:15], v[44:45], v[10:11]
	s_lshl_b32 s26, s26, 3
	ds_read_b64 v[28:29], v1
	s_waitcnt lgkmcnt(1)
	v_fma_f64 v[10:11], -v[24:25], v[26:27], v[10:11]
	v_mov_b32_e32 v26, s26
	s_add_i32 s26, s25, s13
	s_lshl_b32 s26, s26, 3
	v_mov_b32_e32 v30, s26
	s_add_i32 s26, s25, s16
	s_lshl_b32 s26, s26, 3
	v_mov_b32_e32 v34, s26
	s_add_i32 s26, s25, s17
	s_waitcnt lgkmcnt(0)
	v_mul_f64 v[10:11], v[10:11], v[28:29]
	ds_read2_b64 v[26:29], v26 offset1:1
	ds_read2_b64 v[30:33], v30 offset1:1
	s_lshl_b32 s26, s26, 3
	v_mov_b32_e32 v38, s26
	s_lshl_b32 s21, s21, 4
	ds_read2_b64 v[34:37], v34 offset1:1
	ds_read2_b64 v[38:41], v38 offset1:1
	v_or_b32_e32 v1, s21, v0
	s_add_i32 s26, s25, s18
	v_lshlrev_b32_e32 v1, 3, v1
	s_waitcnt lgkmcnt(3)
	v_fma_f64 v[16:17], -v[8:9], v[28:29], v[16:17]
	s_lshl_b32 s26, s26, 3
	ds_write_b64 v1, v[10:11] offset:2048
	s_waitcnt lgkmcnt(3)
	v_fma_f64 v[16:17], -v[12:13], v[32:33], v[16:17]
	v_mov_b32_e32 v1, s26
	s_add_i32 s26, s25, s19
	s_waitcnt lgkmcnt(2)
	v_fma_f64 v[16:17], -v[20:21], v[36:37], v[16:17]
	s_lshl_b32 s26, s26, 3
	s_waitcnt lgkmcnt(1)
	v_fma_f64 v[16:17], -v[18:19], v[40:41], v[16:17]
	ds_read2_b64 v[40:43], v1 offset1:1
	v_mov_b32_e32 v1, s26
	s_add_i32 s26, s25, s20
	s_lshl_b32 s26, s26, 3
	ds_read2_b64 v[44:47], v1 offset1:1
	v_mov_b32_e32 v1, s26
	s_add_i32 s26, s25, s21
	s_lshl_b32 s26, s26, 3
	v_mov_b32_e32 v28, s26
	s_add_i32 s26, s12, 0xfffffbc0
	ds_read2_b64 v[48:51], v1 offset1:1
	ds_read2_b64 v[52:55], v28 offset1:1
	v_mov_b32_e32 v1, s26
	ds_read_b64 v[28:29], v1
	s_waitcnt lgkmcnt(4)
	v_fma_f64 v[16:17], -v[22:23], v[42:43], v[16:17]
	s_waitcnt lgkmcnt(3)
	v_fma_f64 v[16:17], -v[14:15], v[46:47], v[16:17]
	;; [unrolled: 2-line block ×3, first 2 shown]
	s_add_i32 s26, s9, 0xffffff80
	s_waitcnt lgkmcnt(1)
	v_fma_f64 v[16:17], -v[10:11], v[54:55], v[16:17]
	v_or_b32_e32 v1, s26, v0
	v_fma_f64 v[6:7], -v[8:9], v[26:27], v[6:7]
	s_add_i32 s27, s25, s26
	s_waitcnt lgkmcnt(0)
	v_mul_f64 v[16:17], v[16:17], v[28:29]
	v_lshlrev_b32_e32 v1, 3, v1
	v_fma_f64 v[6:7], -v[12:13], v[30:31], v[6:7]
	s_lshl_b32 s27, s27, 3
	ds_write_b64 v1, v[16:17] offset:2048
	v_fma_f64 v[6:7], -v[20:21], v[34:35], v[6:7]
	v_mov_b32_e32 v1, s27
	s_add_i32 s27, s12, 0xfffffb38
	v_fma_f64 v[6:7], -v[18:19], v[38:39], v[6:7]
	ds_read_b64 v[26:27], v1
	v_mov_b32_e32 v1, s27
	v_fma_f64 v[6:7], -v[22:23], v[40:41], v[6:7]
	ds_read_b64 v[28:29], v1
	v_fma_f64 v[6:7], -v[14:15], v[44:45], v[6:7]
	s_lshl_b32 s27, s25, 4
	s_add_i32 s25, s8, -11
	v_fma_f64 v[6:7], -v[24:25], v[48:49], v[6:7]
	s_add_i32 s28, s25, s9
	v_fma_f64 v[6:7], -v[10:11], v[52:53], v[6:7]
	s_lshl_b32 s28, s28, 3
	s_add_i32 s13, s25, s13
	s_waitcnt lgkmcnt(1)
	v_fma_f64 v[6:7], -v[16:17], v[26:27], v[6:7]
	v_mov_b32_e32 v1, s28
	s_lshl_b32 s13, s13, 3
	s_waitcnt lgkmcnt(0)
	v_mul_f64 v[62:63], v[6:7], v[28:29]
	v_mov_b32_e32 v6, s13
	ds_read2_b64 v[26:29], v1 offset1:1
	ds_read2_b64 v[30:33], v6 offset1:1
	v_or_b32_e32 v1, s27, v0
	s_add_i32 s13, s25, s16
	v_lshlrev_b32_e32 v1, 3, v1
	s_lshl_b32 s13, s13, 3
	ds_write_b64 v1, v[62:63] offset:2048
	s_waitcnt lgkmcnt(2)
	v_fma_f64 v[4:5], -v[8:9], v[28:29], v[4:5]
	v_mov_b32_e32 v1, s13
	s_add_i32 s13, s25, s17
	s_waitcnt lgkmcnt(1)
	v_fma_f64 v[28:29], -v[12:13], v[32:33], v[4:5]
	ds_read2_b64 v[4:7], v1 offset1:1
	s_lshl_b32 s13, s13, 3
	v_mov_b32_e32 v1, s13
	s_add_i32 s13, s25, s18
	s_lshl_b32 s13, s13, 3
	ds_read2_b64 v[32:35], v1 offset1:1
	v_mov_b32_e32 v1, s13
	s_add_i32 s13, s25, s19
	s_lshl_b32 s13, s13, 3
	s_waitcnt lgkmcnt(1)
	v_fma_f64 v[6:7], -v[20:21], v[6:7], v[28:29]
	v_mov_b32_e32 v28, s13
	s_add_i32 s13, s25, s20
	s_lshl_b32 s13, s13, 3
	ds_read2_b64 v[36:39], v1 offset1:1
	ds_read2_b64 v[40:43], v28 offset1:1
	v_mov_b32_e32 v1, s13
	s_add_i32 s13, s25, s21
	s_lshl_b32 s13, s13, 3
	v_mov_b32_e32 v28, s13
	ds_read2_b64 v[44:47], v1 offset1:1
	ds_read2_b64 v[48:51], v28 offset1:1
	s_waitcnt lgkmcnt(4)
	v_fma_f64 v[6:7], -v[18:19], v[34:35], v[6:7]
	s_add_i32 s13, s25, s26
	s_waitcnt lgkmcnt(3)
	v_fma_f64 v[6:7], -v[22:23], v[38:39], v[6:7]
	s_lshl_b32 s13, s13, 3
	s_waitcnt lgkmcnt(2)
	v_fma_f64 v[6:7], -v[14:15], v[42:43], v[6:7]
	v_mov_b32_e32 v1, s13
	s_add_i32 s13, s25, s27
	s_waitcnt lgkmcnt(1)
	v_fma_f64 v[6:7], -v[24:25], v[46:47], v[6:7]
	s_lshl_b32 s13, s13, 3
	s_addk_i32 s9, 0xff60
	v_fma_f64 v[2:3], -v[8:9], v[26:27], v[2:3]
	s_waitcnt lgkmcnt(0)
	v_fma_f64 v[6:7], -v[10:11], v[50:51], v[6:7]
	ds_read2_b64 v[50:53], v1 offset1:1
	v_mov_b32_e32 v1, s13
	s_add_i32 s13, s25, s9
	v_fma_f64 v[2:3], -v[12:13], v[30:31], v[2:3]
	s_lshl_b32 s13, s13, 3
	v_fma_f64 v[2:3], -v[20:21], v[4:5], v[2:3]
	ds_read2_b64 v[54:57], v1 offset1:1
	v_mov_b32_e32 v1, s13
	v_fma_f64 v[2:3], -v[18:19], v[32:33], v[2:3]
	ds_read2_b64 v[58:61], v1 offset1:1
	s_addk_i32 s12, 0xfa28
	v_fma_f64 v[2:3], -v[22:23], v[36:37], v[2:3]
	v_mov_b32_e32 v1, s12
	v_fma_f64 v[2:3], -v[14:15], v[40:41], v[2:3]
	ds_read_b64 v[28:29], v1
	v_fma_f64 v[2:3], -v[24:25], v[44:45], v[2:3]
	s_waitcnt lgkmcnt(3)
	v_fma_f64 v[6:7], -v[16:17], v[52:53], v[6:7]
	v_fma_f64 v[2:3], -v[10:11], v[48:49], v[2:3]
	s_waitcnt lgkmcnt(2)
	v_fma_f64 v[6:7], -v[62:63], v[56:57], v[6:7]
	v_or_b32_e32 v1, s9, v0
	v_fma_f64 v[2:3], -v[16:17], v[50:51], v[2:3]
	s_waitcnt lgkmcnt(1)
	v_mul_f64 v[6:7], v[6:7], v[60:61]
	v_lshlrev_b32_e32 v1, 3, v1
	v_fma_f64 v[2:3], -v[62:63], v[54:55], v[2:3]
	ds_write_b64 v1, v[6:7] offset:2048
	v_fma_f64 v[2:3], -v[6:7], v[58:59], v[2:3]
	v_lshlrev_b32_e32 v1, 3, v0
	s_waitcnt lgkmcnt(1)
	v_mul_f64 v[2:3], v[2:3], v[28:29]
	v_lshl_or_b32 v1, s25, 7, v1
	s_add_i32 s8, s8, -12
	ds_write_b64 v1, v[2:3] offset:2048
.LBB82_51:
	s_cmp_lt_i32 s8, 0
	s_cbranch_scc1 .LBB82_64
; %bb.52:
	s_bitcmp1_b32 s8, 0
	s_cselect_b64 s[12:13], -1, 0
	s_and_b64 vcc, exec, s[12:13]
	s_mov_b32 s9, s8
	s_cbranch_vccnz .LBB82_57
; %bb.53:
	v_lshlrev_b32_e32 v1, 3, v0
	v_lshl_or_b32 v1, s8, 7, v1
	ds_read_b64 v[2:3], v1 offset:2048
	s_cmp_le_i32 s31, s8
	s_cbranch_scc1 .LBB82_56
; %bb.54:
	s_lshl_b32 s12, s30, 7
	s_lshl_b32 s9, s8, 3
	s_add_i32 s9, s12, s9
	v_lshl_or_b32 v4, v0, 3, s12
	s_addk_i32 s9, 0xff80
	v_add_u32_e32 v4, 0x780, v4
	s_mov_b32 s12, s31
.LBB82_55:                              ; =>This Inner Loop Header: Depth=1
	v_mov_b32_e32 v5, s9
	ds_read_b64 v[6:7], v4
	ds_read_b64 v[8:9], v5
	s_add_i32 s12, s12, -1
	s_addk_i32 s9, 0xff80
	v_add_u32_e32 v4, 0xffffff80, v4
	s_cmp_gt_i32 s12, s8
	s_waitcnt lgkmcnt(0)
	v_fma_f64 v[2:3], -v[6:7], v[8:9], v[2:3]
	s_cbranch_scc1 .LBB82_55
.LBB82_56:
	s_mul_i32 s9, s8, 0x88
	v_mov_b32_e32 v4, s9
	ds_read_b64 v[4:5], v4
	v_add_u32_e32 v1, 0x800, v1
	s_add_i32 s9, s8, -1
	s_waitcnt lgkmcnt(0)
	v_mul_f64 v[2:3], v[2:3], v[4:5]
	ds_write_b64 v1, v[2:3]
.LBB82_57:
	s_cmp_eq_u32 s8, 0
	s_cbranch_scc1 .LBB82_64
; %bb.58:
	s_lshl_b32 s12, s30, 7
	s_lshl_b32 s8, s9, 3
	s_add_i32 s13, s12, s8
	v_lshl_or_b32 v1, v0, 3, s12
	s_add_i32 s8, s13, 0xffffff80
	v_add_u32_e32 v1, 0x780, v1
	s_add_i32 s12, s13, 0xffffff78
	v_lshlrev_b32_e32 v6, 3, v0
	s_branch .LBB82_60
.LBB82_59:                              ;   in Loop: Header=BB82_60 Depth=1
	s_addk_i32 s13, 0xff78
	v_mov_b32_e32 v5, s13
	ds_read_b64 v[8:9], v5
	s_add_i32 s13, s9, -2
	s_add_i32 s8, s8, -16
	;; [unrolled: 1-line block ×3, first 2 shown]
	v_add_u32_e32 v4, 0x800, v7
	s_cmp_lt_i32 s9, 2
	s_waitcnt lgkmcnt(0)
	v_mul_f64 v[2:3], v[2:3], v[8:9]
	s_mov_b32 s9, s13
	ds_write_b64 v4, v[2:3]
	s_cbranch_scc1 .LBB82_64
.LBB82_60:                              ; =>This Loop Header: Depth=1
                                        ;     Child Loop BB82_61 Depth 2
                                        ;     Child Loop BB82_63 Depth 2
	v_lshl_or_b32 v2, s9, 7, v6
	ds_read_b64 v[4:5], v2 offset:2048
	s_cmp_le_i32 s31, s9
	v_mov_b32_e32 v3, v1
	s_mov_b32 s13, s8
	s_mov_b32 s16, s31
	s_cbranch_scc1 .LBB82_62
.LBB82_61:                              ;   Parent Loop BB82_60 Depth=1
                                        ; =>  This Inner Loop Header: Depth=2
	v_mov_b32_e32 v7, s13
	ds_read_b64 v[8:9], v3
	ds_read_b64 v[10:11], v7
	s_add_i32 s16, s16, -1
	s_addk_i32 s13, 0xff80
	v_add_u32_e32 v3, 0xffffff80, v3
	s_cmp_gt_i32 s16, s9
	s_waitcnt lgkmcnt(0)
	v_fma_f64 v[4:5], -v[8:9], v[10:11], v[4:5]
	s_cbranch_scc1 .LBB82_61
.LBB82_62:                              ;   in Loop: Header=BB82_60 Depth=1
	s_mul_i32 s13, s9, 0x88
	v_add_u32_e32 v8, 0x800, v2
	v_mov_b32_e32 v2, s13
	s_lshl_b32 s16, s9, 7
	ds_read_b64 v[10:11], v2
	s_addk_i32 s16, 0xff80
	v_lshl_or_b32 v7, v0, 3, s16
	ds_read_b64 v[2:3], v7 offset:2048
	s_cmp_lt_i32 s31, s9
	s_waitcnt lgkmcnt(1)
	v_mul_f64 v[4:5], v[4:5], v[10:11]
	ds_write_b64 v8, v[4:5]
	v_mov_b32_e32 v4, v1
	s_mov_b32 s16, s12
	s_mov_b32 s17, s30
	s_cbranch_scc1 .LBB82_59
.LBB82_63:                              ;   Parent Loop BB82_60 Depth=1
                                        ; =>  This Inner Loop Header: Depth=2
	v_mov_b32_e32 v5, s16
	ds_read_b64 v[8:9], v4
	ds_read_b64 v[10:11], v5
	s_add_i32 s17, s17, -1
	s_addk_i32 s16, 0xff80
	v_add_u32_e32 v4, 0xffffff80, v4
	s_cmp_gt_i32 s17, s9
	s_waitcnt lgkmcnt(0)
	v_fma_f64 v[2:3], -v[8:9], v[10:11], v[2:3]
	s_cbranch_scc1 .LBB82_63
	s_branch .LBB82_59
.LBB82_64:
	s_waitcnt lgkmcnt(0)
	; wave barrier
	s_waitcnt lgkmcnt(0)
	s_and_saveexec_b64 s[8:9], s[6:7]
	s_cbranch_execz .LBB82_71
; %bb.65:
	s_cmp_lt_i32 s10, 8
	s_mov_b32 s6, 0
	s_cbranch_scc1 .LBB82_68
; %bb.66:
	v_mad_i64_i32 v[2:3], s[6:7], s22, v0, 0
	v_lshlrev_b64 v[2:3], 3, v[2:3]
	v_mov_b32_e32 v4, s24
	v_add_co_u32_e32 v1, vcc, s11, v2
	v_addc_co_u32_e32 v2, vcc, v4, v3, vcc
	v_mov_b32_e32 v3, 0x800
	s_lshl_b32 s6, s30, 3
	v_lshl_or_b32 v3, v0, 3, v3
	s_and_b32 s7, s6, 0xc0
	s_mov_b32 s6, 0
	s_mov_b64 s[8:9], 0
.LBB82_67:                              ; =>This Inner Loop Header: Depth=1
	ds_read2_b64 v[4:7], v3 offset1:16
	ds_read2_b64 v[8:11], v3 offset0:32 offset1:48
	ds_read2_b64 v[12:15], v3 offset0:64 offset1:80
	;; [unrolled: 1-line block ×3, first 2 shown]
	s_add_i32 s6, s6, 8
	v_add_co_u32_e32 v20, vcc, s8, v1
	s_add_u32 s8, s8, 64
	v_mov_b32_e32 v21, s9
	s_addc_u32 s9, s9, 0
	v_add_u32_e32 v3, 0x400, v3
	v_addc_co_u32_e32 v21, vcc, v2, v21, vcc
	s_cmp_lg_u32 s7, s8
	s_waitcnt lgkmcnt(3)
	global_store_dwordx4 v[20:21], v[4:7], off
	s_waitcnt lgkmcnt(2)
	global_store_dwordx4 v[20:21], v[8:11], off offset:16
	s_waitcnt lgkmcnt(1)
	global_store_dwordx4 v[20:21], v[12:15], off offset:32
	;; [unrolled: 2-line block ×3, first 2 shown]
	s_cbranch_scc1 .LBB82_67
.LBB82_68:
	s_and_b32 s8, s30, 7
	s_cmp_eq_u32 s8, 0
	s_mov_b32 s7, 0
	s_cbranch_scc1 .LBB82_71
; %bb.69:
	s_lshl_b64 s[10:11], s[14:15], 3
	v_lshlrev_b32_e32 v2, 3, v0
	v_mov_b32_e32 v0, s11
	v_add_co_u32_e32 v3, vcc, s10, v2
	s_lshl_b64 s[10:11], s[6:7], 3
	s_add_u32 s2, s2, s10
	s_addc_u32 s3, s3, s11
	s_add_u32 s2, s2, s4
	s_addc_u32 s3, s3, s5
	;; [unrolled: 2-line block ×3, first 2 shown]
	v_addc_co_u32_e32 v4, vcc, 0, v0, vcc
	v_pk_mov_b32 v[0:1], s[0:1], s[0:1] op_sel:[0,1]
	v_mad_u64_u32 v[0:1], s[0:1], v3, s22, v[0:1]
	v_mul_lo_u32 v3, v3, s23
	v_mul_lo_u32 v4, v4, s22
	v_lshl_or_b32 v2, s6, 7, v2
	v_add3_u32 v1, v4, v1, v3
	v_add_u32_e32 v2, 0x800, v2
.LBB82_70:                              ; =>This Inner Loop Header: Depth=1
	ds_read_b64 v[4:5], v2
	s_add_i32 s8, s8, -1
	v_add_u32_e32 v2, 0x80, v2
	s_cmp_lg_u32 s8, 0
	s_waitcnt lgkmcnt(0)
	global_store_dwordx2 v[0:1], v[4:5], off
	v_add_co_u32_e32 v0, vcc, 8, v0
	v_addc_co_u32_e32 v1, vcc, 0, v1, vcc
	s_cbranch_scc1 .LBB82_70
.LBB82_71:
	s_endpgm
	.section	.rodata,"a",@progbits
	.p2align	6, 0x0
	.amdhsa_kernel _ZL38rocblas_trsm_small_left_device_sharedBILi16ELi16ELb0EddPKdPdEv13rocblas_fill_18rocblas_operation_17rocblas_diagonal_iiT3_T4_lilT5_lili
		.amdhsa_group_segment_fixed_size 4096
		.amdhsa_private_segment_fixed_size 0
		.amdhsa_kernarg_size 360
		.amdhsa_user_sgpr_count 6
		.amdhsa_user_sgpr_private_segment_buffer 1
		.amdhsa_user_sgpr_dispatch_ptr 0
		.amdhsa_user_sgpr_queue_ptr 0
		.amdhsa_user_sgpr_kernarg_segment_ptr 1
		.amdhsa_user_sgpr_dispatch_id 0
		.amdhsa_user_sgpr_flat_scratch_init 0
		.amdhsa_user_sgpr_kernarg_preload_length 0
		.amdhsa_user_sgpr_kernarg_preload_offset 0
		.amdhsa_user_sgpr_private_segment_size 0
		.amdhsa_uses_dynamic_stack 0
		.amdhsa_system_sgpr_private_segment_wavefront_offset 0
		.amdhsa_system_sgpr_workgroup_id_x 1
		.amdhsa_system_sgpr_workgroup_id_y 0
		.amdhsa_system_sgpr_workgroup_id_z 1
		.amdhsa_system_sgpr_workgroup_info 0
		.amdhsa_system_vgpr_workitem_id 0
		.amdhsa_next_free_vgpr 88
		.amdhsa_next_free_sgpr 37
		.amdhsa_accum_offset 88
		.amdhsa_reserve_vcc 1
		.amdhsa_reserve_flat_scratch 0
		.amdhsa_float_round_mode_32 0
		.amdhsa_float_round_mode_16_64 0
		.amdhsa_float_denorm_mode_32 3
		.amdhsa_float_denorm_mode_16_64 3
		.amdhsa_dx10_clamp 1
		.amdhsa_ieee_mode 1
		.amdhsa_fp16_overflow 0
		.amdhsa_tg_split 0
		.amdhsa_exception_fp_ieee_invalid_op 0
		.amdhsa_exception_fp_denorm_src 0
		.amdhsa_exception_fp_ieee_div_zero 0
		.amdhsa_exception_fp_ieee_overflow 0
		.amdhsa_exception_fp_ieee_underflow 0
		.amdhsa_exception_fp_ieee_inexact 0
		.amdhsa_exception_int_div_zero 0
	.end_amdhsa_kernel
	.section	.text._ZL38rocblas_trsm_small_left_device_sharedBILi16ELi16ELb0EddPKdPdEv13rocblas_fill_18rocblas_operation_17rocblas_diagonal_iiT3_T4_lilT5_lili,"axG",@progbits,_ZL38rocblas_trsm_small_left_device_sharedBILi16ELi16ELb0EddPKdPdEv13rocblas_fill_18rocblas_operation_17rocblas_diagonal_iiT3_T4_lilT5_lili,comdat
.Lfunc_end82:
	.size	_ZL38rocblas_trsm_small_left_device_sharedBILi16ELi16ELb0EddPKdPdEv13rocblas_fill_18rocblas_operation_17rocblas_diagonal_iiT3_T4_lilT5_lili, .Lfunc_end82-_ZL38rocblas_trsm_small_left_device_sharedBILi16ELi16ELb0EddPKdPdEv13rocblas_fill_18rocblas_operation_17rocblas_diagonal_iiT3_T4_lilT5_lili
                                        ; -- End function
	.section	.AMDGPU.csdata,"",@progbits
; Kernel info:
; codeLenInByte = 12808
; NumSgprs: 41
; NumVgprs: 88
; NumAgprs: 0
; TotalNumVgprs: 88
; ScratchSize: 0
; MemoryBound: 0
; FloatMode: 240
; IeeeMode: 1
; LDSByteSize: 4096 bytes/workgroup (compile time only)
; SGPRBlocks: 5
; VGPRBlocks: 10
; NumSGPRsForWavesPerEU: 41
; NumVGPRsForWavesPerEU: 88
; AccumOffset: 88
; Occupancy: 4
; WaveLimiterHint : 0
; COMPUTE_PGM_RSRC2:SCRATCH_EN: 0
; COMPUTE_PGM_RSRC2:USER_SGPR: 6
; COMPUTE_PGM_RSRC2:TRAP_HANDLER: 0
; COMPUTE_PGM_RSRC2:TGID_X_EN: 1
; COMPUTE_PGM_RSRC2:TGID_Y_EN: 0
; COMPUTE_PGM_RSRC2:TGID_Z_EN: 1
; COMPUTE_PGM_RSRC2:TIDIG_COMP_CNT: 0
; COMPUTE_PGM_RSRC3_GFX90A:ACCUM_OFFSET: 21
; COMPUTE_PGM_RSRC3_GFX90A:TG_SPLIT: 0
	.section	.text._ZL30rocblas_trsm_small_left_deviceILi16ELi16ELb0EddPKdPdEv13rocblas_fill_18rocblas_operation_17rocblas_diagonal_iiT3_T4_lilT5_lili,"axG",@progbits,_ZL30rocblas_trsm_small_left_deviceILi16ELi16ELb0EddPKdPdEv13rocblas_fill_18rocblas_operation_17rocblas_diagonal_iiT3_T4_lilT5_lili,comdat
	.globl	_ZL30rocblas_trsm_small_left_deviceILi16ELi16ELb0EddPKdPdEv13rocblas_fill_18rocblas_operation_17rocblas_diagonal_iiT3_T4_lilT5_lili ; -- Begin function _ZL30rocblas_trsm_small_left_deviceILi16ELi16ELb0EddPKdPdEv13rocblas_fill_18rocblas_operation_17rocblas_diagonal_iiT3_T4_lilT5_lili
	.p2align	8
	.type	_ZL30rocblas_trsm_small_left_deviceILi16ELi16ELb0EddPKdPdEv13rocblas_fill_18rocblas_operation_17rocblas_diagonal_iiT3_T4_lilT5_lili,@function
_ZL30rocblas_trsm_small_left_deviceILi16ELi16ELb0EddPKdPdEv13rocblas_fill_18rocblas_operation_17rocblas_diagonal_iiT3_T4_lilT5_lili: ; @_ZL30rocblas_trsm_small_left_deviceILi16ELi16ELb0EddPKdPdEv13rocblas_fill_18rocblas_operation_17rocblas_diagonal_iiT3_T4_lilT5_lili
; %bb.0:
	s_load_dwordx4 s[12:15], s[4:5], 0x4
	s_load_dwordx4 s[0:3], s[4:5], 0x18
	s_load_dwordx2 s[24:25], s[4:5], 0x28
	s_load_dwordx4 s[8:11], s[4:5], 0x38
	s_load_dwordx2 s[20:21], s[4:5], 0x48
	s_waitcnt lgkmcnt(0)
	s_min_i32 s16, s14, 16
	s_mov_b32 s17, 0
	s_add_i32 s18, s16, -1
	v_cmp_gt_i32_e32 vcc, s16, v0
	s_and_saveexec_b64 s[22:23], vcc
	s_cbranch_execz .LBB83_10
; %bb.1:
	s_load_dword s26, s[4:5], 0x30
	s_mul_i32 s9, s7, s9
	s_mul_hi_u32 s19, s7, s8
	s_add_i32 s9, s19, s9
	s_mul_i32 s8, s7, s8
	s_waitcnt lgkmcnt(0)
	s_ashr_i32 s27, s26, 31
	s_cmp_lt_u32 s18, 3
	v_lshlrev_b32_e32 v1, 3, v0
	s_cbranch_scc1 .LBB83_4
; %bb.2:
	s_lshl_b64 s[28:29], s[8:9], 3
	s_add_u32 s17, s2, s28
	s_addc_u32 s19, s3, s29
	s_lshl_b64 s[28:29], s[24:25], 3
	s_add_u32 s17, s17, s28
	s_addc_u32 s19, s19, s29
	v_mov_b32_e32 v3, s19
	v_add_co_u32_e32 v2, vcc, s17, v1
	s_mul_hi_i32 s36, s26, 24
	s_lshl_b64 s[28:29], s[26:27], 5
	s_lshl_b64 s[30:31], s[26:27], 4
	;; [unrolled: 1-line block ×3, first 2 shown]
	v_addc_co_u32_e32 v3, vcc, 0, v3, vcc
	s_and_b32 s17, s16, -4
	s_mul_i32 s19, s26, 24
	s_mov_b32 s33, 0
	v_mov_b32_e32 v4, s35
	v_mov_b32_e32 v5, s31
	;; [unrolled: 1-line block ×5, first 2 shown]
.LBB83_3:                               ; =>This Inner Loop Header: Depth=1
	v_add_co_u32_e32 v12, vcc, s34, v2
	v_addc_co_u32_e32 v13, vcc, v3, v4, vcc
	v_add_co_u32_e32 v14, vcc, s30, v2
	v_addc_co_u32_e32 v15, vcc, v3, v5, vcc
	v_add_co_u32_e32 v16, vcc, s19, v2
	global_load_dwordx2 v[10:11], v[2:3], off
	v_addc_co_u32_e32 v17, vcc, v3, v6, vcc
	global_load_dwordx2 v[18:19], v[12:13], off
	global_load_dwordx2 v[20:21], v[14:15], off
	;; [unrolled: 1-line block ×3, first 2 shown]
	s_add_i32 s33, s33, 4
	v_add_co_u32_e32 v2, vcc, s28, v2
	v_addc_co_u32_e32 v3, vcc, v3, v7, vcc
	s_cmp_eq_u32 s17, s33
	s_waitcnt vmcnt(2)
	ds_write2_b64 v8, v[10:11], v[18:19] offset1:16
	s_waitcnt vmcnt(0)
	ds_write2_b64 v8, v[20:21], v[22:23] offset0:32 offset1:48
	v_add_u32_e32 v8, 0x200, v8
	s_cbranch_scc0 .LBB83_3
.LBB83_4:
	s_and_b32 s19, s16, 3
	s_cmp_eq_u32 s19, 0
	s_cbranch_scc1 .LBB83_7
; %bb.5:
	s_mul_i32 s28, s27, s17
	s_mul_hi_u32 s29, s26, s17
	s_add_i32 s29, s29, s28
	s_mul_i32 s28, s26, s17
	s_lshl_b64 s[8:9], s[8:9], 3
	s_lshl_b64 s[28:29], s[28:29], 3
	v_lshl_or_b32 v4, s17, 7, v1
	s_add_u32 s17, s8, s28
	s_addc_u32 s28, s9, s29
	s_lshl_b64 s[8:9], s[24:25], 3
	s_add_u32 s8, s17, s8
	s_addc_u32 s9, s28, s9
	s_add_u32 s2, s2, s8
	s_addc_u32 s3, s3, s9
	v_mov_b32_e32 v3, s3
	v_add_co_u32_e32 v2, vcc, s2, v1
	s_lshl_b64 s[2:3], s[26:27], 3
	v_addc_co_u32_e32 v3, vcc, 0, v3, vcc
	v_mov_b32_e32 v1, s3
.LBB83_6:                               ; =>This Inner Loop Header: Depth=1
	global_load_dwordx2 v[6:7], v[2:3], off
	v_add_co_u32_e32 v2, vcc, s2, v2
	s_add_i32 s19, s19, -1
	v_addc_co_u32_e32 v3, vcc, v3, v1, vcc
	s_cmp_lg_u32 s19, 0
	s_waitcnt vmcnt(0)
	ds_write_b64 v4, v[6:7]
	v_add_u32_e32 v4, 0x80, v4
	s_cbranch_scc1 .LBB83_6
.LBB83_7:
	v_mul_u32_u24_e32 v1, 17, v0
	v_mov_b32_e32 v2, 0
	s_cmpk_lg_i32 s13, 0x84
	v_lshlrev_b32_e32 v1, 3, v1
	v_mov_b32_e32 v3, 0x3ff00000
	s_cbranch_scc0 .LBB83_9
; %bb.8:
	ds_read_b64 v[2:3], v1
	s_waitcnt lgkmcnt(0)
	v_div_scale_f64 v[4:5], s[2:3], v[2:3], v[2:3], 1.0
	v_rcp_f64_e32 v[6:7], v[4:5]
	v_div_scale_f64 v[8:9], vcc, 1.0, v[2:3], 1.0
	v_fma_f64 v[10:11], -v[4:5], v[6:7], 1.0
	v_fmac_f64_e32 v[6:7], v[6:7], v[10:11]
	v_fma_f64 v[10:11], -v[4:5], v[6:7], 1.0
	v_fmac_f64_e32 v[6:7], v[6:7], v[10:11]
	v_mul_f64 v[10:11], v[8:9], v[6:7]
	v_fma_f64 v[4:5], -v[4:5], v[10:11], v[8:9]
	v_div_fmas_f64 v[4:5], v[4:5], v[6:7], v[10:11]
	v_div_fixup_f64 v[2:3], v[4:5], v[2:3], 1.0
.LBB83_9:
	ds_write_b64 v1, v[2:3]
.LBB83_10:
	s_or_b64 exec, exec, s[22:23]
	s_load_dword s2, s[4:5], 0x68
	s_lshl_b32 s8, s6, 4
	s_sub_i32 s3, s15, s8
	s_waitcnt lgkmcnt(0)
	; wave barrier
	s_waitcnt lgkmcnt(0)
	s_add_i32 s2, s2, -1
	s_cmp_ge_u32 s6, s2
	s_cselect_b32 s2, s3, 16
	v_cmp_gt_i32_e32 vcc, s2, v0
	s_and_saveexec_b64 s[2:3], vcc
	s_cbranch_execz .LBB83_65
; %bb.11:
	s_load_dwordx2 s[2:3], s[4:5], 0x58
	s_load_dword s6, s[4:5], 0x50
	v_add_u32_e32 v0, s8, v0
	s_waitcnt lgkmcnt(0)
	s_mul_i32 s3, s7, s3
	s_mul_hi_u32 s4, s7, s2
	s_mul_i32 s2, s7, s2
	s_add_i32 s3, s4, s3
	s_lshl_b64 s[2:3], s[2:3], 3
	s_add_u32 s7, s10, s2
	s_addc_u32 s9, s11, s3
	s_lshl_b64 s[4:5], s[20:21], 3
	s_add_u32 s13, s7, s4
	v_mad_i64_i32 v[0:1], s[6:7], s6, v0, 0
	s_addc_u32 s9, s9, s5
	v_lshlrev_b64 v[34:35], 3, v[0:1]
	v_mov_b32_e32 v0, s9
	v_add_co_u32_e32 v32, vcc, s13, v34
	v_addc_co_u32_e32 v33, vcc, v0, v35, vcc
	s_cmpk_eq_i32 s12, 0x6f
	s_mov_b64 s[6:7], -1
	s_cbranch_scc1 .LBB83_39
; %bb.12:
	s_cmp_lt_i32 s14, 16
	s_cselect_b64 s[8:9], -1, 0
	s_cmp_gt_i32 s14, 15
	s_mov_b32 s6, 16
	s_cbranch_scc0 .LBB83_14
; %bb.13:
	global_load_dwordx4 v[26:29], v[32:33], off
	global_load_dwordx4 v[22:25], v[32:33], off offset:16
	global_load_dwordx4 v[18:21], v[32:33], off offset:32
	;; [unrolled: 1-line block ×3, first 2 shown]
	v_mov_b32_e32 v36, 0
	ds_read2_b64 v[2:5], v36 offset1:34
	ds_read_b128 v[38:41], v36 offset:128
	ds_read_b128 v[6:9], v36 offset:256
	;; [unrolled: 1-line block ×6, first 2 shown]
	s_waitcnt vmcnt(3)
	v_mul_f64 v[0:1], v[26:27], s[0:1]
	s_waitcnt lgkmcnt(6)
	v_mul_f64 v[0:1], v[0:1], v[2:3]
	s_waitcnt lgkmcnt(4)
	;; [unrolled: 2-line block ×3, first 2 shown]
	v_mul_f64 v[10:11], v[0:1], v[10:11]
	v_mul_f64 v[2:3], v[0:1], v[38:39]
	s_waitcnt vmcnt(2)
	v_fma_f64 v[6:7], v[22:23], s[0:1], -v[6:7]
	v_fma_f64 v[10:11], v[24:25], s[0:1], -v[10:11]
	s_waitcnt lgkmcnt(2)
	v_mul_f64 v[22:23], v[0:1], v[42:43]
	s_waitcnt lgkmcnt(1)
	v_mul_f64 v[24:25], v[0:1], v[46:47]
	v_fma_f64 v[2:3], v[28:29], s[0:1], -v[2:3]
	s_waitcnt vmcnt(1)
	v_fma_f64 v[26:27], v[18:19], s[0:1], -v[22:23]
	v_fma_f64 v[28:29], v[20:21], s[0:1], -v[24:25]
	global_load_dwordx4 v[22:25], v[32:33], off offset:64
	s_waitcnt lgkmcnt(0)
	v_mul_f64 v[18:19], v[0:1], v[50:51]
	s_waitcnt vmcnt(1)
	v_fma_f64 v[30:31], v[14:15], s[0:1], -v[18:19]
	ds_read_b128 v[18:21], v36 offset:896
	v_mul_f64 v[2:3], v[2:3], v[40:41]
	ds_read_b128 v[38:41], v36 offset:1152
	v_fma_f64 v[46:47], -v[2:3], v[48:49], v[28:29]
	v_fma_f64 v[48:49], -v[2:3], v[52:53], v[30:31]
	s_waitcnt lgkmcnt(1)
	v_mul_f64 v[14:15], v[0:1], v[18:19]
	v_fma_f64 v[18:19], v[16:17], s[0:1], -v[14:15]
	ds_read_b128 v[14:17], v36 offset:1024
	global_load_dwordx4 v[28:31], v[32:33], off offset:96
	v_fma_f64 v[44:45], -v[2:3], v[44:45], v[26:27]
	v_fma_f64 v[42:43], -v[2:3], v[12:13], v[10:11]
	;; [unrolled: 1-line block ×3, first 2 shown]
	s_waitcnt lgkmcnt(0)
	v_mul_f64 v[14:15], v[0:1], v[14:15]
	v_mul_f64 v[4:5], v[6:7], v[4:5]
	v_fma_f64 v[50:51], -v[2:3], v[20:21], v[18:19]
	global_load_dwordx4 v[8:11], v[32:33], off offset:112
	s_waitcnt vmcnt(2)
	v_fma_f64 v[22:23], v[22:23], s[0:1], -v[14:15]
	v_mul_f64 v[14:15], v[0:1], v[38:39]
	v_fma_f64 v[38:39], v[24:25], s[0:1], -v[14:15]
	global_load_dwordx4 v[24:27], v[32:33], off offset:80
	ds_read_b128 v[12:15], v36 offset:400
	v_fma_f64 v[52:53], -v[2:3], v[16:17], v[22:23]
	ds_read_b128 v[16:19], v36 offset:528
	v_fma_f64 v[54:55], -v[2:3], v[40:41], v[38:39]
	ds_read_b128 v[20:23], v36 offset:656
	s_waitcnt lgkmcnt(2)
	v_fma_f64 v[6:7], -v[4:5], v[12:13], v[42:43]
	ds_read_b128 v[38:41], v36 offset:912
	v_mul_f64 v[6:7], v[6:7], v[14:15]
	ds_read_b128 v[12:15], v36 offset:784
	s_waitcnt lgkmcnt(3)
	v_fma_f64 v[16:17], -v[4:5], v[16:17], v[44:45]
	v_fma_f64 v[56:57], -v[6:7], v[18:19], v[16:17]
	ds_read_b128 v[16:19], v36 offset:1040
	ds_read_b128 v[42:45], v36 offset:672
	s_waitcnt lgkmcnt(4)
	v_fma_f64 v[20:21], -v[4:5], v[20:21], v[46:47]
	s_waitcnt lgkmcnt(2)
	v_fma_f64 v[12:13], -v[4:5], v[12:13], v[48:49]
	v_fma_f64 v[46:47], -v[6:7], v[22:23], v[20:21]
	ds_read_b128 v[20:23], v36 offset:1168
	v_fma_f64 v[48:49], -v[6:7], v[14:15], v[12:13]
	v_fma_f64 v[12:13], -v[4:5], v[38:39], v[50:51]
	;; [unrolled: 1-line block ×3, first 2 shown]
	ds_read2_b64 v[38:41], v36 offset0:68 offset1:102
	s_waitcnt lgkmcnt(3)
	v_fma_f64 v[12:13], -v[4:5], v[16:17], v[52:53]
	v_fma_f64 v[52:53], -v[6:7], v[18:19], v[12:13]
	ds_read_b128 v[16:19], v36 offset:800
	s_waitcnt lgkmcnt(2)
	v_fma_f64 v[12:13], -v[4:5], v[20:21], v[54:55]
	v_fma_f64 v[54:55], -v[6:7], v[22:23], v[12:13]
	ds_read_b128 v[20:23], v36 offset:928
	s_waitcnt lgkmcnt(2)
	v_mul_f64 v[12:13], v[56:57], v[38:39]
	v_fma_f64 v[14:15], -v[12:13], v[42:43], v[46:47]
	v_mul_f64 v[14:15], v[14:15], v[44:45]
	ds_read_b128 v[42:45], v36 offset:1056
	s_waitcnt lgkmcnt(2)
	v_fma_f64 v[16:17], -v[12:13], v[16:17], v[48:49]
	v_fma_f64 v[38:39], -v[14:15], v[18:19], v[16:17]
	ds_read_b128 v[16:19], v36 offset:944
	s_waitcnt lgkmcnt(2)
	v_fma_f64 v[20:21], -v[12:13], v[20:21], v[50:51]
	ds_read_b128 v[46:49], v36 offset:1072
	v_fma_f64 v[22:23], -v[14:15], v[22:23], v[20:21]
	s_waitcnt lgkmcnt(2)
	v_fma_f64 v[20:21], -v[12:13], v[42:43], v[52:53]
	v_fma_f64 v[56:57], -v[14:15], v[44:45], v[20:21]
	v_mul_f64 v[20:21], v[38:39], v[40:41]
	ds_read_b128 v[38:41], v36 offset:1184
	s_waitcnt lgkmcnt(2)
	v_fma_f64 v[16:17], -v[20:21], v[16:17], v[22:23]
	ds_read_b128 v[50:53], v36 offset:1200
	ds_read2_b64 v[42:45], v36 offset0:136 offset1:170
	v_mul_f64 v[22:23], v[16:17], v[18:19]
	global_store_dwordx4 v[32:33], v[0:3], off
	global_store_dwordx4 v[32:33], v[4:7], off offset:16
	global_store_dwordx4 v[32:33], v[12:15], off offset:32
	s_waitcnt lgkmcnt(3)
	v_fma_f64 v[16:17], -v[20:21], v[46:47], v[56:57]
	v_fma_f64 v[16:17], -v[22:23], v[48:49], v[16:17]
	ds_read_b128 v[46:49], v36 offset:1216
	s_waitcnt lgkmcnt(3)
	v_fma_f64 v[18:19], -v[12:13], v[38:39], v[54:55]
	v_fma_f64 v[18:19], -v[14:15], v[40:41], v[18:19]
	ds_read_b128 v[38:41], v36 offset:1280
	s_waitcnt lgkmcnt(3)
	v_fma_f64 v[18:19], -v[20:21], v[50:51], v[18:19]
	s_waitcnt lgkmcnt(2)
	v_mul_f64 v[16:17], v[16:17], v[42:43]
	v_fma_f64 v[18:19], -v[22:23], v[52:53], v[18:19]
	s_waitcnt lgkmcnt(1)
	v_fma_f64 v[18:19], -v[16:17], v[46:47], v[18:19]
	v_mul_f64 v[18:19], v[18:19], v[48:49]
	global_store_dwordx4 v[32:33], v[20:23], off offset:48
	global_store_dwordx4 v[32:33], v[16:19], off offset:64
	ds_read_b128 v[46:49], v36 offset:1296
	ds_read_b128 v[50:53], v36 offset:1312
	s_waitcnt lgkmcnt(2)
	v_mul_f64 v[38:39], v[0:1], v[38:39]
	s_waitcnt vmcnt(5)
	v_fma_f64 v[24:25], v[24:25], s[0:1], -v[38:39]
	v_fma_f64 v[24:25], -v[2:3], v[40:41], v[24:25]
	ds_read_b128 v[38:41], v36 offset:1328
	s_waitcnt lgkmcnt(2)
	v_fma_f64 v[24:25], -v[4:5], v[46:47], v[24:25]
	v_fma_f64 v[24:25], -v[6:7], v[48:49], v[24:25]
	ds_read_b128 v[46:49], v36 offset:1344
	s_waitcnt lgkmcnt(2)
	v_fma_f64 v[24:25], -v[12:13], v[50:51], v[24:25]
	v_fma_f64 v[24:25], -v[14:15], v[52:53], v[24:25]
	s_waitcnt lgkmcnt(1)
	v_fma_f64 v[24:25], -v[20:21], v[38:39], v[24:25]
	v_fma_f64 v[24:25], -v[22:23], v[40:41], v[24:25]
	ds_read_b128 v[38:41], v36 offset:1408
	s_waitcnt lgkmcnt(1)
	v_fma_f64 v[24:25], -v[16:17], v[46:47], v[24:25]
	v_fma_f64 v[24:25], -v[18:19], v[48:49], v[24:25]
	v_mul_f64 v[24:25], v[24:25], v[44:45]
	ds_read_b128 v[42:45], v36 offset:1424
	s_waitcnt lgkmcnt(1)
	v_mul_f64 v[38:39], v[0:1], v[38:39]
	ds_read_b128 v[46:49], v36 offset:1440
	v_fma_f64 v[26:27], v[26:27], s[0:1], -v[38:39]
	v_fma_f64 v[26:27], -v[2:3], v[40:41], v[26:27]
	ds_read_b128 v[38:41], v36 offset:1456
	s_waitcnt lgkmcnt(2)
	v_fma_f64 v[26:27], -v[4:5], v[42:43], v[26:27]
	v_fma_f64 v[26:27], -v[6:7], v[44:45], v[26:27]
	ds_read_b128 v[42:45], v36 offset:1472
	s_waitcnt lgkmcnt(2)
	v_fma_f64 v[26:27], -v[12:13], v[46:47], v[26:27]
	;; [unrolled: 4-line block ×3, first 2 shown]
	v_fma_f64 v[26:27], -v[22:23], v[40:41], v[26:27]
	s_waitcnt lgkmcnt(1)
	v_fma_f64 v[26:27], -v[16:17], v[42:43], v[26:27]
	ds_read_b128 v[38:41], v36 offset:1536
	v_fma_f64 v[26:27], -v[18:19], v[44:45], v[26:27]
	s_waitcnt lgkmcnt(1)
	v_fma_f64 v[26:27], -v[24:25], v[46:47], v[26:27]
	v_mul_f64 v[26:27], v[26:27], v[48:49]
	global_store_dwordx4 v[32:33], v[24:27], off offset:80
	ds_read_b128 v[42:45], v36 offset:1552
	ds_read_b128 v[46:49], v36 offset:1568
	;; [unrolled: 1-line block ×3, first 2 shown]
	s_waitcnt lgkmcnt(3)
	v_mul_f64 v[38:39], v[0:1], v[38:39]
	v_fma_f64 v[28:29], v[28:29], s[0:1], -v[38:39]
	v_fma_f64 v[28:29], -v[2:3], v[40:41], v[28:29]
	s_waitcnt lgkmcnt(2)
	v_fma_f64 v[28:29], -v[4:5], v[42:43], v[28:29]
	v_fma_f64 v[28:29], -v[6:7], v[44:45], v[28:29]
	ds_read_b128 v[38:41], v36 offset:1600
	ds_read_b128 v[42:45], v36 offset:1616
	s_waitcnt lgkmcnt(3)
	v_fma_f64 v[28:29], -v[12:13], v[46:47], v[28:29]
	v_fma_f64 v[28:29], -v[14:15], v[48:49], v[28:29]
	s_waitcnt lgkmcnt(2)
	v_fma_f64 v[28:29], -v[20:21], v[50:51], v[28:29]
	v_fma_f64 v[28:29], -v[22:23], v[52:53], v[28:29]
	;; [unrolled: 3-line block ×3, first 2 shown]
	ds_read_b128 v[38:41], v36 offset:1664
	s_waitcnt lgkmcnt(1)
	v_fma_f64 v[28:29], -v[24:25], v[42:43], v[28:29]
	v_fma_f64 v[28:29], -v[26:27], v[44:45], v[28:29]
	ds_read_b128 v[42:45], v36 offset:1680
	ds_read_b128 v[50:53], v36 offset:1696
	s_waitcnt lgkmcnt(2)
	v_mul_f64 v[38:39], v[0:1], v[38:39]
	v_fma_f64 v[30:31], v[30:31], s[0:1], -v[38:39]
	v_fma_f64 v[30:31], -v[2:3], v[40:41], v[30:31]
	ds_read_b128 v[38:41], v36 offset:1712
	s_waitcnt lgkmcnt(2)
	v_fma_f64 v[30:31], -v[4:5], v[42:43], v[30:31]
	v_fma_f64 v[30:31], -v[6:7], v[44:45], v[30:31]
	ds_read_b128 v[42:45], v36 offset:1728
	s_waitcnt lgkmcnt(2)
	v_fma_f64 v[30:31], -v[12:13], v[50:51], v[30:31]
	v_fma_f64 v[30:31], -v[14:15], v[52:53], v[30:31]
	ds_read_b128 v[50:53], v36 offset:1744
	ds_read2_b64 v[46:49], v36 offset0:204 offset1:238
	s_waitcnt lgkmcnt(3)
	v_fma_f64 v[30:31], -v[20:21], v[38:39], v[30:31]
	v_fma_f64 v[30:31], -v[22:23], v[40:41], v[30:31]
	ds_read_b128 v[38:41], v36 offset:1760
	s_waitcnt lgkmcnt(3)
	v_fma_f64 v[30:31], -v[16:17], v[42:43], v[30:31]
	v_fma_f64 v[30:31], -v[18:19], v[44:45], v[30:31]
	ds_read_b128 v[42:45], v36 offset:1792
	s_waitcnt lgkmcnt(3)
	v_fma_f64 v[30:31], -v[24:25], v[50:51], v[30:31]
	s_waitcnt lgkmcnt(2)
	v_mul_f64 v[28:29], v[28:29], v[46:47]
	v_fma_f64 v[30:31], -v[26:27], v[52:53], v[30:31]
	s_waitcnt lgkmcnt(1)
	v_fma_f64 v[30:31], -v[28:29], v[38:39], v[30:31]
	v_mul_f64 v[30:31], v[30:31], v[40:41]
	global_store_dwordx4 v[32:33], v[28:31], off offset:96
	ds_read_b128 v[38:41], v36 offset:1808
	ds_read_b128 v[50:53], v36 offset:1824
	s_waitcnt lgkmcnt(2)
	v_mul_f64 v[42:43], v[0:1], v[42:43]
	v_fma_f64 v[8:9], v[8:9], s[0:1], -v[42:43]
	v_fma_f64 v[8:9], -v[2:3], v[44:45], v[8:9]
	ds_read_b128 v[42:45], v36 offset:1840
	s_waitcnt lgkmcnt(2)
	v_fma_f64 v[8:9], -v[4:5], v[38:39], v[8:9]
	v_fma_f64 v[8:9], -v[6:7], v[40:41], v[8:9]
	ds_read_b128 v[38:41], v36 offset:1856
	s_waitcnt lgkmcnt(2)
	v_fma_f64 v[8:9], -v[12:13], v[50:51], v[8:9]
	;; [unrolled: 4-line block ×4, first 2 shown]
	v_fma_f64 v[8:9], -v[18:19], v[40:41], v[8:9]
	s_waitcnt lgkmcnt(1)
	v_fma_f64 v[8:9], -v[24:25], v[50:51], v[8:9]
	ds_read_b128 v[38:41], v36 offset:1920
	v_fma_f64 v[8:9], -v[26:27], v[52:53], v[8:9]
	s_waitcnt lgkmcnt(1)
	v_fma_f64 v[8:9], -v[28:29], v[42:43], v[8:9]
	v_fma_f64 v[8:9], -v[30:31], v[44:45], v[8:9]
	ds_read_b128 v[42:45], v36 offset:1936
	s_waitcnt lgkmcnt(1)
	v_mul_f64 v[0:1], v[0:1], v[38:39]
	v_mul_f64 v[8:9], v[8:9], v[48:49]
	v_fma_f64 v[0:1], v[10:11], s[0:1], -v[0:1]
	ds_read_b128 v[46:49], v36 offset:1952
	v_fma_f64 v[0:1], -v[2:3], v[40:41], v[0:1]
	s_waitcnt lgkmcnt(1)
	v_fma_f64 v[4:5], -v[4:5], v[42:43], v[0:1]
	ds_read_b128 v[0:3], v36 offset:1968
	v_fma_f64 v[4:5], -v[6:7], v[44:45], v[4:5]
	s_waitcnt lgkmcnt(1)
	v_fma_f64 v[10:11], -v[12:13], v[46:47], v[4:5]
	;; [unrolled: 4-line block ×3, first 2 shown]
	v_fma_f64 v[10:11], -v[22:23], v[2:3], v[0:1]
	ds_read_b128 v[0:3], v36 offset:2000
	s_waitcnt lgkmcnt(1)
	v_fma_f64 v[4:5], -v[16:17], v[4:5], v[10:11]
	ds_read_b128 v[10:13], v36 offset:2016
	v_fma_f64 v[14:15], -v[18:19], v[6:7], v[4:5]
	ds_read_b128 v[4:7], v36 offset:2032
	s_waitcnt lgkmcnt(2)
	v_fma_f64 v[0:1], -v[24:25], v[0:1], v[14:15]
	v_fma_f64 v[0:1], -v[26:27], v[2:3], v[0:1]
	s_waitcnt lgkmcnt(1)
	v_fma_f64 v[0:1], -v[28:29], v[10:11], v[0:1]
	v_fma_f64 v[0:1], -v[30:31], v[12:13], v[0:1]
	s_waitcnt lgkmcnt(0)
	v_fma_f64 v[0:1], -v[8:9], v[4:5], v[0:1]
	v_mul_f64 v[10:11], v[0:1], v[6:7]
	global_store_dwordx4 v[32:33], v[8:11], off offset:112
	s_cmp_lt_i32 s6, s16
	s_cbranch_scc1 .LBB83_15
	s_branch .LBB83_38
.LBB83_14:
	s_mov_b32 s6, 0
	s_cmp_lt_i32 s6, s16
	s_cbranch_scc0 .LBB83_38
.LBB83_15:
	s_or_b32 s13, s6, 11
	s_cmp_ge_u32 s13, s16
	s_cbranch_scc1 .LBB83_27
; %bb.16:
	s_lshl_b32 s7, s6, 3
	v_add_co_u32_e32 v14, vcc, s7, v32
	v_addc_co_u32_e32 v15, vcc, 0, v33, vcc
	global_load_dwordx4 v[0:3], v[14:15], off
	global_load_dwordx4 v[8:11], v[14:15], off offset:16
	global_load_dwordx4 v[16:19], v[14:15], off offset:32
	;; [unrolled: 1-line block ×5, first 2 shown]
	s_andn2_b64 vcc, exec, s[8:9]
	s_waitcnt vmcnt(5)
	v_mul_f64 v[6:7], v[0:1], s[0:1]
	v_mul_f64 v[40:41], v[2:3], s[0:1]
	s_waitcnt vmcnt(4)
	v_mul_f64 v[38:39], v[8:9], s[0:1]
	v_mul_f64 v[36:37], v[10:11], s[0:1]
	;; [unrolled: 3-line block ×6, first 2 shown]
	s_cbranch_vccnz .LBB83_18
; %bb.17:
	s_lshl_b32 s12, s13, 4
	s_mov_b64 s[8:9], 0
	s_branch .LBB83_19
.LBB83_18:
	s_mov_b64 s[8:9], -1
                                        ; implicit-def: $sgpr12
.LBB83_19:
	s_andn2_b64 vcc, exec, s[8:9]
	s_cbranch_vccnz .LBB83_26
; %bb.20:
	s_max_u32 s9, s6, 1
	s_cmp_eq_u32 s9, 1
	s_cbranch_scc1 .LBB83_23
; %bb.21:
	s_and_b32 s8, s9, 16
	s_lshl_b32 s12, s6, 7
	s_add_u32 s15, s10, s4
	s_addc_u32 s17, s11, s5
	s_add_u32 s15, s15, s2
	s_addc_u32 s17, s17, s3
	v_mov_b32_e32 v0, s17
	v_add_co_u32_e32 v1, vcc, s15, v34
	v_addc_co_u32_e32 v0, vcc, v0, v35, vcc
	v_add_co_u32_e32 v4, vcc, 8, v1
	v_addc_co_u32_e32 v5, vcc, 0, v0, vcc
	s_mov_b32 s15, 0
.LBB83_22:                              ; =>This Inner Loop Header: Depth=1
	global_load_dwordx4 v[0:3], v[4:5], off offset:-8
	v_mov_b32_e32 v58, s12
	ds_read_b128 v[8:11], v58
	ds_read_b128 v[42:45], v58 offset:128
	ds_read_b128 v[46:49], v58 offset:256
	;; [unrolled: 1-line block ×4, first 2 shown]
	s_add_i32 s15, s15, 2
	s_add_i32 s12, s12, 16
	v_add_co_u32_e32 v4, vcc, 16, v4
	v_addc_co_u32_e32 v5, vcc, 0, v5, vcc
	s_cmp_lg_u32 s8, s15
	s_waitcnt vmcnt(0) lgkmcnt(4)
	v_fma_f64 v[6:7], -v[0:1], v[8:9], v[6:7]
	s_waitcnt lgkmcnt(3)
	v_fma_f64 v[12:13], -v[0:1], v[42:43], v[40:41]
	v_fma_f64 v[6:7], -v[2:3], v[10:11], v[6:7]
	ds_read_b128 v[8:11], v58 offset:640
	v_fma_f64 v[40:41], -v[2:3], v[44:45], v[12:13]
	ds_read_b128 v[42:45], v58 offset:768
	s_waitcnt lgkmcnt(4)
	v_fma_f64 v[12:13], -v[0:1], v[46:47], v[38:39]
	v_fma_f64 v[38:39], -v[2:3], v[48:49], v[12:13]
	s_waitcnt lgkmcnt(3)
	v_fma_f64 v[12:13], -v[0:1], v[50:51], v[36:37]
	v_fma_f64 v[36:37], -v[2:3], v[52:53], v[12:13]
	;; [unrolled: 3-line block ×3, first 2 shown]
	s_waitcnt lgkmcnt(1)
	v_fma_f64 v[8:9], -v[0:1], v[8:9], v[28:29]
	s_waitcnt lgkmcnt(0)
	v_fma_f64 v[12:13], -v[0:1], v[42:43], v[26:27]
	ds_read_b128 v[46:49], v58 offset:896
	ds_read_b128 v[50:53], v58 offset:1024
	;; [unrolled: 1-line block ×3, first 2 shown]
	v_fma_f64 v[28:29], -v[2:3], v[10:11], v[8:9]
	ds_read_b128 v[8:11], v58 offset:1280
	v_fma_f64 v[26:27], -v[2:3], v[44:45], v[12:13]
	ds_read_b128 v[42:45], v58 offset:1408
	s_waitcnt lgkmcnt(4)
	v_fma_f64 v[12:13], -v[0:1], v[46:47], v[24:25]
	s_waitcnt lgkmcnt(3)
	v_fma_f64 v[22:23], -v[0:1], v[50:51], v[22:23]
	;; [unrolled: 2-line block ×5, first 2 shown]
	v_fma_f64 v[24:25], -v[2:3], v[48:49], v[12:13]
	v_fma_f64 v[22:23], -v[2:3], v[52:53], v[22:23]
	;; [unrolled: 1-line block ×5, first 2 shown]
	s_cbranch_scc1 .LBB83_22
	s_branch .LBB83_24
.LBB83_23:
	s_mov_b32 s8, 0
.LBB83_24:
	s_lshl_b32 s12, s13, 4
	s_bitcmp0_b32 s9, 0
	s_cbranch_scc1 .LBB83_26
; %bb.25:
	s_lshl_b32 s9, s8, 3
	v_add_co_u32_e32 v0, vcc, s9, v32
	v_addc_co_u32_e32 v1, vcc, 0, v33, vcc
	global_load_dwordx2 v[4:5], v[0:1], off
	s_lshl_b32 s9, s6, 4
	s_add_i32 s13, s12, s8
	s_add_i32 s9, s9, s8
	s_lshl_b32 s8, s13, 3
	s_lshl_b32 s9, s9, 3
	v_mov_b32_e32 v54, s8
	v_mov_b32_e32 v12, s9
	ds_read2_b64 v[0:3], v12 offset1:16
	ds_read2_b64 v[8:11], v12 offset0:32 offset1:48
	ds_read2_b64 v[42:45], v12 offset0:64 offset1:80
	;; [unrolled: 1-line block ×4, first 2 shown]
	ds_read_b64 v[12:13], v12 offset:1280
	ds_read_b64 v[54:55], v54
	s_waitcnt vmcnt(0) lgkmcnt(6)
	v_fma_f64 v[6:7], -v[4:5], v[0:1], v[6:7]
	v_fma_f64 v[40:41], -v[4:5], v[2:3], v[40:41]
	s_waitcnt lgkmcnt(5)
	v_fma_f64 v[38:39], -v[4:5], v[8:9], v[38:39]
	v_fma_f64 v[36:37], -v[4:5], v[10:11], v[36:37]
	s_waitcnt lgkmcnt(4)
	;; [unrolled: 3-line block ×5, first 2 shown]
	v_fma_f64 v[18:19], -v[4:5], v[12:13], v[18:19]
	s_waitcnt lgkmcnt(0)
	v_fma_f64 v[16:17], -v[4:5], v[54:55], v[16:17]
.LBB83_26:
	s_mul_i32 s8, s6, 0x88
	v_mov_b32_e32 v42, s8
	s_lshl_b32 s8, s6, 4
	ds_read2_b64 v[2:5], v42 offset1:34
	s_add_i32 s8, s6, s8
	s_lshl_b32 s8, s8, 3
	v_mov_b32_e32 v43, s8
	s_lshl_b32 s8, s6, 7
	s_or_b32 s7, s8, s7
	ds_read_b128 v[44:47], v43 offset:128
	s_or_b32 s8, s7, 0x100
	s_waitcnt lgkmcnt(1)
	v_mul_f64 v[0:1], v[6:7], v[2:3]
	v_mov_b32_e32 v2, s8
	ds_read_b128 v[6:9], v43 offset:384
	ds_read_b128 v[10:13], v2
	s_waitcnt lgkmcnt(2)
	v_fma_f64 v[2:3], -v[0:1], v[44:45], v[40:41]
	v_mul_f64 v[2:3], v[2:3], v[46:47]
	global_store_dwordx4 v[14:15], v[0:3], off
	s_waitcnt lgkmcnt(1)
	v_fma_f64 v[6:7], -v[0:1], v[6:7], v[36:37]
	s_waitcnt lgkmcnt(0)
	v_fma_f64 v[10:11], -v[0:1], v[10:11], v[38:39]
	ds_read_b128 v[44:47], v43 offset:1200
	v_fma_f64 v[10:11], -v[2:3], v[12:13], v[10:11]
	v_fma_f64 v[40:41], -v[2:3], v[8:9], v[6:7]
	ds_read_b128 v[6:9], v43 offset:400
	s_or_b32 s8, s7, 0x200
	v_mul_f64 v[4:5], v[10:11], v[4:5]
	v_mov_b32_e32 v48, s8
	ds_read_b128 v[10:13], v43 offset:640
	ds_read_b128 v[36:39], v48
	s_waitcnt lgkmcnt(2)
	v_fma_f64 v[6:7], -v[4:5], v[6:7], v[40:41]
	v_mul_f64 v[6:7], v[6:7], v[8:9]
	ds_read_b128 v[48:51], v48 offset:16
	ds_read2_b64 v[52:55], v42 offset0:68 offset1:102
	s_waitcnt lgkmcnt(2)
	v_fma_f64 v[8:9], -v[0:1], v[36:37], v[30:31]
	v_fma_f64 v[8:9], -v[2:3], v[38:39], v[8:9]
	ds_read_b128 v[36:39], v43 offset:656
	v_fma_f64 v[10:11], -v[0:1], v[10:11], v[28:29]
	v_fma_f64 v[28:29], -v[2:3], v[12:13], v[10:11]
	ds_read_b128 v[10:13], v43 offset:672
	s_or_b32 s8, s7, 0x300
	s_waitcnt lgkmcnt(3)
	v_fma_f64 v[8:9], -v[4:5], v[48:49], v[8:9]
	s_waitcnt lgkmcnt(1)
	v_fma_f64 v[28:29], -v[4:5], v[36:37], v[28:29]
	v_mov_b32_e32 v40, s8
	v_fma_f64 v[8:9], -v[6:7], v[50:51], v[8:9]
	v_fma_f64 v[36:37], -v[6:7], v[38:39], v[28:29]
	ds_read_b128 v[28:31], v40
	v_mul_f64 v[8:9], v[8:9], v[52:53]
	s_waitcnt lgkmcnt(1)
	v_fma_f64 v[10:11], -v[8:9], v[10:11], v[36:37]
	ds_read_b128 v[36:39], v40 offset:16
	v_mul_f64 v[10:11], v[10:11], v[12:13]
	s_waitcnt lgkmcnt(1)
	v_fma_f64 v[12:13], -v[0:1], v[28:29], v[26:27]
	v_fma_f64 v[12:13], -v[2:3], v[30:31], v[12:13]
	ds_read_b128 v[26:29], v40 offset:32
	s_or_b32 s8, s7, 0x400
	global_store_dwordx4 v[14:15], v[4:7], off offset:16
	global_store_dwordx4 v[14:15], v[8:11], off offset:32
	s_waitcnt lgkmcnt(1)
	v_fma_f64 v[12:13], -v[4:5], v[36:37], v[12:13]
	v_mov_b32_e32 v40, s8
	v_fma_f64 v[12:13], -v[6:7], v[38:39], v[12:13]
	ds_read_b128 v[36:39], v40
	ds_read_b128 v[48:51], v43 offset:896
	ds_read_b128 v[56:59], v43 offset:912
	s_waitcnt lgkmcnt(3)
	v_fma_f64 v[12:13], -v[8:9], v[26:27], v[12:13]
	v_fma_f64 v[12:13], -v[10:11], v[28:29], v[12:13]
	ds_read_b128 v[28:31], v43 offset:928
	v_mul_f64 v[26:27], v[12:13], v[54:55]
	s_waitcnt lgkmcnt(2)
	v_fma_f64 v[12:13], -v[0:1], v[48:49], v[24:25]
	v_fma_f64 v[12:13], -v[2:3], v[50:51], v[12:13]
	s_waitcnt lgkmcnt(1)
	v_fma_f64 v[12:13], -v[4:5], v[56:57], v[12:13]
	v_fma_f64 v[12:13], -v[6:7], v[58:59], v[12:13]
	ds_read2_b64 v[48:51], v43 offset0:118 offset1:152
	ds_read2_b64 v[52:55], v42 offset0:119 offset1:136
	ds_read_b128 v[56:59], v43 offset:1152
	s_waitcnt lgkmcnt(3)
	v_fma_f64 v[12:13], -v[8:9], v[28:29], v[12:13]
	ds_read_b128 v[60:63], v40 offset:16
	ds_read_b128 v[64:67], v40 offset:32
	v_fma_f64 v[12:13], -v[10:11], v[30:31], v[12:13]
	s_waitcnt lgkmcnt(4)
	v_fma_f64 v[12:13], -v[26:27], v[48:49], v[12:13]
	s_waitcnt lgkmcnt(3)
	v_mul_f64 v[28:29], v[12:13], v[52:53]
	v_fma_f64 v[12:13], -v[0:1], v[36:37], v[22:23]
	v_fma_f64 v[12:13], -v[2:3], v[38:39], v[12:13]
	ds_read_b128 v[22:25], v40 offset:48
	s_waitcnt lgkmcnt(2)
	v_fma_f64 v[12:13], -v[4:5], v[60:61], v[12:13]
	v_fma_f64 v[12:13], -v[6:7], v[62:63], v[12:13]
	s_waitcnt lgkmcnt(1)
	v_fma_f64 v[12:13], -v[8:9], v[64:65], v[12:13]
	v_fma_f64 v[12:13], -v[10:11], v[66:67], v[12:13]
	;; [unrolled: 3-line block ×3, first 2 shown]
	ds_read_b128 v[22:25], v43 offset:1168
	v_mul_f64 v[48:49], v[12:13], v[54:55]
	ds_read_b128 v[52:55], v43 offset:1184
	v_fma_f64 v[12:13], -v[0:1], v[56:57], v[20:21]
	v_fma_f64 v[12:13], -v[2:3], v[58:59], v[12:13]
	s_waitcnt lgkmcnt(1)
	v_fma_f64 v[12:13], -v[4:5], v[22:23], v[12:13]
	s_or_b32 s7, s7, 0x500
	v_fma_f64 v[12:13], -v[6:7], v[24:25], v[12:13]
	v_mov_b32_e32 v30, s7
	s_waitcnt lgkmcnt(0)
	v_fma_f64 v[12:13], -v[8:9], v[52:53], v[12:13]
	ds_read_b128 v[36:39], v30
	ds_read2_b64 v[20:23], v42 offset0:153 offset1:170
	v_fma_f64 v[12:13], -v[10:11], v[54:55], v[12:13]
	v_fma_f64 v[12:13], -v[26:27], v[44:45], v[12:13]
	;; [unrolled: 1-line block ×3, first 2 shown]
	ds_read_b128 v[44:47], v30 offset:16
	v_fma_f64 v[12:13], -v[48:49], v[50:51], v[12:13]
	ds_read_b128 v[52:55], v30 offset:32
	s_waitcnt lgkmcnt(2)
	v_mul_f64 v[50:51], v[12:13], v[20:21]
	v_fma_f64 v[12:13], -v[0:1], v[36:37], v[18:19]
	ds_read_b128 v[18:21], v30 offset:48
	v_fma_f64 v[12:13], -v[2:3], v[38:39], v[12:13]
	s_waitcnt lgkmcnt(2)
	v_fma_f64 v[12:13], -v[4:5], v[44:45], v[12:13]
	v_fma_f64 v[12:13], -v[6:7], v[46:47], v[12:13]
	s_waitcnt lgkmcnt(1)
	v_fma_f64 v[12:13], -v[8:9], v[52:53], v[12:13]
	s_add_i32 s7, s12, s6
	ds_read_b128 v[36:39], v30 offset:64
	v_fma_f64 v[12:13], -v[10:11], v[54:55], v[12:13]
	s_lshl_b32 s7, s7, 3
	s_waitcnt lgkmcnt(1)
	v_fma_f64 v[12:13], -v[26:27], v[18:19], v[12:13]
	v_mov_b32_e32 v24, s7
	v_fma_f64 v[12:13], -v[28:29], v[20:21], v[12:13]
	ds_read_b128 v[18:21], v24
	global_store_dwordx4 v[14:15], v[26:29], off offset:48
	global_store_dwordx4 v[14:15], v[48:51], off offset:64
	s_waitcnt lgkmcnt(1)
	v_fma_f64 v[12:13], -v[48:49], v[36:37], v[12:13]
	v_fma_f64 v[12:13], -v[50:51], v[38:39], v[12:13]
	ds_read_b128 v[36:39], v24 offset:16
	ds_read_b128 v[44:47], v24 offset:32
	;; [unrolled: 1-line block ×3, first 2 shown]
	s_waitcnt lgkmcnt(3)
	v_fma_f64 v[0:1], -v[0:1], v[18:19], v[16:17]
	v_fma_f64 v[0:1], -v[2:3], v[20:21], v[0:1]
	s_waitcnt lgkmcnt(2)
	v_fma_f64 v[0:1], -v[4:5], v[36:37], v[0:1]
	v_fma_f64 v[0:1], -v[6:7], v[38:39], v[0:1]
	s_waitcnt lgkmcnt(1)
	v_fma_f64 v[0:1], -v[8:9], v[44:45], v[0:1]
	v_fma_f64 v[4:5], -v[10:11], v[46:47], v[0:1]
	ds_read_b128 v[0:3], v24 offset:64
	s_waitcnt lgkmcnt(1)
	v_fma_f64 v[4:5], -v[26:27], v[52:53], v[4:5]
	ds_read_b64 v[6:7], v24 offset:80
	ds_read_b64 v[8:9], v42 offset:1496
	v_fma_f64 v[4:5], -v[28:29], v[54:55], v[4:5]
	v_mul_f64 v[22:23], v[12:13], v[22:23]
	s_waitcnt lgkmcnt(2)
	v_fma_f64 v[0:1], -v[48:49], v[0:1], v[4:5]
	v_fma_f64 v[0:1], -v[50:51], v[2:3], v[0:1]
	s_waitcnt lgkmcnt(1)
	v_fma_f64 v[0:1], -v[22:23], v[6:7], v[0:1]
	s_waitcnt lgkmcnt(0)
	v_mul_f64 v[24:25], v[0:1], v[8:9]
	s_or_b32 s6, s6, 12
	global_store_dwordx4 v[14:15], v[22:25], off offset:80
.LBB83_27:
	s_cmp_ge_i32 s6, s16
	s_cbranch_scc1 .LBB83_38
; %bb.28:
	s_add_i32 s12, s6, -1
	s_lshl_b32 s13, s6, 7
	s_add_u32 s7, s10, s4
	s_addc_u32 s8, s11, s5
	s_add_u32 s7, s7, s2
	s_addc_u32 s8, s8, s3
	v_mov_b32_e32 v0, s8
	v_add_co_u32_e32 v8, vcc, s7, v34
	v_addc_co_u32_e32 v9, vcc, v0, v35, vcc
	v_add_co_u32_e32 v0, vcc, 56, v8
	v_addc_co_u32_e32 v1, vcc, 0, v9, vcc
	s_mov_b32 s9, 0
	s_mov_b32 s17, s6
	;; [unrolled: 1-line block ×3, first 2 shown]
	s_branch .LBB83_30
.LBB83_29:                              ;   in Loop: Header=BB83_30 Depth=1
	s_mul_i32 s7, s6, 0x88
	v_mov_b32_e32 v6, s7
	ds_read_b64 v[6:7], v6
	s_add_i32 s6, s6, 1
	s_add_i32 s15, s15, 1
	s_addk_i32 s13, 0x80
	v_add_u16_e64 v10, s17, 1
	s_waitcnt lgkmcnt(0)
	v_mul_f64 v[4:5], v[4:5], v[6:7]
	s_cmp_ge_i32 s6, s16
	v_readfirstlane_b32 s17, v10
	global_store_dwordx2 v[2:3], v[4:5], off
	s_cbranch_scc1 .LBB83_38
.LBB83_30:                              ; =>This Loop Header: Depth=1
                                        ;     Child Loop BB83_33 Depth 2
                                        ;     Child Loop BB83_37 Depth 2
	s_ashr_i32 s7, s6, 31
	s_lshl_b64 s[20:21], s[6:7], 3
	v_mov_b32_e32 v3, s21
	v_add_co_u32_e32 v2, vcc, s20, v32
	v_addc_co_u32_e32 v3, vcc, v33, v3, vcc
	global_load_dwordx2 v[4:5], v[2:3], off
	s_cmp_eq_u32 s6, 0
	s_waitcnt vmcnt(0)
	v_mul_f64 v[4:5], v[4:5], s[0:1]
	s_cbranch_scc1 .LBB83_29
; %bb.31:                               ;   in Loop: Header=BB83_30 Depth=1
	s_add_i32 s7, s12, s15
	s_cmp_lt_u32 s7, 7
	s_cbranch_scc1 .LBB83_35
; %bb.32:                               ;   in Loop: Header=BB83_30 Depth=1
	s_and_b32 s8, s6, -8
	s_mov_b32 s7, 0
	v_pk_mov_b32 v[6:7], v[0:1], v[0:1] op_sel:[0,1]
	s_mov_b32 s19, s13
.LBB83_33:                              ;   Parent Loop BB83_30 Depth=1
                                        ; =>  This Inner Loop Header: Depth=2
	global_load_dwordx4 v[10:13], v[6:7], off offset:-56
	global_load_dwordx4 v[14:17], v[6:7], off offset:-40
	;; [unrolled: 1-line block ×4, first 2 shown]
	v_mov_b32_e32 v30, s19
	ds_read_b128 v[26:29], v30
	ds_read_b128 v[36:39], v30 offset:16
	ds_read_b128 v[40:43], v30 offset:32
	;; [unrolled: 1-line block ×3, first 2 shown]
	s_add_i32 s7, s7, 8
	s_add_i32 s19, s19, 64
	v_add_co_u32_e32 v6, vcc, 64, v6
	v_addc_co_u32_e32 v7, vcc, 0, v7, vcc
	s_cmp_lg_u32 s8, s7
	s_waitcnt vmcnt(3) lgkmcnt(3)
	v_fma_f64 v[4:5], -v[10:11], v[26:27], v[4:5]
	v_fma_f64 v[4:5], -v[12:13], v[28:29], v[4:5]
	s_waitcnt vmcnt(2) lgkmcnt(2)
	v_fma_f64 v[4:5], -v[14:15], v[36:37], v[4:5]
	v_fma_f64 v[4:5], -v[16:17], v[38:39], v[4:5]
	;; [unrolled: 3-line block ×4, first 2 shown]
	s_cbranch_scc1 .LBB83_33
; %bb.34:                               ;   in Loop: Header=BB83_30 Depth=1
	s_and_b32 s7, s6, 7
	s_cmp_eq_u32 s7, 0
	s_cbranch_scc0 .LBB83_36
	s_branch .LBB83_29
.LBB83_35:                              ;   in Loop: Header=BB83_30 Depth=1
	s_mov_b32 s8, 0
	s_and_b32 s7, s6, 7
	s_cmp_eq_u32 s7, 0
	s_cbranch_scc1 .LBB83_29
.LBB83_36:                              ;   in Loop: Header=BB83_30 Depth=1
	s_lshl_b64 s[20:21], s[8:9], 3
	v_mov_b32_e32 v7, s21
	v_add_co_u32_e32 v6, vcc, s20, v8
	s_and_b32 s7, s17, 7
	s_lshl_b32 s19, s8, 3
	v_addc_co_u32_e32 v7, vcc, v9, v7, vcc
.LBB83_37:                              ;   Parent Loop BB83_30 Depth=1
                                        ; =>  This Inner Loop Header: Depth=2
	global_load_dwordx2 v[10:11], v[6:7], off
	s_add_i32 s8, s13, s19
	v_mov_b32_e32 v12, s8
	ds_read_b64 v[12:13], v12
	s_add_i32 s19, s19, 8
	v_add_co_u32_e32 v6, vcc, 8, v6
	s_add_i32 s7, s7, -1
	v_addc_co_u32_e32 v7, vcc, 0, v7, vcc
	s_cmp_lg_u32 s7, 0
	s_waitcnt vmcnt(0) lgkmcnt(0)
	v_fma_f64 v[4:5], -v[10:11], v[12:13], v[4:5]
	s_cbranch_scc1 .LBB83_37
	s_branch .LBB83_29
.LBB83_38:
	s_mov_b64 s[6:7], 0
.LBB83_39:
	s_and_b64 vcc, exec, s[6:7]
	s_cbranch_vccz .LBB83_65
; %bb.40:
	s_cmp_gt_i32 s14, 15
	s_cbranch_scc0 .LBB83_42
; %bb.41:
	s_ashr_i32 s19, s18, 31
	s_lshl_b64 s[6:7], s[18:19], 3
	v_mov_b32_e32 v0, s7
	v_add_co_u32_e32 v4, vcc, s6, v32
	v_addc_co_u32_e32 v5, vcc, v33, v0, vcc
	global_load_dwordx2 v[6:7], v[4:5], off
	s_mov_b32 s17, 0
	s_lshl_b64 s[6:7], s[16:17], 3
	v_mov_b32_e32 v0, s7
	v_add_co_u32_e32 v28, vcc, s6, v32
	v_addc_co_u32_e32 v29, vcc, v33, v0, vcc
	global_load_dwordx2 v[36:37], v[28:29], off offset:-16
	global_load_dwordx4 v[12:15], v[28:29], off offset:-32
	global_load_dwordx4 v[8:11], v[28:29], off offset:-48
	;; [unrolled: 1-line block ×7, first 2 shown]
	s_add_i32 s8, s16, -2
	s_lshl_b32 s7, s18, 4
	s_mul_i32 s19, s18, 0x88
	s_add_i32 s20, s16, -4
	s_add_i32 s14, s8, s7
	s_add_i32 s15, s19, 0xffffff78
	s_ashr_i32 s17, s16, 31
	s_add_i32 s21, s20, s7
	s_lshl_b32 s9, s8, 4
	s_lshl_b32 s24, s14, 3
	v_mov_b32_e32 v30, s15
	s_lshl_b64 s[14:15], s[16:17], 3
	s_lshl_b32 s17, s21, 3
	s_add_i32 s21, s20, s9
	v_mov_b32_e32 v31, s24
	v_mov_b32_e32 v46, s15
	;; [unrolled: 1-line block ×3, first 2 shown]
	s_lshl_b32 s15, s21, 3
	ds_read2_b64 v[42:45], v31 offset1:1
	ds_read_b64 v[54:55], v30
	v_add_co_u32_e32 v28, vcc, s14, v32
	s_lshl_b32 s6, s16, 4
	v_addc_co_u32_e32 v29, vcc, v33, v46, vcc
	v_mov_b32_e32 v30, s15
	ds_read2_b64 v[46:49], v47 offset1:1
	ds_read2_b64 v[50:53], v30 offset1:1
	s_add_i32 s13, s16, -6
	s_sub_i32 s8, s6, 48
	s_add_i32 s22, s19, 0xfffffe68
	s_add_i32 s23, s13, s7
	s_lshl_b32 s12, s20, 4
	s_add_i32 s20, s20, s8
	v_mov_b32_e32 v56, s22
	s_lshl_b32 s22, s23, 3
	s_add_i32 s23, s13, s9
	s_lshl_b32 s17, s20, 3
	v_mov_b32_e32 v62, s22
	s_lshl_b32 s20, s23, 3
	v_mov_b32_e32 v57, s17
	v_mov_b32_e32 v63, s20
	s_add_i32 s25, s13, s8
	s_add_i32 s14, s6, 0xffffffb0
	;; [unrolled: 1-line block ×3, first 2 shown]
	s_lshl_b32 s21, s25, 3
	s_add_i32 s15, s13, s14
	s_lshl_b32 s22, s26, 3
	v_mov_b32_e32 v64, s21
	s_lshl_b32 s15, s15, 3
	v_mov_b32_e32 v65, s22
	s_add_i32 s17, s16, -8
	s_add_i32 s21, s16, -10
	;; [unrolled: 1-line block ×3, first 2 shown]
	s_waitcnt vmcnt(8)
	v_mul_f64 v[6:7], v[6:7], s[0:1]
	s_waitcnt lgkmcnt(3)
	v_mul_f64 v[30:31], v[6:7], v[44:45]
	s_waitcnt lgkmcnt(1)
	v_mul_f64 v[48:49], v[30:31], v[48:49]
	v_mul_f64 v[46:47], v[30:31], v[46:47]
	;; [unrolled: 1-line block ×3, first 2 shown]
	ds_read2_b64 v[42:45], v57 offset1:1
	ds_read_b64 v[58:59], v56
	s_waitcnt vmcnt(7)
	v_fma_f64 v[6:7], v[36:37], s[0:1], -v[6:7]
	s_waitcnt vmcnt(6)
	v_fma_f64 v[56:57], v[14:15], s[0:1], -v[48:49]
	v_fma_f64 v[60:61], v[12:13], s[0:1], -v[46:47]
	ds_read2_b64 v[12:15], v62 offset1:1
	ds_read2_b64 v[46:49], v63 offset1:1
	v_mul_f64 v[36:37], v[6:7], v[54:55]
	s_waitcnt lgkmcnt(4)
	v_fma_f64 v[6:7], -v[36:37], v[52:53], v[56:57]
	v_fma_f64 v[60:61], -v[36:37], v[50:51], v[60:61]
	s_waitcnt lgkmcnt(1)
	v_mul_f64 v[14:15], v[30:31], v[14:15]
	ds_read2_b64 v[50:53], v64 offset1:1
	ds_read2_b64 v[54:57], v65 offset1:1
	global_store_dwordx2 v[4:5], v[30:31], off
	global_store_dwordx2 v[28:29], v[36:37], off offset:-16
	v_mul_f64 v[6:7], v[6:7], v[44:45]
	s_waitcnt vmcnt(7)
	v_fma_f64 v[10:11], v[10:11], s[0:1], -v[14:15]
	v_mov_b32_e32 v14, s15
	v_fma_f64 v[4:5], -v[6:7], v[42:43], v[60:61]
	ds_read2_b64 v[42:45], v14 offset1:1
	v_mul_f64 v[12:13], v[30:31], v[12:13]
	s_add_i32 s15, s19, 0xfffffd58
	s_waitcnt lgkmcnt(3)
	v_fma_f64 v[10:11], -v[36:37], v[48:49], v[10:11]
	v_mov_b32_e32 v14, s15
	v_fma_f64 v[8:9], v[8:9], s[0:1], -v[12:13]
	s_add_i32 s15, s17, s7
	v_mul_f64 v[4:5], v[4:5], v[58:59]
	s_waitcnt lgkmcnt(2)
	v_fma_f64 v[10:11], -v[6:7], v[52:53], v[10:11]
	v_fma_f64 v[8:9], -v[36:37], v[46:47], v[8:9]
	s_lshl_b32 s15, s15, 3
	s_waitcnt lgkmcnt(1)
	v_fma_f64 v[10:11], -v[4:5], v[56:57], v[10:11]
	v_fma_f64 v[8:9], -v[6:7], v[50:51], v[8:9]
	v_mov_b32_e32 v12, s15
	s_add_i32 s15, s17, s9
	ds_read_b64 v[48:49], v14
	s_waitcnt lgkmcnt(1)
	v_mul_f64 v[10:11], v[10:11], v[44:45]
	v_fma_f64 v[8:9], -v[4:5], v[54:55], v[8:9]
	s_lshl_b32 s15, s15, 3
	ds_read2_b64 v[12:15], v12 offset1:1
	v_fma_f64 v[8:9], -v[10:11], v[42:43], v[8:9]
	v_mov_b32_e32 v42, s15
	ds_read2_b64 v[42:45], v42 offset1:1
	s_add_i32 s15, s17, s8
	s_waitcnt lgkmcnt(1)
	v_mul_f64 v[14:15], v[30:31], v[14:15]
	s_waitcnt vmcnt(6)
	v_fma_f64 v[14:15], v[40:41], s[0:1], -v[14:15]
	s_lshl_b32 s15, s15, 3
	s_waitcnt lgkmcnt(0)
	v_fma_f64 v[40:41], -v[36:37], v[44:45], v[14:15]
	v_mov_b32_e32 v14, s15
	s_add_i32 s15, s17, s12
	s_lshl_b32 s15, s15, 3
	v_mul_f64 v[8:9], v[8:9], v[48:49]
	v_mov_b32_e32 v15, s15
	s_add_i32 s15, s17, s14
	global_store_dwordx4 v[28:29], v[4:7], off offset:-32
	global_store_dwordx4 v[28:29], v[8:11], off offset:-48
	s_lshl_b32 s15, s15, 3
	ds_read2_b64 v[44:47], v14 offset1:1
	ds_read2_b64 v[48:51], v15 offset1:1
	v_mov_b32_e32 v14, s15
	s_lshl_b32 s15, s13, 4
	s_add_i32 s13, s17, s15
	s_lshl_b32 s13, s13, 3
	v_mov_b32_e32 v52, s13
	v_mul_f64 v[56:57], v[30:31], v[12:13]
	ds_read2_b64 v[12:15], v14 offset1:1
	ds_read2_b64 v[52:55], v52 offset1:1
	s_add_i32 s13, s19, 0xfffffcd0
	v_fma_f64 v[38:39], v[38:39], s[0:1], -v[56:57]
	v_mov_b32_e32 v56, s13
	s_add_i32 s13, s6, 0xffffff90
	s_waitcnt lgkmcnt(3)
	v_fma_f64 v[40:41], -v[6:7], v[46:47], v[40:41]
	s_add_i32 s20, s17, s13
	s_waitcnt lgkmcnt(2)
	v_fma_f64 v[40:41], -v[4:5], v[50:51], v[40:41]
	s_lshl_b32 s20, s20, 3
	ds_read_b64 v[56:57], v56
	s_waitcnt lgkmcnt(2)
	v_fma_f64 v[14:15], -v[10:11], v[14:15], v[40:41]
	v_mov_b32_e32 v40, s20
	s_add_i32 s20, s19, 0xfffffc48
	v_fma_f64 v[38:39], -v[36:37], v[42:43], v[38:39]
	ds_read_b64 v[40:41], v40
	v_mov_b32_e32 v42, s20
	v_fma_f64 v[38:39], -v[6:7], v[44:45], v[38:39]
	ds_read_b64 v[42:43], v42
	v_fma_f64 v[38:39], -v[4:5], v[48:49], v[38:39]
	s_add_i32 s20, s21, s7
	s_waitcnt lgkmcnt(3)
	v_fma_f64 v[14:15], -v[8:9], v[54:55], v[14:15]
	v_fma_f64 v[12:13], -v[10:11], v[12:13], v[38:39]
	s_lshl_b32 s20, s20, 3
	s_waitcnt lgkmcnt(2)
	v_mul_f64 v[14:15], v[14:15], v[56:57]
	v_fma_f64 v[12:13], -v[8:9], v[52:53], v[12:13]
	v_mov_b32_e32 v38, s20
	s_add_i32 s20, s21, s9
	s_waitcnt lgkmcnt(1)
	v_fma_f64 v[12:13], -v[14:15], v[40:41], v[12:13]
	s_lshl_b32 s20, s20, 3
	s_waitcnt lgkmcnt(0)
	v_mul_f64 v[12:13], v[12:13], v[42:43]
	v_mov_b32_e32 v42, s20
	s_add_i32 s20, s21, s8
	global_store_dwordx4 v[28:29], v[12:15], off offset:-64
	s_lshl_b32 s20, s20, 3
	ds_read2_b64 v[38:41], v38 offset1:1
	ds_read2_b64 v[42:45], v42 offset1:1
	v_mov_b32_e32 v46, s20
	s_add_i32 s20, s21, s12
	s_lshl_b32 s20, s20, 3
	v_mov_b32_e32 v50, s20
	ds_read2_b64 v[46:49], v46 offset1:1
	ds_read2_b64 v[50:53], v50 offset1:1
	s_add_i32 s20, s21, s14
	s_waitcnt lgkmcnt(3)
	v_mul_f64 v[40:41], v[30:31], v[40:41]
	s_lshl_b32 s20, s20, 3
	s_waitcnt vmcnt(8)
	v_fma_f64 v[22:23], v[22:23], s[0:1], -v[40:41]
	v_mov_b32_e32 v40, s20
	s_add_i32 s20, s21, s15
	s_waitcnt lgkmcnt(2)
	v_fma_f64 v[22:23], -v[36:37], v[44:45], v[22:23]
	s_lshl_b32 s20, s20, 3
	s_waitcnt lgkmcnt(1)
	v_fma_f64 v[22:23], -v[6:7], v[48:49], v[22:23]
	v_mov_b32_e32 v44, s20
	s_add_i32 s20, s21, s13
	s_waitcnt lgkmcnt(0)
	v_fma_f64 v[48:49], -v[4:5], v[52:53], v[22:23]
	v_mul_f64 v[22:23], v[30:31], v[38:39]
	s_lshl_b32 s20, s20, 3
	s_lshl_b32 s17, s17, 4
	v_fma_f64 v[20:21], v[20:21], s[0:1], -v[22:23]
	v_mov_b32_e32 v22, s20
	s_add_i32 s20, s21, s17
	ds_read2_b64 v[38:41], v40 offset1:1
	ds_read2_b64 v[52:55], v44 offset1:1
	s_lshl_b32 s20, s20, 3
	v_mov_b32_e32 v44, s20
	v_fma_f64 v[56:57], -v[36:37], v[42:43], v[20:21]
	ds_read2_b64 v[20:23], v22 offset1:1
	ds_read2_b64 v[42:45], v44 offset1:1
	s_add_i32 s20, s19, 0xfffffbc0
	v_fma_f64 v[46:47], -v[6:7], v[46:47], v[56:57]
	v_mov_b32_e32 v56, s20
	s_waitcnt lgkmcnt(3)
	v_fma_f64 v[40:41], -v[10:11], v[40:41], v[48:49]
	s_add_i32 s20, s6, 0xffffff70
	s_waitcnt lgkmcnt(2)
	v_fma_f64 v[40:41], -v[8:9], v[54:55], v[40:41]
	s_add_i32 s22, s21, s20
	s_waitcnt lgkmcnt(1)
	v_fma_f64 v[22:23], -v[14:15], v[22:23], v[40:41]
	v_fma_f64 v[40:41], -v[4:5], v[50:51], v[46:47]
	s_lshl_b32 s22, s22, 3
	ds_read_b64 v[56:57], v56
	v_fma_f64 v[38:39], -v[10:11], v[38:39], v[40:41]
	v_mov_b32_e32 v40, s22
	ds_read_b64 v[40:41], v40
	s_add_i32 s22, s19, 0xfffffb38
	s_waitcnt lgkmcnt(2)
	v_fma_f64 v[22:23], -v[12:13], v[44:45], v[22:23]
	v_mov_b32_e32 v44, s22
	v_fma_f64 v[38:39], -v[8:9], v[52:53], v[38:39]
	s_add_i32 s22, s24, s7
	v_fma_f64 v[20:21], -v[14:15], v[20:21], v[38:39]
	s_lshl_b32 s22, s22, 3
	s_waitcnt lgkmcnt(1)
	v_mul_f64 v[22:23], v[22:23], v[56:57]
	v_fma_f64 v[20:21], -v[12:13], v[42:43], v[20:21]
	v_mov_b32_e32 v38, s22
	ds_read_b64 v[44:45], v44
	s_waitcnt lgkmcnt(1)
	v_fma_f64 v[20:21], -v[22:23], v[40:41], v[20:21]
	ds_read2_b64 v[38:41], v38 offset1:1
	s_add_i32 s22, s24, s9
	s_lshl_b32 s22, s22, 3
	v_mov_b32_e32 v42, s22
	s_add_i32 s22, s24, s8
	s_waitcnt lgkmcnt(1)
	v_mul_f64 v[20:21], v[20:21], v[44:45]
	ds_read2_b64 v[42:45], v42 offset1:1
	s_waitcnt lgkmcnt(1)
	v_mul_f64 v[40:41], v[30:31], v[40:41]
	s_lshl_b32 s22, s22, 3
	s_waitcnt vmcnt(7)
	v_fma_f64 v[26:27], v[26:27], s[0:1], -v[40:41]
	v_mov_b32_e32 v40, s22
	s_add_i32 s22, s24, s12
	s_lshl_b32 s22, s22, 3
	v_mov_b32_e32 v41, s22
	s_add_i32 s22, s24, s14
	global_store_dwordx4 v[28:29], v[20:23], off offset:-80
	s_lshl_b32 s22, s22, 3
	ds_read2_b64 v[46:49], v40 offset1:1
	ds_read2_b64 v[50:53], v41 offset1:1
	v_mov_b32_e32 v40, s22
	s_add_i32 s22, s24, s15
	s_lshl_b32 s22, s22, 3
	v_mov_b32_e32 v54, s22
	v_mul_f64 v[58:59], v[30:31], v[38:39]
	ds_read2_b64 v[38:41], v40 offset1:1
	ds_read2_b64 v[54:57], v54 offset1:1
	s_waitcnt lgkmcnt(4)
	v_fma_f64 v[26:27], -v[36:37], v[44:45], v[26:27]
	s_waitcnt lgkmcnt(3)
	v_fma_f64 v[26:27], -v[6:7], v[48:49], v[26:27]
	;; [unrolled: 2-line block ×3, first 2 shown]
	s_add_i32 s22, s24, s13
	s_waitcnt lgkmcnt(1)
	v_fma_f64 v[26:27], -v[10:11], v[40:41], v[26:27]
	s_lshl_b32 s22, s22, 3
	s_waitcnt lgkmcnt(0)
	v_fma_f64 v[52:53], -v[8:9], v[56:57], v[26:27]
	v_mov_b32_e32 v26, s22
	s_add_i32 s22, s24, s17
	s_lshl_b32 s22, s22, 3
	v_fma_f64 v[24:25], v[24:25], s[0:1], -v[58:59]
	v_mov_b32_e32 v40, s22
	s_add_i32 s22, s24, s20
	v_fma_f64 v[44:45], -v[36:37], v[42:43], v[24:25]
	s_lshl_b32 s22, s22, 3
	s_lshl_b32 s21, s21, 4
	v_fma_f64 v[44:45], -v[6:7], v[46:47], v[44:45]
	v_mov_b32_e32 v46, s22
	s_add_i32 s22, s24, s21
	ds_read2_b64 v[24:27], v26 offset1:1
	ds_read2_b64 v[40:43], v40 offset1:1
	s_lshl_b32 s22, s22, 3
	v_mov_b32_e32 v48, s22
	v_fma_f64 v[56:57], -v[4:5], v[50:51], v[44:45]
	s_addk_i32 s19, 0xfab0
	s_add_i32 s22, s6, 0xffffff50
	v_fma_f64 v[38:39], -v[10:11], v[38:39], v[56:57]
	v_mov_b32_e32 v56, s19
	s_add_i32 s19, s24, s22
	v_fma_f64 v[38:39], -v[8:9], v[54:55], v[38:39]
	s_lshl_b32 s19, s19, 3
	ds_read2_b64 v[44:47], v46 offset1:1
	ds_read2_b64 v[48:51], v48 offset1:1
	s_waitcnt lgkmcnt(3)
	v_fma_f64 v[24:25], -v[14:15], v[24:25], v[38:39]
	v_mov_b32_e32 v38, s19
	s_mul_i32 s19, s16, 0x88
	ds_read_b64 v[56:57], v56
	v_fma_f64 v[26:27], -v[14:15], v[26:27], v[52:53]
	s_add_i32 s23, s19, 0xfffff9a0
	s_waitcnt lgkmcnt(3)
	v_fma_f64 v[26:27], -v[12:13], v[42:43], v[26:27]
	v_mov_b32_e32 v42, s23
	ds_read_b64 v[38:39], v38
	ds_read_b64 v[42:43], v42
	s_waitcnt lgkmcnt(4)
	v_fma_f64 v[26:27], -v[22:23], v[46:47], v[26:27]
	v_fma_f64 v[24:25], -v[12:13], v[40:41], v[24:25]
	s_add_i32 s23, s16, -14
	s_waitcnt lgkmcnt(3)
	v_fma_f64 v[26:27], -v[20:21], v[50:51], v[26:27]
	v_fma_f64 v[24:25], -v[22:23], v[44:45], v[24:25]
	s_add_i32 s25, s23, s7
	s_waitcnt lgkmcnt(2)
	v_mul_f64 v[26:27], v[26:27], v[56:57]
	v_fma_f64 v[24:25], -v[20:21], v[48:49], v[24:25]
	s_lshl_b32 s25, s25, 3
	s_waitcnt lgkmcnt(1)
	v_fma_f64 v[24:25], -v[26:27], v[38:39], v[24:25]
	v_mov_b32_e32 v38, s25
	ds_read2_b64 v[38:41], v38 offset1:1
	s_add_i32 s25, s23, s9
	s_lshl_b32 s25, s25, 3
	s_waitcnt lgkmcnt(1)
	v_mul_f64 v[24:25], v[24:25], v[42:43]
	v_mov_b32_e32 v42, s25
	ds_read2_b64 v[42:45], v42 offset1:1
	s_add_i32 s25, s23, s8
	s_waitcnt lgkmcnt(1)
	v_mul_f64 v[40:41], v[30:31], v[40:41]
	s_lshl_b32 s25, s25, 3
	s_waitcnt vmcnt(7)
	v_fma_f64 v[18:19], v[18:19], s[0:1], -v[40:41]
	v_mov_b32_e32 v40, s25
	s_add_i32 s25, s23, s12
	s_lshl_b32 s25, s25, 3
	v_mov_b32_e32 v41, s25
	s_add_i32 s25, s23, s14
	global_store_dwordx4 v[28:29], v[24:27], off offset:-96
	s_lshl_b32 s25, s25, 3
	ds_read2_b64 v[46:49], v40 offset1:1
	ds_read2_b64 v[50:53], v41 offset1:1
	v_mov_b32_e32 v40, s25
	s_add_i32 s25, s23, s15
	s_lshl_b32 s25, s25, 3
	v_mov_b32_e32 v54, s25
	v_mul_f64 v[58:59], v[30:31], v[38:39]
	ds_read2_b64 v[38:41], v40 offset1:1
	ds_read2_b64 v[54:57], v54 offset1:1
	s_waitcnt lgkmcnt(4)
	v_fma_f64 v[18:19], -v[36:37], v[44:45], v[18:19]
	s_waitcnt lgkmcnt(3)
	v_fma_f64 v[18:19], -v[6:7], v[48:49], v[18:19]
	s_add_i32 s25, s23, s13
	s_waitcnt lgkmcnt(2)
	v_fma_f64 v[18:19], -v[4:5], v[52:53], v[18:19]
	s_lshl_b32 s25, s25, 3
	s_waitcnt lgkmcnt(1)
	v_fma_f64 v[18:19], -v[10:11], v[40:41], v[18:19]
	v_fma_f64 v[40:41], v[16:17], s[0:1], -v[58:59]
	v_mov_b32_e32 v16, s25
	s_waitcnt lgkmcnt(0)
	v_fma_f64 v[44:45], -v[8:9], v[56:57], v[18:19]
	ds_read2_b64 v[16:19], v16 offset1:1
	s_add_i32 s25, s23, s17
	s_lshl_b32 s25, s25, 3
	v_fma_f64 v[48:49], -v[36:37], v[42:43], v[40:41]
	v_mov_b32_e32 v40, s25
	ds_read2_b64 v[40:43], v40 offset1:1
	s_add_i32 s25, s23, s20
	s_lshl_b32 s25, s25, 3
	s_waitcnt lgkmcnt(1)
	v_fma_f64 v[18:19], -v[14:15], v[18:19], v[44:45]
	v_fma_f64 v[44:45], -v[6:7], v[46:47], v[48:49]
	v_mov_b32_e32 v46, s25
	s_add_i32 s25, s23, s21
	s_lshl_b32 s25, s25, 3
	v_mov_b32_e32 v48, s25
	s_add_i32 s25, s23, s22
	v_fma_f64 v[52:53], -v[4:5], v[50:51], v[44:45]
	s_lshl_b32 s25, s25, 3
	s_lshl_b32 s24, s24, 4
	v_fma_f64 v[38:39], -v[10:11], v[38:39], v[52:53]
	v_mov_b32_e32 v52, s25
	s_add_i32 s25, s23, s24
	ds_read2_b64 v[44:47], v46 offset1:1
	ds_read2_b64 v[48:51], v48 offset1:1
	s_lshl_b32 s25, s25, 3
	v_mov_b32_e32 v56, s25
	v_fma_f64 v[38:39], -v[8:9], v[54:55], v[38:39]
	ds_read2_b64 v[52:55], v52 offset1:1
	ds_read2_b64 v[56:59], v56 offset1:1
	s_waitcnt lgkmcnt(4)
	v_fma_f64 v[18:19], -v[12:13], v[42:43], v[18:19]
	s_add_i32 s25, s6, 0xffffff30
	s_waitcnt lgkmcnt(3)
	v_fma_f64 v[18:19], -v[22:23], v[46:47], v[18:19]
	s_add_i32 s26, s23, s25
	s_waitcnt lgkmcnt(2)
	v_fma_f64 v[18:19], -v[20:21], v[50:51], v[18:19]
	s_lshl_b32 s26, s26, 3
	s_waitcnt lgkmcnt(1)
	v_fma_f64 v[18:19], -v[26:27], v[54:55], v[18:19]
	v_fma_f64 v[38:39], -v[14:15], v[16:17], v[38:39]
	v_mov_b32_e32 v16, s26
	s_waitcnt lgkmcnt(0)
	v_fma_f64 v[42:43], -v[24:25], v[58:59], v[18:19]
	ds_read2_b64 v[16:19], v16 offset1:1
	v_fma_f64 v[38:39], -v[12:13], v[40:41], v[38:39]
	s_add_i32 s26, s19, 0xfffff890
	v_fma_f64 v[38:39], -v[22:23], v[44:45], v[38:39]
	v_mov_b32_e32 v40, s26
	ds_read_b64 v[46:47], v40
	v_fma_f64 v[38:39], -v[20:21], v[48:49], v[38:39]
	s_add_i32 s26, s16, -16
	v_fma_f64 v[38:39], -v[26:27], v[52:53], v[38:39]
	s_add_i32 s7, s26, s7
	s_waitcnt lgkmcnt(1)
	v_mul_f64 v[18:19], v[42:43], v[18:19]
	v_fma_f64 v[38:39], -v[24:25], v[56:57], v[38:39]
	s_lshl_b32 s7, s7, 3
	v_fma_f64 v[16:17], -v[18:19], v[16:17], v[38:39]
	v_mov_b32_e32 v38, s7
	s_add_i32 s7, s26, s9
	ds_read2_b64 v[38:41], v38 offset1:1
	s_lshl_b32 s7, s7, 3
	v_mov_b32_e32 v42, s7
	ds_read2_b64 v[42:45], v42 offset1:1
	s_add_i32 s7, s26, s8
	s_waitcnt lgkmcnt(1)
	v_mul_f64 v[40:41], v[30:31], v[40:41]
	s_lshl_b32 s7, s7, 3
	s_waitcnt vmcnt(7)
	v_fma_f64 v[2:3], v[2:3], s[0:1], -v[40:41]
	v_mov_b32_e32 v40, s7
	s_add_i32 s7, s26, s12
	s_lshl_b32 s7, s7, 3
	v_mul_f64 v[16:17], v[16:17], v[46:47]
	s_waitcnt lgkmcnt(0)
	v_fma_f64 v[2:3], -v[36:37], v[44:45], v[2:3]
	ds_read2_b64 v[44:47], v40 offset1:1
	v_mov_b32_e32 v40, s7
	s_add_i32 s7, s26, s14
	s_lshl_b32 s7, s7, 3
	ds_read2_b64 v[48:51], v40 offset1:1
	v_mov_b32_e32 v40, s7
	s_add_i32 s7, s26, s15
	s_lshl_b32 s7, s7, 3
	v_mov_b32_e32 v52, s7
	s_add_i32 s7, s26, s13
	s_lshl_b32 s7, s7, 3
	global_store_dwordx4 v[28:29], v[16:19], off offset:-112
	v_mov_b32_e32 v56, s7
	s_add_i32 s7, s26, s17
	s_waitcnt lgkmcnt(1)
	v_fma_f64 v[46:47], -v[6:7], v[46:47], v[2:3]
	v_mul_f64 v[2:3], v[30:31], v[38:39]
	ds_read2_b64 v[38:41], v40 offset1:1
	ds_read2_b64 v[52:55], v52 offset1:1
	s_lshl_b32 s7, s7, 3
	v_mov_b32_e32 v57, s7
	v_fma_f64 v[0:1], v[0:1], s[0:1], -v[2:3]
	v_fma_f64 v[30:31], -v[36:37], v[42:43], v[0:1]
	ds_read2_b64 v[0:3], v56 offset1:1
	ds_read2_b64 v[56:59], v57 offset1:1
	s_waitcnt lgkmcnt(4)
	v_fma_f64 v[36:37], -v[4:5], v[50:51], v[46:47]
	s_waitcnt lgkmcnt(3)
	v_fma_f64 v[36:37], -v[10:11], v[40:41], v[36:37]
	s_add_i32 s7, s26, s20
	s_waitcnt lgkmcnt(2)
	v_fma_f64 v[36:37], -v[8:9], v[54:55], v[36:37]
	s_lshl_b32 s7, s7, 3
	s_waitcnt lgkmcnt(1)
	v_fma_f64 v[2:3], -v[14:15], v[2:3], v[36:37]
	v_mov_b32_e32 v36, s7
	ds_read2_b64 v[40:43], v36 offset1:1
	s_add_i32 s7, s26, s21
	s_lshl_b32 s7, s7, 3
	v_fma_f64 v[6:7], -v[6:7], v[44:45], v[30:31]
	v_mov_b32_e32 v30, s7
	ds_read2_b64 v[44:47], v30 offset1:1
	s_add_i32 s7, s26, s22
	s_waitcnt lgkmcnt(2)
	v_fma_f64 v[2:3], -v[12:13], v[58:59], v[2:3]
	s_lshl_b32 s7, s7, 3
	s_waitcnt lgkmcnt(1)
	v_fma_f64 v[30:31], -v[22:23], v[42:43], v[2:3]
	v_mov_b32_e32 v2, s7
	s_add_i32 s7, s26, s24
	s_lshl_b32 s7, s7, 3
	v_mov_b32_e32 v36, s7
	s_add_i32 s7, s26, s25
	v_fma_f64 v[6:7], -v[4:5], v[48:49], v[6:7]
	s_lshl_b32 s7, s7, 3
	v_fma_f64 v[6:7], -v[10:11], v[38:39], v[6:7]
	v_mov_b32_e32 v10, s7
	s_lshl_b32 s7, s23, 4
	ds_read2_b64 v[2:5], v2 offset1:1
	ds_read2_b64 v[48:51], v36 offset1:1
	s_add_i32 s7, s26, s7
	s_lshl_b32 s7, s7, 3
	v_mov_b32_e32 v11, s7
	v_fma_f64 v[42:43], -v[8:9], v[52:53], v[6:7]
	ds_read2_b64 v[6:9], v10 offset1:1
	ds_read2_b64 v[36:39], v11 offset1:1
	s_waitcnt lgkmcnt(4)
	v_fma_f64 v[10:11], -v[20:21], v[46:47], v[30:31]
	s_add_i32 s6, s6, s26
	s_waitcnt lgkmcnt(3)
	v_fma_f64 v[4:5], -v[26:27], v[4:5], v[10:11]
	s_lshl_b32 s6, s6, 3
	s_waitcnt lgkmcnt(2)
	v_fma_f64 v[4:5], -v[24:25], v[50:51], v[4:5]
	s_addk_i32 s6, 0xf880
	v_fma_f64 v[0:1], -v[14:15], v[0:1], v[42:43]
	s_waitcnt lgkmcnt(1)
	v_fma_f64 v[4:5], -v[18:19], v[8:9], v[4:5]
	v_mov_b32_e32 v8, s6
	v_fma_f64 v[0:1], -v[12:13], v[56:57], v[0:1]
	ds_read2_b64 v[8:11], v8 offset1:1
	s_add_i32 s6, s19, 0xfffff780
	v_fma_f64 v[0:1], -v[22:23], v[40:41], v[0:1]
	v_mov_b32_e32 v14, s6
	ds_read_b64 v[14:15], v14
	v_fma_f64 v[0:1], -v[20:21], v[44:45], v[0:1]
	v_fma_f64 v[0:1], -v[26:27], v[2:3], v[0:1]
	;; [unrolled: 1-line block ×3, first 2 shown]
	s_waitcnt lgkmcnt(2)
	v_fma_f64 v[4:5], -v[16:17], v[38:39], v[4:5]
	v_fma_f64 v[0:1], -v[18:19], v[6:7], v[0:1]
	s_waitcnt lgkmcnt(1)
	v_mul_f64 v[4:5], v[4:5], v[10:11]
	v_fma_f64 v[0:1], -v[16:17], v[36:37], v[0:1]
	v_fma_f64 v[0:1], -v[4:5], v[8:9], v[0:1]
	s_waitcnt lgkmcnt(0)
	v_mul_f64 v[2:3], v[0:1], v[14:15]
	s_sub_i32 s6, s16, 17
	global_store_dwordx4 v[28:29], v[2:5], off offset:-128
	s_cmp_gt_i32 s6, -1
	s_cbranch_scc1 .LBB83_43
	s_branch .LBB83_65
.LBB83_42:
	s_mov_b32 s6, s18
	s_cmp_gt_i32 s6, -1
	s_cbranch_scc0 .LBB83_65
.LBB83_43:
	s_cmp_lt_u32 s6, 11
	s_cbranch_scc1 .LBB83_48
; %bb.44:
	s_mov_b32 s7, 0
	s_lshl_b64 s[8:9], s[6:7], 3
	v_mov_b32_e32 v1, s9
	v_add_co_u32_e32 v0, vcc, s8, v32
	v_addc_co_u32_e32 v1, vcc, v33, v1, vcc
	global_load_dwordx4 v[2:5], v[0:1], off offset:-8
	global_load_dwordx4 v[6:9], v[0:1], off offset:-24
	;; [unrolled: 1-line block ×6, first 2 shown]
	s_cmp_le_i32 s18, s6
	s_waitcnt vmcnt(5)
	v_mul_f64 v[22:23], v[4:5], s[0:1]
	v_mul_f64 v[18:19], v[2:3], s[0:1]
	s_waitcnt vmcnt(4)
	v_mul_f64 v[2:3], v[8:9], s[0:1]
	v_mul_f64 v[26:27], v[6:7], s[0:1]
	;; [unrolled: 3-line block ×6, first 2 shown]
	s_cbranch_scc1 .LBB83_47
; %bb.45:
	s_lshl_b32 s7, s16, 7
	s_lshl_b32 s8, s6, 3
	s_add_i32 s7, s7, s8
	s_ashr_i32 s19, s18, 31
	s_addk_i32 s7, 0xff28
	s_lshl_b64 s[8:9], s[18:19], 3
	s_add_u32 s8, s10, s8
	s_addc_u32 s9, s11, s9
	s_add_u32 s8, s8, s4
	s_addc_u32 s9, s9, s5
	;; [unrolled: 2-line block ×3, first 2 shown]
	v_mov_b32_e32 v25, s9
	v_add_co_u32_e32 v24, vcc, s8, v34
	v_addc_co_u32_e32 v25, vcc, v25, v35, vcc
	s_mov_b32 s8, s18
.LBB83_46:                              ; =>This Inner Loop Header: Depth=1
	global_load_dwordx2 v[56:57], v[24:25], off
	v_mov_b32_e32 v52, s7
	ds_read2_b64 v[28:31], v52 offset0:10 offset1:11
	ds_read2_b64 v[36:39], v52 offset0:8 offset1:9
	ds_read2_b64 v[40:43], v52 offset0:6 offset1:7
	ds_read2_b64 v[44:47], v52 offset0:4 offset1:5
	ds_read2_b64 v[48:51], v52 offset0:2 offset1:3
	ds_read2_b64 v[52:55], v52 offset1:1
	s_add_i32 s8, s8, -1
	s_addk_i32 s7, 0xff80
	v_add_co_u32_e32 v24, vcc, -8, v24
	v_addc_co_u32_e32 v25, vcc, -1, v25, vcc
	s_cmp_gt_i32 s8, s6
	s_waitcnt vmcnt(0) lgkmcnt(5)
	v_fma_f64 v[22:23], -v[56:57], v[30:31], v[22:23]
	v_fma_f64 v[18:19], -v[56:57], v[28:29], v[18:19]
	s_waitcnt lgkmcnt(4)
	v_fma_f64 v[2:3], -v[56:57], v[38:39], v[2:3]
	v_fma_f64 v[26:27], -v[56:57], v[36:37], v[26:27]
	s_waitcnt lgkmcnt(3)
	;; [unrolled: 3-line block ×5, first 2 shown]
	v_fma_f64 v[14:15], -v[56:57], v[54:55], v[14:15]
	v_fma_f64 v[12:13], -v[56:57], v[52:53], v[12:13]
	s_cbranch_scc1 .LBB83_46
.LBB83_47:
	s_add_i32 s14, s6, -1
	s_lshl_b32 s9, s6, 4
	s_add_i32 s7, s14, s9
	s_lshl_b32 s7, s7, 3
	s_mul_i32 s8, s6, 0x88
	v_mov_b32_e32 v24, s7
	ds_read2_b64 v[28:31], v24 offset1:1
	s_add_i32 s7, s8, 0xffffff78
	v_mov_b32_e32 v24, s7
	ds_read_b64 v[36:37], v24
	s_ashr_i32 s7, s6, 31
	s_waitcnt lgkmcnt(1)
	v_mul_f64 v[24:25], v[22:23], v[30:31]
	global_store_dwordx2 v[0:1], v[24:25], off
	v_fma_f64 v[0:1], -v[24:25], v[28:29], v[18:19]
	s_lshl_b64 s[12:13], s[6:7], 3
	s_waitcnt lgkmcnt(0)
	v_mul_f64 v[22:23], v[0:1], v[36:37]
	v_mov_b32_e32 v0, s13
	s_add_i32 s13, s6, -3
	s_add_i32 s7, s13, s9
	v_add_co_u32_e32 v18, vcc, s12, v32
	s_lshl_b32 s7, s7, 3
	v_addc_co_u32_e32 v19, vcc, v33, v0, vcc
	v_mov_b32_e32 v0, s7
	s_lshl_b32 s7, s14, 4
	s_add_i32 s12, s13, s7
	ds_read2_b64 v[28:31], v0 offset1:1
	s_lshl_b32 s12, s12, 3
	v_mov_b32_e32 v0, s12
	s_sub_i32 s12, s9, 32
	s_add_i32 s14, s13, s12
	ds_read2_b64 v[36:39], v0 offset1:1
	s_lshl_b32 s14, s14, 3
	v_mov_b32_e32 v0, s14
	s_waitcnt lgkmcnt(1)
	v_fma_f64 v[30:31], -v[24:25], v[30:31], v[2:3]
	ds_read2_b64 v[0:3], v0 offset1:1
	s_add_i32 s14, s8, 0xfffffe68
	s_add_i32 s15, s6, -5
	s_waitcnt lgkmcnt(1)
	v_fma_f64 v[30:31], -v[22:23], v[38:39], v[30:31]
	v_mov_b32_e32 v38, s14
	ds_read_b64 v[40:41], v38
	s_add_i32 s14, s15, s9
	v_fma_f64 v[26:27], -v[24:25], v[28:29], v[26:27]
	s_lshl_b32 s14, s14, 3
	s_waitcnt lgkmcnt(1)
	v_mul_f64 v[2:3], v[30:31], v[2:3]
	v_fma_f64 v[30:31], -v[22:23], v[36:37], v[26:27]
	v_mov_b32_e32 v26, s14
	s_add_i32 s14, s15, s7
	s_lshl_b32 s14, s14, 3
	global_store_dwordx2 v[18:19], v[22:23], off offset:-8
	v_mov_b32_e32 v36, s14
	ds_read2_b64 v[26:29], v26 offset1:1
	ds_read2_b64 v[36:39], v36 offset1:1
	s_add_i32 s14, s15, s12
	s_lshl_b32 s14, s14, 3
	s_lshl_b32 s13, s13, 4
	s_waitcnt lgkmcnt(1)
	v_fma_f64 v[6:7], -v[24:25], v[28:29], v[6:7]
	v_mov_b32_e32 v28, s14
	v_fma_f64 v[0:1], -v[2:3], v[0:1], v[30:31]
	ds_read2_b64 v[28:31], v28 offset1:1
	s_add_i32 s14, s15, s13
	s_lshl_b32 s14, s14, 3
	s_waitcnt lgkmcnt(1)
	v_fma_f64 v[6:7], -v[22:23], v[38:39], v[6:7]
	v_mov_b32_e32 v38, s14
	s_sub_i32 s14, s9, 64
	s_add_i32 s17, s15, s14
	s_lshl_b32 s17, s17, 3
	v_mul_f64 v[0:1], v[0:1], v[40:41]
	ds_read2_b64 v[38:41], v38 offset1:1
	s_waitcnt lgkmcnt(1)
	v_fma_f64 v[6:7], -v[2:3], v[30:31], v[6:7]
	v_mov_b32_e32 v30, s17
	s_add_i32 s17, s8, 0xfffffd58
	s_add_i32 s20, s6, -7
	ds_read2_b64 v[42:45], v30 offset1:1
	v_mov_b32_e32 v30, s17
	s_add_i32 s17, s20, s9
	s_lshl_b32 s17, s17, 3
	v_fma_f64 v[4:5], -v[24:25], v[26:27], v[4:5]
	v_mov_b32_e32 v26, s17
	s_add_i32 s17, s20, s7
	v_fma_f64 v[4:5], -v[22:23], v[36:37], v[4:5]
	s_lshl_b32 s17, s17, 3
	global_store_dwordx4 v[18:19], v[0:3], off offset:-24
	v_fma_f64 v[4:5], -v[2:3], v[28:29], v[4:5]
	v_mov_b32_e32 v36, s17
	ds_read_b64 v[30:31], v30
	s_waitcnt lgkmcnt(2)
	v_fma_f64 v[4:5], -v[0:1], v[38:39], v[4:5]
	ds_read2_b64 v[26:29], v26 offset1:1
	ds_read2_b64 v[36:39], v36 offset1:1
	s_add_i32 s17, s20, s12
	s_lshl_b32 s17, s17, 3
	v_fma_f64 v[6:7], -v[0:1], v[40:41], v[6:7]
	s_waitcnt lgkmcnt(1)
	v_fma_f64 v[10:11], -v[24:25], v[28:29], v[10:11]
	v_mov_b32_e32 v28, s17
	s_add_i32 s17, s20, s13
	s_lshl_b32 s17, s17, 3
	s_waitcnt lgkmcnt(0)
	v_fma_f64 v[10:11], -v[22:23], v[38:39], v[10:11]
	v_mov_b32_e32 v38, s17
	s_add_i32 s17, s20, s14
	v_mul_f64 v[6:7], v[6:7], v[44:45]
	s_lshl_b32 s17, s17, 3
	v_fma_f64 v[4:5], -v[6:7], v[42:43], v[4:5]
	v_mov_b32_e32 v42, s17
	s_lshl_b32 s17, s15, 4
	v_mul_f64 v[4:5], v[4:5], v[30:31]
	s_add_i32 s15, s20, s17
	global_store_dwordx4 v[18:19], v[4:7], off offset:-40
	s_lshl_b32 s15, s15, 3
	ds_read2_b64 v[28:31], v28 offset1:1
	ds_read2_b64 v[38:41], v38 offset1:1
	v_mov_b32_e32 v46, s15
	s_add_i32 s15, s8, 0xfffffcd0
	s_add_i32 s19, s9, 0xffffffa0
	v_mov_b32_e32 v50, s15
	s_add_i32 s15, s20, s19
	ds_read2_b64 v[42:45], v42 offset1:1
	ds_read2_b64 v[46:49], v46 offset1:1
	s_lshl_b32 s15, s15, 3
	ds_read_b64 v[50:51], v50
	v_fma_f64 v[8:9], -v[24:25], v[26:27], v[8:9]
	v_mov_b32_e32 v26, s15
	s_waitcnt lgkmcnt(4)
	v_fma_f64 v[10:11], -v[2:3], v[30:31], v[10:11]
	v_fma_f64 v[8:9], -v[22:23], v[36:37], v[8:9]
	ds_read_b64 v[26:27], v26
	s_waitcnt lgkmcnt(4)
	v_fma_f64 v[10:11], -v[0:1], v[40:41], v[10:11]
	v_fma_f64 v[8:9], -v[2:3], v[28:29], v[8:9]
	s_add_i32 s15, s8, 0xfffffc48
	s_waitcnt lgkmcnt(3)
	v_fma_f64 v[10:11], -v[6:7], v[44:45], v[10:11]
	v_mov_b32_e32 v28, s15
	v_fma_f64 v[8:9], -v[0:1], v[38:39], v[8:9]
	s_add_i32 s15, s6, -9
	s_waitcnt lgkmcnt(2)
	v_fma_f64 v[10:11], -v[4:5], v[48:49], v[10:11]
	v_fma_f64 v[8:9], -v[6:7], v[42:43], v[8:9]
	s_add_i32 s21, s15, s9
	s_waitcnt lgkmcnt(1)
	v_mul_f64 v[10:11], v[10:11], v[50:51]
	ds_read_b64 v[28:29], v28
	v_fma_f64 v[8:9], -v[4:5], v[46:47], v[8:9]
	s_lshl_b32 s21, s21, 3
	s_waitcnt lgkmcnt(1)
	v_fma_f64 v[8:9], -v[10:11], v[26:27], v[8:9]
	v_mov_b32_e32 v26, s21
	s_add_i32 s21, s15, s7
	s_lshl_b32 s21, s21, 3
	v_mov_b32_e32 v30, s21
	s_add_i32 s21, s15, s12
	s_lshl_b32 s21, s21, 3
	s_waitcnt lgkmcnt(0)
	v_mul_f64 v[8:9], v[8:9], v[28:29]
	ds_read2_b64 v[26:29], v26 offset1:1
	ds_read2_b64 v[36:39], v30 offset1:1
	v_mov_b32_e32 v30, s21
	s_add_i32 s21, s15, s13
	s_lshl_b32 s21, s21, 3
	v_mov_b32_e32 v31, s21
	s_add_i32 s21, s15, s14
	ds_read2_b64 v[40:43], v30 offset1:1
	ds_read2_b64 v[44:47], v31 offset1:1
	s_lshl_b32 s21, s21, 3
	s_waitcnt lgkmcnt(3)
	v_fma_f64 v[20:21], -v[24:25], v[28:29], v[20:21]
	v_mov_b32_e32 v28, s21
	s_add_i32 s21, s15, s17
	s_lshl_b32 s21, s21, 3
	s_waitcnt lgkmcnt(2)
	v_fma_f64 v[20:21], -v[22:23], v[38:39], v[20:21]
	v_mov_b32_e32 v38, s21
	s_add_i32 s21, s15, s19
	global_store_dwordx4 v[18:19], v[8:11], off offset:-56
	s_waitcnt lgkmcnt(1)
	v_fma_f64 v[20:21], -v[2:3], v[42:43], v[20:21]
	s_lshl_b32 s21, s21, 3
	s_lshl_b32 s20, s20, 4
	s_waitcnt lgkmcnt(0)
	v_fma_f64 v[20:21], -v[0:1], v[46:47], v[20:21]
	ds_read2_b64 v[28:31], v28 offset1:1
	ds_read2_b64 v[46:49], v38 offset1:1
	v_mov_b32_e32 v38, s21
	s_add_i32 s21, s15, s20
	s_lshl_b32 s21, s21, 3
	v_mov_b32_e32 v39, s21
	s_add_i32 s21, s8, 0xfffffbc0
	ds_read2_b64 v[50:53], v38 offset1:1
	ds_read2_b64 v[54:57], v39 offset1:1
	v_fma_f64 v[16:17], -v[24:25], v[26:27], v[16:17]
	v_mov_b32_e32 v26, s21
	ds_read_b64 v[26:27], v26
	s_waitcnt lgkmcnt(4)
	v_fma_f64 v[20:21], -v[6:7], v[30:31], v[20:21]
	s_waitcnt lgkmcnt(3)
	v_fma_f64 v[20:21], -v[4:5], v[48:49], v[20:21]
	s_add_i32 s21, s9, 0xffffff80
	s_waitcnt lgkmcnt(2)
	v_fma_f64 v[20:21], -v[10:11], v[52:53], v[20:21]
	s_add_i32 s22, s15, s21
	s_waitcnt lgkmcnt(1)
	v_fma_f64 v[20:21], -v[8:9], v[56:57], v[20:21]
	v_fma_f64 v[16:17], -v[22:23], v[36:37], v[16:17]
	s_lshl_b32 s22, s22, 3
	s_waitcnt lgkmcnt(0)
	v_mul_f64 v[30:31], v[20:21], v[26:27]
	v_fma_f64 v[16:17], -v[2:3], v[40:41], v[16:17]
	v_mov_b32_e32 v20, s22
	s_add_i32 s22, s8, 0xfffffb38
	v_fma_f64 v[16:17], -v[0:1], v[44:45], v[16:17]
	ds_read_b64 v[20:21], v20
	v_mov_b32_e32 v26, s22
	v_fma_f64 v[16:17], -v[6:7], v[28:29], v[16:17]
	ds_read_b64 v[26:27], v26
	v_fma_f64 v[16:17], -v[4:5], v[46:47], v[16:17]
	v_fma_f64 v[16:17], -v[10:11], v[50:51], v[16:17]
	s_add_i32 s22, s6, -11
	v_fma_f64 v[16:17], -v[8:9], v[54:55], v[16:17]
	s_add_i32 s9, s22, s9
	s_waitcnt lgkmcnt(1)
	v_fma_f64 v[16:17], -v[30:31], v[20:21], v[16:17]
	s_lshl_b32 s9, s9, 3
	s_waitcnt lgkmcnt(0)
	v_mul_f64 v[28:29], v[16:17], v[26:27]
	v_mov_b32_e32 v16, s9
	ds_read2_b64 v[36:39], v16 offset1:1
	s_add_i32 s7, s22, s7
	s_lshl_b32 s7, s7, 3
	v_mov_b32_e32 v16, s7
	s_add_i32 s7, s22, s12
	s_lshl_b32 s7, s7, 3
	s_waitcnt lgkmcnt(0)
	v_fma_f64 v[20:21], -v[24:25], v[38:39], v[14:15]
	v_mov_b32_e32 v14, s7
	s_add_i32 s7, s22, s13
	s_lshl_b32 s7, s7, 3
	ds_read2_b64 v[40:43], v16 offset1:1
	v_mov_b32_e32 v26, s7
	s_add_i32 s7, s22, s14
	global_store_dwordx4 v[18:19], v[28:31], off offset:-72
	s_lshl_b32 s7, s7, 3
	ds_read2_b64 v[14:17], v14 offset1:1
	ds_read2_b64 v[44:47], v26 offset1:1
	v_mov_b32_e32 v26, s7
	s_add_i32 s7, s22, s17
	s_lshl_b32 s7, s7, 3
	v_mov_b32_e32 v27, s7
	s_add_i32 s7, s22, s19
	ds_read2_b64 v[48:51], v26 offset1:1
	ds_read2_b64 v[52:55], v27 offset1:1
	s_waitcnt lgkmcnt(4)
	v_fma_f64 v[20:21], -v[22:23], v[42:43], v[20:21]
	s_lshl_b32 s7, s7, 3
	s_waitcnt lgkmcnt(3)
	v_fma_f64 v[16:17], -v[2:3], v[16:17], v[20:21]
	v_mov_b32_e32 v20, s7
	s_add_i32 s7, s22, s20
	s_lshl_b32 s7, s7, 3
	s_waitcnt lgkmcnt(2)
	v_fma_f64 v[16:17], -v[0:1], v[46:47], v[16:17]
	v_mov_b32_e32 v21, s7
	s_add_i32 s7, s22, s21
	s_waitcnt lgkmcnt(1)
	v_fma_f64 v[16:17], -v[6:7], v[50:51], v[16:17]
	s_lshl_b32 s7, s7, 3
	s_waitcnt lgkmcnt(0)
	v_fma_f64 v[16:17], -v[4:5], v[54:55], v[16:17]
	ds_read2_b64 v[54:57], v20 offset1:1
	ds_read2_b64 v[58:61], v21 offset1:1
	v_mov_b32_e32 v20, s7
	s_lshl_b32 s7, s15, 4
	v_fma_f64 v[12:13], -v[24:25], v[36:37], v[12:13]
	s_add_i32 s22, s22, s7
	s_lshl_b32 s7, s22, 3
	v_fma_f64 v[36:37], -v[22:23], v[40:41], v[12:13]
	v_mov_b32_e32 v24, s7
	s_add_i32 s7, s8, 0xfffffab0
	v_fma_f64 v[2:3], -v[2:3], v[14:15], v[36:37]
	ds_read2_b64 v[20:23], v20 offset1:1
	ds_read2_b64 v[24:27], v24 offset1:1
	v_mov_b32_e32 v12, s7
	v_fma_f64 v[0:1], -v[0:1], v[44:45], v[2:3]
	s_add_i32 s7, s9, 0xfffffb00
	ds_read_b64 v[12:13], v12
	v_fma_f64 v[0:1], -v[6:7], v[48:49], v[0:1]
	v_mov_b32_e32 v2, s7
	s_add_i32 s7, s8, 0xfffffa28
	s_waitcnt lgkmcnt(4)
	v_fma_f64 v[16:17], -v[10:11], v[56:57], v[16:17]
	v_fma_f64 v[0:1], -v[4:5], v[52:53], v[0:1]
	v_mov_b32_e32 v4, s7
	s_waitcnt lgkmcnt(3)
	v_fma_f64 v[16:17], -v[8:9], v[60:61], v[16:17]
	v_fma_f64 v[0:1], -v[10:11], v[54:55], v[0:1]
	ds_read_b64 v[2:3], v2
	ds_read_b64 v[4:5], v4
	s_waitcnt lgkmcnt(4)
	v_fma_f64 v[16:17], -v[30:31], v[22:23], v[16:17]
	v_fma_f64 v[0:1], -v[8:9], v[58:59], v[0:1]
	s_waitcnt lgkmcnt(3)
	v_fma_f64 v[16:17], -v[28:29], v[26:27], v[16:17]
	v_fma_f64 v[0:1], -v[30:31], v[20:21], v[0:1]
	s_waitcnt lgkmcnt(2)
	v_mul_f64 v[12:13], v[16:17], v[12:13]
	v_fma_f64 v[0:1], -v[28:29], v[24:25], v[0:1]
	s_waitcnt lgkmcnt(1)
	v_fma_f64 v[0:1], -v[12:13], v[2:3], v[0:1]
	s_waitcnt lgkmcnt(0)
	v_mul_f64 v[10:11], v[0:1], v[4:5]
	s_add_i32 s6, s6, -12
	global_store_dwordx4 v[18:19], v[10:13], off offset:-88
.LBB83_48:
	s_cmp_lt_i32 s6, 0
	s_cbranch_scc1 .LBB83_65
; %bb.49:
	s_add_i32 s7, s6, 1
	s_and_b32 s7, s7, 3
	s_cmp_eq_u32 s7, 0
	s_mov_b32 s8, s6
	s_cbranch_scc1 .LBB83_54
; %bb.50:
	s_lshl_b32 s8, s16, 7
	s_lshl_b32 s9, s6, 3
	s_add_i32 s8, s8, s9
	s_ashr_i32 s19, s18, 31
	s_add_i32 s12, s8, 0xffffff80
	s_lshl_b64 s[8:9], s[18:19], 3
	s_add_u32 s8, s10, s8
	s_addc_u32 s9, s11, s9
	s_add_u32 s8, s8, s4
	s_addc_u32 s9, s9, s5
	;; [unrolled: 2-line block ×3, first 2 shown]
	v_mov_b32_e32 v1, s9
	v_add_co_u32_e32 v0, vcc, s8, v34
	s_mov_b32 s9, 0
	v_addc_co_u32_e32 v1, vcc, v1, v35, vcc
	s_mov_b32 s8, s6
	s_mov_b32 s13, s9
	s_branch .LBB83_52
.LBB83_51:                              ;   in Loop: Header=BB83_52 Depth=1
	s_mul_i32 s14, s8, 0x88
	v_mov_b32_e32 v4, s14
	ds_read_b64 v[4:5], v4
	s_ashr_i32 s15, s8, 31
	s_mov_b32 s14, s8
	s_lshl_b64 s[14:15], s[14:15], 3
	v_mov_b32_e32 v6, s15
	s_waitcnt lgkmcnt(0)
	v_mul_f64 v[2:3], v[2:3], v[4:5]
	v_add_co_u32_e32 v4, vcc, s14, v32
	s_add_i32 s8, s8, -1
	s_add_i32 s13, s13, 1
	s_add_i32 s12, s12, -8
	v_addc_co_u32_e32 v5, vcc, v33, v6, vcc
	s_cmp_lg_u32 s13, s7
	global_store_dwordx2 v[4:5], v[2:3], off
	s_cbranch_scc0 .LBB83_54
.LBB83_52:                              ; =>This Loop Header: Depth=1
                                        ;     Child Loop BB83_53 Depth 2
	s_lshl_b64 s[14:15], s[8:9], 3
	v_mov_b32_e32 v3, s15
	v_add_co_u32_e32 v2, vcc, s14, v32
	v_addc_co_u32_e32 v3, vcc, v33, v3, vcc
	global_load_dwordx2 v[2:3], v[2:3], off
	v_pk_mov_b32 v[4:5], v[0:1], v[0:1] op_sel:[0,1]
	s_mov_b32 s14, s12
	s_cmp_le_i32 s18, s8
	s_mov_b32 s15, s18
	s_waitcnt vmcnt(0)
	v_mul_f64 v[2:3], v[2:3], s[0:1]
	s_cbranch_scc1 .LBB83_51
.LBB83_53:                              ;   Parent Loop BB83_52 Depth=1
                                        ; =>  This Inner Loop Header: Depth=2
	global_load_dwordx2 v[6:7], v[4:5], off
	v_mov_b32_e32 v8, s14
	ds_read_b64 v[8:9], v8
	s_add_i32 s15, s15, -1
	s_addk_i32 s14, 0xff80
	v_add_co_u32_e32 v4, vcc, -8, v4
	v_addc_co_u32_e32 v5, vcc, -1, v5, vcc
	s_cmp_gt_i32 s15, s8
	s_waitcnt vmcnt(0) lgkmcnt(0)
	v_fma_f64 v[2:3], -v[6:7], v[8:9], v[2:3]
	s_cbranch_scc1 .LBB83_53
	s_branch .LBB83_51
.LBB83_54:
	s_cmp_lt_u32 s6, 3
	s_cbranch_scc1 .LBB83_65
; %bb.55:
	s_lshl_b32 s6, s16, 7
	s_lshl_b32 s7, s8, 3
	s_add_i32 s7, s6, s7
	s_ashr_i32 s19, s18, 31
	s_add_i32 s6, s7, 0xffffff80
	s_lshl_b64 s[12:13], s[18:19], 3
	s_add_u32 s9, s10, s12
	s_addc_u32 s10, s11, s13
	s_add_u32 s4, s9, s4
	s_addc_u32 s5, s10, s5
	;; [unrolled: 2-line block ×3, first 2 shown]
	v_mov_b32_e32 v1, s3
	v_add_co_u32_e32 v0, vcc, s2, v34
	v_addc_co_u32_e32 v1, vcc, v1, v35, vcc
	s_add_i32 s4, s7, 0xffffff78
	s_add_i32 s5, s7, 0xffffff70
	s_addk_i32 s7, 0xff68
	s_mov_b32 s9, 0
	s_branch .LBB83_57
.LBB83_56:                              ;   in Loop: Header=BB83_57 Depth=1
	s_add_i32 s2, s3, 0xffffff78
	v_mov_b32_e32 v6, s2
	ds_read_b64 v[6:7], v6
	s_add_i32 s2, s8, -4
	s_sub_i32 s6, s6, 32
	s_sub_i32 s4, s4, 32
	;; [unrolled: 1-line block ×4, first 2 shown]
	s_waitcnt lgkmcnt(0)
	v_mul_f64 v[4:5], v[4:5], v[6:7]
	s_cmp_lt_i32 s8, 4
	s_mov_b32 s8, s2
	global_store_dwordx2 v[2:3], v[4:5], off offset:-24
	s_cbranch_scc1 .LBB83_65
.LBB83_57:                              ; =>This Loop Header: Depth=1
                                        ;     Child Loop BB83_58 Depth 2
                                        ;     Child Loop BB83_60 Depth 2
	;; [unrolled: 1-line block ×4, first 2 shown]
	s_lshl_b64 s[2:3], s[8:9], 3
	v_mov_b32_e32 v3, s3
	v_add_co_u32_e32 v2, vcc, s2, v32
	v_addc_co_u32_e32 v3, vcc, v33, v3, vcc
	global_load_dwordx2 v[4:5], v[2:3], off
	v_pk_mov_b32 v[2:3], v[0:1], v[0:1] op_sel:[0,1]
	s_mov_b32 s2, s6
	s_cmp_le_i32 s18, s8
	s_mov_b32 s3, s18
	s_waitcnt vmcnt(0)
	v_mul_f64 v[4:5], v[4:5], s[0:1]
	s_cbranch_scc1 .LBB83_59
.LBB83_58:                              ;   Parent Loop BB83_57 Depth=1
                                        ; =>  This Inner Loop Header: Depth=2
	global_load_dwordx2 v[6:7], v[2:3], off
	v_mov_b32_e32 v8, s2
	ds_read_b64 v[8:9], v8
	s_add_i32 s3, s3, -1
	s_addk_i32 s2, 0xff80
	v_add_co_u32_e32 v2, vcc, -8, v2
	v_addc_co_u32_e32 v3, vcc, -1, v3, vcc
	s_cmp_gt_i32 s3, s8
	s_waitcnt vmcnt(0) lgkmcnt(0)
	v_fma_f64 v[4:5], -v[6:7], v[8:9], v[4:5]
	s_cbranch_scc1 .LBB83_58
.LBB83_59:                              ;   in Loop: Header=BB83_57 Depth=1
	s_add_i32 s2, s8, -1
	s_mov_b32 s3, s9
	s_lshl_b64 s[2:3], s[2:3], 3
	v_mov_b32_e32 v3, s3
	v_add_co_u32_e32 v2, vcc, s2, v32
	v_addc_co_u32_e32 v3, vcc, v33, v3, vcc
	global_load_dwordx2 v[8:9], v[2:3], off
	s_mul_i32 s10, s8, 0x88
	v_mov_b32_e32 v2, s10
	ds_read_b64 v[10:11], v2
	s_ashr_i32 s13, s8, 31
	s_mov_b32 s12, s8
	s_lshl_b64 s[12:13], s[12:13], 3
	v_mov_b32_e32 v3, s13
	v_add_co_u32_e32 v2, vcc, s12, v32
	v_addc_co_u32_e32 v3, vcc, v33, v3, vcc
	s_waitcnt lgkmcnt(0)
	v_mul_f64 v[4:5], v[4:5], v[10:11]
	v_pk_mov_b32 v[6:7], v[0:1], v[0:1] op_sel:[0,1]
	s_mov_b32 s2, s4
	s_cmp_lt_i32 s18, s8
	global_store_dwordx2 v[2:3], v[4:5], off
	s_mov_b32 s3, s16
	s_waitcnt vmcnt(1)
	v_mul_f64 v[4:5], v[8:9], s[0:1]
	s_cbranch_scc1 .LBB83_61
.LBB83_60:                              ;   Parent Loop BB83_57 Depth=1
                                        ; =>  This Inner Loop Header: Depth=2
	global_load_dwordx2 v[8:9], v[6:7], off
	v_mov_b32_e32 v10, s2
	ds_read_b64 v[10:11], v10
	s_add_i32 s3, s3, -1
	s_addk_i32 s2, 0xff80
	v_add_co_u32_e32 v6, vcc, -8, v6
	v_addc_co_u32_e32 v7, vcc, -1, v7, vcc
	s_cmp_gt_i32 s3, s8
	s_waitcnt vmcnt(0) lgkmcnt(0)
	v_fma_f64 v[4:5], -v[8:9], v[10:11], v[4:5]
	s_cbranch_scc1 .LBB83_60
.LBB83_61:                              ;   in Loop: Header=BB83_57 Depth=1
	s_add_i32 s2, s8, -2
	s_mov_b32 s3, s9
	s_lshl_b64 s[12:13], s[2:3], 3
	v_mov_b32_e32 v7, s13
	v_add_co_u32_e32 v6, vcc, s12, v32
	v_addc_co_u32_e32 v7, vcc, v33, v7, vcc
	global_load_dwordx2 v[8:9], v[6:7], off
	s_addk_i32 s10, 0xff78
	v_mov_b32_e32 v6, s10
	ds_read_b64 v[10:11], v6
	v_pk_mov_b32 v[6:7], v[0:1], v[0:1] op_sel:[0,1]
	s_mov_b32 s3, s5
	s_cmp_le_i32 s18, s2
	s_mov_b32 s11, s18
	s_waitcnt lgkmcnt(0)
	v_mul_f64 v[4:5], v[4:5], v[10:11]
	global_store_dwordx2 v[2:3], v[4:5], off offset:-8
	s_waitcnt vmcnt(1)
	v_mul_f64 v[4:5], v[8:9], s[0:1]
	s_cbranch_scc1 .LBB83_63
.LBB83_62:                              ;   Parent Loop BB83_57 Depth=1
                                        ; =>  This Inner Loop Header: Depth=2
	global_load_dwordx2 v[8:9], v[6:7], off
	v_mov_b32_e32 v10, s3
	ds_read_b64 v[10:11], v10
	s_add_i32 s11, s11, -1
	s_addk_i32 s3, 0xff80
	v_add_co_u32_e32 v6, vcc, -8, v6
	v_addc_co_u32_e32 v7, vcc, -1, v7, vcc
	s_cmp_gt_i32 s11, s2
	s_waitcnt vmcnt(0) lgkmcnt(0)
	v_fma_f64 v[4:5], -v[8:9], v[10:11], v[4:5]
	s_cbranch_scc1 .LBB83_62
.LBB83_63:                              ;   in Loop: Header=BB83_57 Depth=1
	s_add_i32 s2, s8, -3
	s_mov_b32 s3, s9
	s_lshl_b64 s[12:13], s[2:3], 3
	v_mov_b32_e32 v7, s13
	v_add_co_u32_e32 v6, vcc, s12, v32
	v_addc_co_u32_e32 v7, vcc, v33, v7, vcc
	global_load_dwordx2 v[8:9], v[6:7], off
	s_add_i32 s3, s10, 0xffffff78
	v_mov_b32_e32 v6, s3
	ds_read_b64 v[10:11], v6
	v_pk_mov_b32 v[6:7], v[0:1], v[0:1] op_sel:[0,1]
	s_mov_b32 s10, s7
	s_cmp_le_i32 s18, s2
	s_mov_b32 s11, s18
	s_waitcnt lgkmcnt(0)
	v_mul_f64 v[4:5], v[4:5], v[10:11]
	global_store_dwordx2 v[2:3], v[4:5], off offset:-16
	s_waitcnt vmcnt(1)
	v_mul_f64 v[4:5], v[8:9], s[0:1]
	s_cbranch_scc1 .LBB83_56
.LBB83_64:                              ;   Parent Loop BB83_57 Depth=1
                                        ; =>  This Inner Loop Header: Depth=2
	global_load_dwordx2 v[8:9], v[6:7], off
	v_mov_b32_e32 v10, s10
	ds_read_b64 v[10:11], v10
	s_add_i32 s11, s11, -1
	s_addk_i32 s10, 0xff80
	v_add_co_u32_e32 v6, vcc, -8, v6
	v_addc_co_u32_e32 v7, vcc, -1, v7, vcc
	s_cmp_gt_i32 s11, s2
	s_waitcnt vmcnt(0) lgkmcnt(0)
	v_fma_f64 v[4:5], -v[8:9], v[10:11], v[4:5]
	s_cbranch_scc1 .LBB83_64
	s_branch .LBB83_56
.LBB83_65:
	s_endpgm
	.section	.rodata,"a",@progbits
	.p2align	6, 0x0
	.amdhsa_kernel _ZL30rocblas_trsm_small_left_deviceILi16ELi16ELb0EddPKdPdEv13rocblas_fill_18rocblas_operation_17rocblas_diagonal_iiT3_T4_lilT5_lili
		.amdhsa_group_segment_fixed_size 2048
		.amdhsa_private_segment_fixed_size 0
		.amdhsa_kernarg_size 360
		.amdhsa_user_sgpr_count 6
		.amdhsa_user_sgpr_private_segment_buffer 1
		.amdhsa_user_sgpr_dispatch_ptr 0
		.amdhsa_user_sgpr_queue_ptr 0
		.amdhsa_user_sgpr_kernarg_segment_ptr 1
		.amdhsa_user_sgpr_dispatch_id 0
		.amdhsa_user_sgpr_flat_scratch_init 0
		.amdhsa_user_sgpr_kernarg_preload_length 0
		.amdhsa_user_sgpr_kernarg_preload_offset 0
		.amdhsa_user_sgpr_private_segment_size 0
		.amdhsa_uses_dynamic_stack 0
		.amdhsa_system_sgpr_private_segment_wavefront_offset 0
		.amdhsa_system_sgpr_workgroup_id_x 1
		.amdhsa_system_sgpr_workgroup_id_y 0
		.amdhsa_system_sgpr_workgroup_id_z 1
		.amdhsa_system_sgpr_workgroup_info 0
		.amdhsa_system_vgpr_workitem_id 0
		.amdhsa_next_free_vgpr 68
		.amdhsa_next_free_sgpr 37
		.amdhsa_accum_offset 68
		.amdhsa_reserve_vcc 1
		.amdhsa_reserve_flat_scratch 0
		.amdhsa_float_round_mode_32 0
		.amdhsa_float_round_mode_16_64 0
		.amdhsa_float_denorm_mode_32 3
		.amdhsa_float_denorm_mode_16_64 3
		.amdhsa_dx10_clamp 1
		.amdhsa_ieee_mode 1
		.amdhsa_fp16_overflow 0
		.amdhsa_tg_split 0
		.amdhsa_exception_fp_ieee_invalid_op 0
		.amdhsa_exception_fp_denorm_src 0
		.amdhsa_exception_fp_ieee_div_zero 0
		.amdhsa_exception_fp_ieee_overflow 0
		.amdhsa_exception_fp_ieee_underflow 0
		.amdhsa_exception_fp_ieee_inexact 0
		.amdhsa_exception_int_div_zero 0
	.end_amdhsa_kernel
	.section	.text._ZL30rocblas_trsm_small_left_deviceILi16ELi16ELb0EddPKdPdEv13rocblas_fill_18rocblas_operation_17rocblas_diagonal_iiT3_T4_lilT5_lili,"axG",@progbits,_ZL30rocblas_trsm_small_left_deviceILi16ELi16ELb0EddPKdPdEv13rocblas_fill_18rocblas_operation_17rocblas_diagonal_iiT3_T4_lilT5_lili,comdat
.Lfunc_end83:
	.size	_ZL30rocblas_trsm_small_left_deviceILi16ELi16ELb0EddPKdPdEv13rocblas_fill_18rocblas_operation_17rocblas_diagonal_iiT3_T4_lilT5_lili, .Lfunc_end83-_ZL30rocblas_trsm_small_left_deviceILi16ELi16ELb0EddPKdPdEv13rocblas_fill_18rocblas_operation_17rocblas_diagonal_iiT3_T4_lilT5_lili
                                        ; -- End function
	.section	.AMDGPU.csdata,"",@progbits
; Kernel info:
; codeLenInByte = 12452
; NumSgprs: 41
; NumVgprs: 68
; NumAgprs: 0
; TotalNumVgprs: 68
; ScratchSize: 0
; MemoryBound: 1
; FloatMode: 240
; IeeeMode: 1
; LDSByteSize: 2048 bytes/workgroup (compile time only)
; SGPRBlocks: 5
; VGPRBlocks: 8
; NumSGPRsForWavesPerEU: 41
; NumVGPRsForWavesPerEU: 68
; AccumOffset: 68
; Occupancy: 7
; WaveLimiterHint : 0
; COMPUTE_PGM_RSRC2:SCRATCH_EN: 0
; COMPUTE_PGM_RSRC2:USER_SGPR: 6
; COMPUTE_PGM_RSRC2:TRAP_HANDLER: 0
; COMPUTE_PGM_RSRC2:TGID_X_EN: 1
; COMPUTE_PGM_RSRC2:TGID_Y_EN: 0
; COMPUTE_PGM_RSRC2:TGID_Z_EN: 1
; COMPUTE_PGM_RSRC2:TIDIG_COMP_CNT: 0
; COMPUTE_PGM_RSRC3_GFX90A:ACCUM_OFFSET: 16
; COMPUTE_PGM_RSRC3_GFX90A:TG_SPLIT: 0
	.section	.text._ZL38rocblas_trsm_small_left_device_sharedBILi16ELi16ELb1EddPKdPdEv13rocblas_fill_18rocblas_operation_17rocblas_diagonal_iiT3_T4_lilT5_lili,"axG",@progbits,_ZL38rocblas_trsm_small_left_device_sharedBILi16ELi16ELb1EddPKdPdEv13rocblas_fill_18rocblas_operation_17rocblas_diagonal_iiT3_T4_lilT5_lili,comdat
	.globl	_ZL38rocblas_trsm_small_left_device_sharedBILi16ELi16ELb1EddPKdPdEv13rocblas_fill_18rocblas_operation_17rocblas_diagonal_iiT3_T4_lilT5_lili ; -- Begin function _ZL38rocblas_trsm_small_left_device_sharedBILi16ELi16ELb1EddPKdPdEv13rocblas_fill_18rocblas_operation_17rocblas_diagonal_iiT3_T4_lilT5_lili
	.p2align	8
	.type	_ZL38rocblas_trsm_small_left_device_sharedBILi16ELi16ELb1EddPKdPdEv13rocblas_fill_18rocblas_operation_17rocblas_diagonal_iiT3_T4_lilT5_lili,@function
_ZL38rocblas_trsm_small_left_device_sharedBILi16ELi16ELb1EddPKdPdEv13rocblas_fill_18rocblas_operation_17rocblas_diagonal_iiT3_T4_lilT5_lili: ; @_ZL38rocblas_trsm_small_left_device_sharedBILi16ELi16ELb1EddPKdPdEv13rocblas_fill_18rocblas_operation_17rocblas_diagonal_iiT3_T4_lilT5_lili
; %bb.0:
	s_load_dwordx4 s[8:11], s[4:5], 0x4
	s_load_dwordx4 s[12:15], s[4:5], 0x18
	s_load_dwordx2 s[20:21], s[4:5], 0x28
	s_load_dwordx4 s[0:3], s[4:5], 0x38
	s_load_dwordx2 s[16:17], s[4:5], 0x48
	s_waitcnt lgkmcnt(0)
	s_min_i32 s30, s10, 16
	s_mov_b32 s33, 0
	s_add_i32 s31, s30, -1
	v_cmp_gt_i32_e32 vcc, s30, v0
	s_and_saveexec_b64 s[18:19], vcc
	s_cbranch_execz .LBB84_10
; %bb.1:
	s_load_dword s22, s[4:5], 0x30
	s_mul_i32 s1, s7, s1
	s_mul_hi_u32 s24, s7, s0
	s_add_i32 s1, s24, s1
	s_mul_i32 s0, s7, s0
	s_waitcnt lgkmcnt(0)
	s_ashr_i32 s23, s22, 31
	s_cmp_lt_u32 s31, 3
	s_cbranch_scc1 .LBB84_4
; %bb.2:
	s_lshl_b64 s[24:25], s[0:1], 3
	s_add_u32 s26, s14, s24
	s_addc_u32 s27, s15, s25
	s_lshl_b64 s[24:25], s[20:21], 3
	s_add_u32 s24, s26, s24
	s_addc_u32 s25, s27, s25
	v_lshlrev_b32_e32 v1, 3, v0
	v_mov_b32_e32 v3, s25
	v_add_co_u32_e32 v2, vcc, s24, v1
	s_mul_hi_i32 s36, s22, 24
	s_lshl_b64 s[24:25], s[22:23], 5
	s_lshl_b64 s[26:27], s[22:23], 4
	;; [unrolled: 1-line block ×3, first 2 shown]
	v_addc_co_u32_e32 v3, vcc, 0, v3, vcc
	s_and_b32 s33, s30, -4
	s_mul_i32 s34, s22, 24
	s_mov_b32 s35, 0
	v_mov_b32_e32 v4, s29
	v_mov_b32_e32 v5, s27
	;; [unrolled: 1-line block ×4, first 2 shown]
.LBB84_3:                               ; =>This Inner Loop Header: Depth=1
	v_add_co_u32_e32 v10, vcc, s28, v2
	v_addc_co_u32_e32 v11, vcc, v3, v4, vcc
	v_add_co_u32_e32 v12, vcc, s26, v2
	v_addc_co_u32_e32 v13, vcc, v3, v5, vcc
	v_add_co_u32_e32 v14, vcc, s34, v2
	global_load_dwordx2 v[8:9], v[2:3], off
	v_addc_co_u32_e32 v15, vcc, v3, v6, vcc
	global_load_dwordx2 v[16:17], v[10:11], off
	global_load_dwordx2 v[18:19], v[12:13], off
	global_load_dwordx2 v[20:21], v[14:15], off
	s_add_i32 s35, s35, 4
	v_add_co_u32_e32 v2, vcc, s24, v2
	v_addc_co_u32_e32 v3, vcc, v3, v7, vcc
	s_cmp_eq_u32 s33, s35
	s_waitcnt vmcnt(2)
	ds_write2_b64 v1, v[8:9], v[16:17] offset1:16
	s_waitcnt vmcnt(0)
	ds_write2_b64 v1, v[18:19], v[20:21] offset0:32 offset1:48
	v_add_u32_e32 v1, 0x200, v1
	s_cbranch_scc0 .LBB84_3
.LBB84_4:
	s_and_b32 s24, s30, 3
	s_cmp_eq_u32 s24, 0
	s_cbranch_scc1 .LBB84_7
; %bb.5:
	s_mul_i32 s25, s23, s33
	s_mul_hi_u32 s26, s22, s33
	s_add_i32 s27, s26, s25
	s_mul_i32 s26, s22, s33
	s_lshl_b64 s[0:1], s[0:1], 3
	s_lshl_b64 s[26:27], s[26:27], 3
	s_add_u32 s25, s0, s26
	s_addc_u32 s26, s1, s27
	s_lshl_b64 s[0:1], s[20:21], 3
	s_add_u32 s0, s25, s0
	s_addc_u32 s1, s26, s1
	s_add_u32 s0, s14, s0
	v_lshlrev_b32_e32 v2, 3, v0
	s_addc_u32 s1, s15, s1
	v_lshl_or_b32 v1, s33, 7, v2
	v_mov_b32_e32 v3, s1
	v_add_co_u32_e32 v2, vcc, s0, v2
	s_lshl_b64 s[0:1], s[22:23], 3
	v_addc_co_u32_e32 v3, vcc, 0, v3, vcc
	v_mov_b32_e32 v4, s1
.LBB84_6:                               ; =>This Inner Loop Header: Depth=1
	global_load_dwordx2 v[6:7], v[2:3], off
	v_add_co_u32_e32 v2, vcc, s0, v2
	s_add_i32 s24, s24, -1
	v_addc_co_u32_e32 v3, vcc, v3, v4, vcc
	s_cmp_lg_u32 s24, 0
	s_waitcnt vmcnt(0)
	ds_write_b64 v1, v[6:7]
	v_add_u32_e32 v1, 0x80, v1
	s_cbranch_scc1 .LBB84_6
.LBB84_7:
	v_mul_u32_u24_e32 v1, 17, v0
	v_mov_b32_e32 v2, 0
	s_cmpk_lg_i32 s9, 0x84
	v_lshlrev_b32_e32 v1, 3, v1
	v_mov_b32_e32 v3, 0x3ff00000
	s_cbranch_scc0 .LBB84_9
; %bb.8:
	ds_read_b64 v[2:3], v1
	s_waitcnt lgkmcnt(0)
	v_div_scale_f64 v[4:5], s[0:1], v[2:3], v[2:3], 1.0
	v_rcp_f64_e32 v[6:7], v[4:5]
	v_div_scale_f64 v[8:9], vcc, 1.0, v[2:3], 1.0
	v_fma_f64 v[10:11], -v[4:5], v[6:7], 1.0
	v_fmac_f64_e32 v[6:7], v[6:7], v[10:11]
	v_fma_f64 v[10:11], -v[4:5], v[6:7], 1.0
	v_fmac_f64_e32 v[6:7], v[6:7], v[10:11]
	v_mul_f64 v[10:11], v[8:9], v[6:7]
	v_fma_f64 v[4:5], -v[4:5], v[10:11], v[8:9]
	v_div_fmas_f64 v[4:5], v[4:5], v[6:7], v[10:11]
	v_div_fixup_f64 v[2:3], v[4:5], v[2:3], 1.0
.LBB84_9:
	ds_write_b64 v1, v[2:3]
.LBB84_10:
	s_or_b64 exec, exec, s[18:19]
	s_load_dword s9, s[4:5], 0x68
	s_load_dword s22, s[4:5], 0x50
	s_load_dwordx2 s[0:1], s[4:5], 0x58
	s_mov_b32 s18, 0
	s_waitcnt lgkmcnt(0)
	s_ashr_i32 s23, s22, 31
	s_mul_i32 s1, s7, s1
	s_mul_hi_u32 s4, s7, s0
	s_mul_i32 s0, s7, s0
	s_add_i32 s1, s4, s1
	s_lshl_b64 s[0:1], s[0:1], 3
	s_add_u32 s7, s2, s0
	s_addc_u32 s14, s3, s1
	s_lshl_b64 s[4:5], s[16:17], 3
	s_add_u32 s16, s7, s4
	s_addc_u32 s17, s14, s5
	s_lshl_b32 s14, s6, 4
	s_add_i32 s9, s9, -1
	s_sub_i32 s7, s11, s14
	s_cmp_ge_u32 s6, s9
	s_cselect_b32 s9, s7, 16
	s_mul_hi_i32 s7, s22, s14
	s_mul_i32 s6, s22, s14
	s_ashr_i32 s15, s14, 31
	s_lshl_b64 s[6:7], s[6:7], 3
	s_add_u32 s11, s16, s6
	s_addc_u32 s24, s17, s7
	s_cmp_gt_i32 s10, 0
	v_cmp_gt_i32_e32 vcc, s9, v0
	s_cselect_b64 s[6:7], -1, 0
	s_and_b64 s[6:7], vcc, s[6:7]
	s_and_saveexec_b64 s[16:17], s[6:7]
	s_cbranch_execz .LBB84_17
; %bb.11:
	s_cmp_lt_i32 s10, 8
	s_cbranch_scc1 .LBB84_14
; %bb.12:
	v_mad_i64_i32 v[2:3], s[18:19], s22, v0, 0
	v_lshlrev_b64 v[2:3], 3, v[2:3]
	v_mov_b32_e32 v4, s24
	v_add_co_u32_e32 v1, vcc, s11, v2
	v_addc_co_u32_e32 v2, vcc, v4, v3, vcc
	v_mov_b32_e32 v3, 0x800
	s_lshl_b32 s9, s30, 3
	v_lshl_or_b32 v3, v0, 3, v3
	s_and_b32 s9, s9, 0xc0
	s_mov_b32 s18, 0
	s_mov_b64 s[20:21], 0
.LBB84_13:                              ; =>This Inner Loop Header: Depth=1
	v_mov_b32_e32 v4, s21
	v_add_co_u32_e32 v20, vcc, s20, v1
	v_addc_co_u32_e32 v21, vcc, v2, v4, vcc
	global_load_dwordx4 v[4:7], v[20:21], off
	global_load_dwordx4 v[8:11], v[20:21], off offset:16
	global_load_dwordx4 v[12:15], v[20:21], off offset:32
	;; [unrolled: 1-line block ×3, first 2 shown]
	s_add_i32 s18, s18, 8
	s_add_u32 s20, s20, 64
	s_addc_u32 s21, s21, 0
	s_cmp_lg_u32 s9, s20
	s_waitcnt vmcnt(3)
	v_mul_f64 v[4:5], v[4:5], s[12:13]
	v_mul_f64 v[6:7], v[6:7], s[12:13]
	s_waitcnt vmcnt(2)
	v_mul_f64 v[8:9], v[8:9], s[12:13]
	v_mul_f64 v[10:11], v[10:11], s[12:13]
	;; [unrolled: 3-line block ×4, first 2 shown]
	ds_write2_b64 v3, v[4:5], v[6:7] offset1:16
	ds_write2_b64 v3, v[8:9], v[10:11] offset0:32 offset1:48
	ds_write2_b64 v3, v[12:13], v[14:15] offset0:64 offset1:80
	;; [unrolled: 1-line block ×3, first 2 shown]
	v_add_u32_e32 v3, 0x400, v3
	s_cbranch_scc1 .LBB84_13
.LBB84_14:
	s_and_b32 s9, s30, 7
	s_cmp_eq_u32 s9, 0
	s_mov_b32 s19, 0
	s_cbranch_scc1 .LBB84_17
; %bb.15:
	v_lshlrev_b32_e32 v2, 3, v0
	v_lshl_or_b32 v1, s18, 7, v2
	s_lshl_b64 s[20:21], s[14:15], 3
	s_lshl_b64 s[18:19], s[18:19], 3
	s_add_u32 s18, s2, s18
	s_addc_u32 s19, s3, s19
	s_add_u32 s18, s18, s4
	s_addc_u32 s19, s19, s5
	s_add_u32 s18, s18, s0
	v_mov_b32_e32 v3, s21
	v_add_co_u32_e32 v4, vcc, s20, v2
	s_addc_u32 s19, s19, s1
	v_addc_co_u32_e32 v5, vcc, 0, v3, vcc
	v_pk_mov_b32 v[2:3], s[18:19], s[18:19] op_sel:[0,1]
	v_mad_u64_u32 v[2:3], s[18:19], v4, s22, v[2:3]
	v_mul_lo_u32 v4, v4, s23
	v_mul_lo_u32 v5, v5, s22
	v_add_u32_e32 v1, 0x800, v1
	v_add3_u32 v3, v5, v3, v4
.LBB84_16:                              ; =>This Inner Loop Header: Depth=1
	global_load_dwordx2 v[4:5], v[2:3], off
	v_add_co_u32_e32 v2, vcc, 8, v2
	s_add_i32 s9, s9, -1
	v_addc_co_u32_e32 v3, vcc, 0, v3, vcc
	s_cmp_lg_u32 s9, 0
	s_waitcnt vmcnt(0)
	v_mul_f64 v[4:5], v[4:5], s[12:13]
	ds_write_b64 v1, v[4:5]
	v_add_u32_e32 v1, 0x80, v1
	s_cbranch_scc1 .LBB84_16
.LBB84_17:
	s_or_b64 exec, exec, s[16:17]
	s_cmpk_eq_i32 s8, 0x6f
	s_mov_b64 s[8:9], -1
	s_waitcnt lgkmcnt(0)
	; wave barrier
	s_waitcnt lgkmcnt(0)
	s_cbranch_scc1 .LBB84_40
; %bb.18:
	s_cmp_gt_i32 s10, 15
	s_cbranch_scc0 .LBB84_20
; %bb.19:
	s_lshl_b32 s17, s30, 4
	s_sub_i32 s8, s17, 32
	s_sub_i32 s25, s17, 48
	v_lshlrev_b32_e32 v18, 3, v0
	v_or_b32_e32 v1, s8, v0
	v_or_b32_e32 v2, s25, v0
	s_sub_i32 s26, s17, 64
	v_lshl_or_b32 v19, s31, 7, v18
	v_lshlrev_b32_e32 v1, 3, v1
	v_lshlrev_b32_e32 v40, 3, v2
	v_or_b32_e32 v2, s26, v0
	s_add_i32 s27, s17, 0xffffffb0
	v_lshlrev_b32_e32 v44, 3, v2
	ds_read_b64 v[4:5], v19 offset:2048
	ds_read_b64 v[10:11], v1 offset:2048
	;; [unrolled: 1-line block ×4, first 2 shown]
	v_or_b32_e32 v1, s27, v0
	s_add_i32 s28, s17, 0xffffffa0
	v_lshlrev_b32_e32 v45, 3, v1
	v_or_b32_e32 v1, s28, v0
	s_add_i32 s21, s17, 0xffffff90
	v_lshlrev_b32_e32 v48, 3, v1
	;; [unrolled: 3-line block ×7, first 2 shown]
	v_or_b32_e32 v1, s16, v0
	s_add_i32 s12, s17, 0xffffff30
	s_add_i32 s9, s17, 0xffffff20
	;; [unrolled: 1-line block ×3, first 2 shown]
	s_addk_i32 s17, 0xff00
	v_lshlrev_b32_e32 v36, 3, v1
	v_or_b32_e32 v1, s12, v0
	v_or_b32_e32 v2, s17, v0
	s_mul_i32 s17, s31, 0x88
	v_lshlrev_b32_e32 v35, 3, v1
	v_or_b32_e32 v1, s9, v0
	s_add_i32 s29, s17, 0xffffff78
	v_lshlrev_b32_e32 v34, 3, v1
	v_or_b32_e32 v1, s8, v0
	v_lshlrev_b32_e32 v2, 3, v2
	v_mov_b32_e32 v3, s17
	v_mov_b32_e32 v6, s29
	ds_read_b64 v[42:43], v45 offset:2048
	ds_read_b64 v[46:47], v48 offset:2048
	;; [unrolled: 1-line block ×8, first 2 shown]
	v_lshlrev_b32_e32 v1, 3, v1
	ds_read_b64 v[12:13], v3
	ds_read2_b64 v[6:9], v6 offset1:1
	ds_read_b64 v[26:27], v35 offset:2048
	ds_read_b64 v[20:21], v34 offset:2048
	;; [unrolled: 1-line block ×4, first 2 shown]
	s_waitcnt lgkmcnt(5)
	v_mul_f64 v[4:5], v[4:5], v[12:13]
	s_add_i32 s25, s25, s31
	s_waitcnt lgkmcnt(4)
	v_fma_f64 v[8:9], -v[4:5], v[8:9], v[10:11]
	s_lshl_b32 s25, s25, 3
	v_mul_f64 v[8:9], v[8:9], v[6:7]
	v_mov_b32_e32 v6, s25
	s_add_i32 s25, s17, 0xfffffef0
	ds_write_b64 v19, v[4:5] offset:2048
	v_mov_b32_e32 v10, s25
	ds_read_b64 v[6:7], v6
	ds_read2_b64 v[10:13], v10 offset1:1
	s_add_i32 s26, s26, s31
	s_lshl_b32 s25, s26, 3
	s_add_i32 s25, s25, -8
	s_waitcnt lgkmcnt(1)
	v_fma_f64 v[6:7], -v[4:5], v[6:7], v[16:17]
	s_waitcnt lgkmcnt(0)
	v_fma_f64 v[6:7], -v[8:9], v[12:13], v[6:7]
	v_mul_f64 v[6:7], v[6:7], v[10:11]
	v_mov_b32_e32 v10, s25
	s_lshl_b32 s29, s30, 7
	ds_read2_b64 v[10:13], v10 offset1:1
	s_addk_i32 s29, 0xff00
	s_add_i32 s25, s17, 0xfffffe68
	v_or_b32_e32 v18, s29, v18
	v_mov_b32_e32 v16, s25
	ds_write_b64 v18, v[8:9] offset:2048
	ds_read2_b64 v[16:19], v16 offset1:1
	s_add_i32 s27, s27, s31
	s_waitcnt lgkmcnt(2)
	v_fma_f64 v[12:13], -v[4:5], v[12:13], v[38:39]
	s_lshl_b32 s25, s27, 3
	v_fma_f64 v[10:11], -v[8:9], v[10:11], v[12:13]
	v_mov_b32_e32 v12, s25
	s_add_i32 s25, s25, -16
	ds_write_b64 v40, v[6:7] offset:2048
	v_mov_b32_e32 v38, s25
	ds_read_b64 v[12:13], v12
	ds_read2_b64 v[38:41], v38 offset1:1
	s_waitcnt lgkmcnt(3)
	v_fma_f64 v[10:11], -v[6:7], v[18:19], v[10:11]
	s_add_i32 s25, s17, 0xfffffde0
	v_mul_f64 v[10:11], v[10:11], v[16:17]
	v_mov_b32_e32 v16, s25
	ds_read2_b64 v[16:19], v16 offset1:1
	s_add_i32 s28, s28, s31
	s_waitcnt lgkmcnt(2)
	v_fma_f64 v[12:13], -v[4:5], v[12:13], v[42:43]
	s_lshl_b32 s25, s28, 3
	s_waitcnt lgkmcnt(1)
	v_fma_f64 v[12:13], -v[8:9], v[40:41], v[12:13]
	s_add_i32 s26, s25, -8
	v_fma_f64 v[12:13], -v[6:7], v[38:39], v[12:13]
	v_mov_b32_e32 v38, s26
	ds_read2_b64 v[38:41], v38 offset1:1
	s_waitcnt lgkmcnt(1)
	v_fma_f64 v[12:13], -v[10:11], v[18:19], v[12:13]
	s_sub_i32 s25, s25, 24
	v_mul_f64 v[12:13], v[12:13], v[16:17]
	v_mov_b32_e32 v16, s25
	s_add_i32 s25, s17, 0xfffffd58
	ds_read2_b64 v[16:19], v16 offset1:1
	v_mov_b32_e32 v42, s25
	ds_write_b64 v44, v[10:11] offset:2048
	ds_write_b64 v45, v[12:13] offset:2048
	ds_read2_b64 v[42:45], v42 offset1:1
	s_waitcnt lgkmcnt(4)
	v_fma_f64 v[40:41], -v[4:5], v[40:41], v[46:47]
	v_fma_f64 v[38:39], -v[8:9], v[38:39], v[40:41]
	s_waitcnt lgkmcnt(3)
	v_fma_f64 v[18:19], -v[6:7], v[18:19], v[38:39]
	v_fma_f64 v[16:17], -v[10:11], v[16:17], v[18:19]
	s_add_i32 s21, s21, s31
	s_waitcnt lgkmcnt(0)
	v_fma_f64 v[16:17], -v[12:13], v[44:45], v[16:17]
	s_lshl_b32 s21, s21, 3
	v_mul_f64 v[16:17], v[16:17], v[42:43]
	s_add_i32 s25, s21, -8
	ds_write_b64 v48, v[16:17] offset:2048
	v_mov_b32_e32 v18, s25
	s_sub_i32 s25, s21, 24
	v_mov_b32_e32 v19, s25
	ds_read2_b64 v[38:41], v18 offset1:1
	ds_read2_b64 v[42:45], v19 offset1:1
	s_sub_i32 s21, s21, 40
	v_mov_b32_e32 v18, s21
	ds_read2_b64 v[46:49], v18 offset1:1
	s_waitcnt lgkmcnt(2)
	v_fma_f64 v[18:19], -v[4:5], v[40:41], v[50:51]
	s_add_i32 s20, s20, s31
	v_fma_f64 v[18:19], -v[8:9], v[38:39], v[18:19]
	s_add_i32 s21, s17, 0xfffffcd0
	s_lshl_b32 s20, s20, 3
	s_waitcnt lgkmcnt(1)
	v_fma_f64 v[18:19], -v[6:7], v[44:45], v[18:19]
	v_mov_b32_e32 v38, s21
	s_add_i32 s21, s20, -16
	v_fma_f64 v[18:19], -v[10:11], v[42:43], v[18:19]
	ds_read_b64 v[42:43], v38
	v_mov_b32_e32 v38, s20
	v_mov_b32_e32 v39, s21
	ds_read_b64 v[44:45], v38
	ds_read2_b64 v[38:41], v39 offset1:1
	s_waitcnt lgkmcnt(3)
	v_fma_f64 v[18:19], -v[12:13], v[48:49], v[18:19]
	v_fma_f64 v[18:19], -v[16:17], v[46:47], v[18:19]
	s_waitcnt lgkmcnt(2)
	v_mul_f64 v[18:19], v[18:19], v[42:43]
	s_waitcnt lgkmcnt(1)
	v_fma_f64 v[22:23], -v[4:5], v[44:45], v[22:23]
	s_waitcnt lgkmcnt(0)
	v_fma_f64 v[22:23], -v[8:9], v[40:41], v[22:23]
	s_sub_i32 s21, s20, 32
	s_sub_i32 s20, s20, 48
	ds_write_b64 v52, v[18:19] offset:2048
	v_fma_f64 v[22:23], -v[6:7], v[38:39], v[22:23]
	v_mov_b32_e32 v38, s21
	v_mov_b32_e32 v42, s20
	ds_read2_b64 v[38:41], v38 offset1:1
	ds_read2_b64 v[42:45], v42 offset1:1
	s_add_i32 s19, s19, s31
	s_add_i32 s20, s17, 0xfffffc48
	s_lshl_b32 s19, s19, 3
	v_mov_b32_e32 v46, s20
	s_waitcnt lgkmcnt(1)
	v_fma_f64 v[22:23], -v[10:11], v[40:41], v[22:23]
	s_add_i32 s20, s19, -8
	v_fma_f64 v[22:23], -v[12:13], v[38:39], v[22:23]
	v_mov_b32_e32 v38, s20
	ds_read2_b64 v[38:41], v38 offset1:1
	s_waitcnt lgkmcnt(1)
	v_fma_f64 v[22:23], -v[16:17], v[44:45], v[22:23]
	s_sub_i32 s20, s19, 24
	v_fma_f64 v[22:23], -v[18:19], v[42:43], v[22:23]
	v_mov_b32_e32 v42, s20
	ds_read2_b64 v[42:45], v42 offset1:1
	s_waitcnt lgkmcnt(1)
	v_fma_f64 v[24:25], -v[4:5], v[40:41], v[24:25]
	s_sub_i32 s20, s19, 40
	v_fma_f64 v[24:25], -v[8:9], v[38:39], v[24:25]
	v_mov_b32_e32 v38, s20
	ds_read_b64 v[46:47], v46
	ds_read2_b64 v[38:41], v38 offset1:1
	s_waitcnt lgkmcnt(2)
	v_fma_f64 v[24:25], -v[6:7], v[44:45], v[24:25]
	s_sub_i32 s19, s19, 56
	v_fma_f64 v[24:25], -v[10:11], v[42:43], v[24:25]
	s_add_i32 s18, s18, s31
	s_waitcnt lgkmcnt(1)
	v_mul_f64 v[22:23], v[22:23], v[46:47]
	v_mov_b32_e32 v46, s19
	s_waitcnt lgkmcnt(0)
	v_fma_f64 v[24:25], -v[12:13], v[40:41], v[24:25]
	s_add_i32 s19, s17, 0xfffffbc0
	s_lshl_b32 s18, s18, 3
	v_fma_f64 v[24:25], -v[16:17], v[38:39], v[24:25]
	v_mov_b32_e32 v38, s19
	s_add_i32 s19, s18, -16
	ds_write_b64 v53, v[22:23] offset:2048
	ds_read2_b64 v[46:49], v46 offset1:1
	ds_read_b64 v[42:43], v38
	v_mov_b32_e32 v38, s18
	v_mov_b32_e32 v39, s19
	ds_read_b64 v[44:45], v38
	ds_read2_b64 v[38:41], v39 offset1:1
	s_waitcnt lgkmcnt(3)
	v_fma_f64 v[24:25], -v[18:19], v[48:49], v[24:25]
	v_fma_f64 v[24:25], -v[22:23], v[46:47], v[24:25]
	s_sub_i32 s19, s18, 32
	s_waitcnt lgkmcnt(1)
	v_fma_f64 v[28:29], -v[4:5], v[44:45], v[28:29]
	s_waitcnt lgkmcnt(0)
	v_fma_f64 v[28:29], -v[8:9], v[40:41], v[28:29]
	v_mul_f64 v[24:25], v[24:25], v[42:43]
	v_fma_f64 v[28:29], -v[6:7], v[38:39], v[28:29]
	v_mov_b32_e32 v38, s19
	s_sub_i32 s19, s18, 48
	ds_write_b64 v54, v[24:25] offset:2048
	v_mov_b32_e32 v42, s19
	ds_read2_b64 v[38:41], v38 offset1:1
	ds_read2_b64 v[42:45], v42 offset1:1
	s_add_i32 s13, s13, s31
	s_sub_i32 s18, s18, 64
	s_addk_i32 s17, 0xfb38
	s_waitcnt lgkmcnt(1)
	v_fma_f64 v[28:29], -v[10:11], v[40:41], v[28:29]
	v_fma_f64 v[28:29], -v[12:13], v[38:39], v[28:29]
	s_lshl_b32 s13, s13, 3
	v_mov_b32_e32 v46, s18
	s_waitcnt lgkmcnt(0)
	v_fma_f64 v[28:29], -v[16:17], v[44:45], v[28:29]
	v_mov_b32_e32 v38, s17
	s_add_i32 s17, s13, -16
	ds_read2_b64 v[46:49], v46 offset1:1
	v_fma_f64 v[28:29], -v[18:19], v[42:43], v[28:29]
	ds_read_b64 v[42:43], v38
	v_mov_b32_e32 v38, s13
	v_mov_b32_e32 v39, s17
	ds_read_b64 v[44:45], v38
	ds_read2_b64 v[38:41], v39 offset1:1
	s_waitcnt lgkmcnt(3)
	v_fma_f64 v[28:29], -v[22:23], v[48:49], v[28:29]
	s_sub_i32 s17, s13, 32
	v_fma_f64 v[28:29], -v[24:25], v[46:47], v[28:29]
	s_waitcnt lgkmcnt(1)
	v_fma_f64 v[32:33], -v[4:5], v[44:45], v[32:33]
	s_waitcnt lgkmcnt(0)
	v_fma_f64 v[32:33], -v[8:9], v[40:41], v[32:33]
	v_mov_b32_e32 v40, s17
	v_mul_f64 v[28:29], v[28:29], v[42:43]
	ds_read2_b64 v[40:43], v40 offset1:1
	s_sub_i32 s17, s13, 48
	v_fma_f64 v[32:33], -v[6:7], v[38:39], v[32:33]
	v_mov_b32_e32 v38, s17
	ds_read2_b64 v[44:47], v38 offset1:1
	s_sub_i32 s13, s13, 64
	s_waitcnt lgkmcnt(1)
	v_fma_f64 v[32:33], -v[10:11], v[42:43], v[32:33]
	v_mov_b32_e32 v38, s13
	v_fma_f64 v[32:33], -v[12:13], v[40:41], v[32:33]
	s_mul_i32 s13, s30, 0x88
	ds_read2_b64 v[38:41], v38 offset1:1
	s_add_i32 s17, s13, 0xfffffa28
	v_mov_b32_e32 v42, s17
	ds_read2_b64 v[48:51], v42 offset1:1
	s_waitcnt lgkmcnt(2)
	v_fma_f64 v[32:33], -v[16:17], v[46:47], v[32:33]
	s_add_i32 s16, s16, s31
	v_fma_f64 v[32:33], -v[18:19], v[44:45], v[32:33]
	s_lshl_b32 s16, s16, 3
	s_waitcnt lgkmcnt(1)
	v_fma_f64 v[32:33], -v[22:23], v[40:41], v[32:33]
	s_add_i32 s17, s16, -8
	v_fma_f64 v[32:33], -v[24:25], v[38:39], v[32:33]
	v_mov_b32_e32 v38, s17
	ds_read2_b64 v[38:41], v38 offset1:1
	s_waitcnt lgkmcnt(1)
	v_fma_f64 v[32:33], -v[28:29], v[50:51], v[32:33]
	v_mul_f64 v[32:33], v[32:33], v[48:49]
	s_sub_i32 s17, s16, 24
	ds_write_b64 v37, v[32:33] offset:2048
	v_mov_b32_e32 v37, s17
	ds_read2_b64 v[42:45], v37 offset1:1
	s_sub_i32 s17, s16, 40
	s_waitcnt lgkmcnt(2)
	v_fma_f64 v[30:31], -v[4:5], v[40:41], v[30:31]
	v_mov_b32_e32 v37, s17
	v_fma_f64 v[30:31], -v[8:9], v[38:39], v[30:31]
	ds_read2_b64 v[38:41], v37 offset1:1
	s_sub_i32 s17, s16, 56
	v_mov_b32_e32 v37, s17
	s_waitcnt lgkmcnt(1)
	v_fma_f64 v[30:31], -v[6:7], v[44:45], v[30:31]
	ds_read2_b64 v[46:49], v37 offset1:1
	v_fma_f64 v[30:31], -v[10:11], v[42:43], v[30:31]
	s_addk_i32 s16, 0xffb8
	s_waitcnt lgkmcnt(1)
	v_fma_f64 v[30:31], -v[12:13], v[40:41], v[30:31]
	v_mov_b32_e32 v37, s16
	v_fma_f64 v[30:31], -v[16:17], v[38:39], v[30:31]
	ds_read2_b64 v[38:41], v37 offset1:1
	s_add_i32 s16, s13, 0xfffff9a0
	s_waitcnt lgkmcnt(1)
	v_fma_f64 v[30:31], -v[18:19], v[48:49], v[30:31]
	v_mov_b32_e32 v37, s16
	s_add_i32 s12, s12, s31
	v_fma_f64 v[30:31], -v[22:23], v[46:47], v[30:31]
	ds_read2_b64 v[42:45], v37 offset1:1
	s_lshl_b32 s12, s12, 3
	s_waitcnt lgkmcnt(1)
	v_fma_f64 v[30:31], -v[24:25], v[40:41], v[30:31]
	s_add_i32 s16, s12, -16
	ds_write_b64 v55, v[28:29] offset:2048
	v_fma_f64 v[30:31], -v[28:29], v[38:39], v[30:31]
	v_mov_b32_e32 v37, s12
	v_mov_b32_e32 v38, s16
	ds_read_b64 v[46:47], v37
	ds_read2_b64 v[38:41], v38 offset1:1
	s_waitcnt lgkmcnt(3)
	v_fma_f64 v[30:31], -v[32:33], v[44:45], v[30:31]
	v_mul_f64 v[30:31], v[30:31], v[42:43]
	s_sub_i32 s16, s12, 32
	ds_write_b64 v36, v[30:31] offset:2048
	s_waitcnt lgkmcnt(2)
	v_fma_f64 v[26:27], -v[4:5], v[46:47], v[26:27]
	v_mov_b32_e32 v36, s16
	s_waitcnt lgkmcnt(1)
	v_fma_f64 v[26:27], -v[8:9], v[40:41], v[26:27]
	ds_read2_b64 v[40:43], v36 offset1:1
	s_sub_i32 s16, s12, 48
	v_mov_b32_e32 v36, s16
	v_fma_f64 v[26:27], -v[6:7], v[38:39], v[26:27]
	ds_read2_b64 v[36:39], v36 offset1:1
	s_waitcnt lgkmcnt(1)
	v_fma_f64 v[26:27], -v[10:11], v[42:43], v[26:27]
	s_sub_i32 s16, s12, 64
	v_fma_f64 v[26:27], -v[12:13], v[40:41], v[26:27]
	v_mov_b32_e32 v40, s16
	ds_read2_b64 v[40:43], v40 offset1:1
	s_addk_i32 s12, 0xffb0
	v_mov_b32_e32 v44, s12
	ds_read2_b64 v[44:47], v44 offset1:1
	s_waitcnt lgkmcnt(2)
	v_fma_f64 v[26:27], -v[16:17], v[38:39], v[26:27]
	s_add_i32 s12, s13, 0xfffff918
	v_fma_f64 v[26:27], -v[18:19], v[36:37], v[26:27]
	v_mov_b32_e32 v36, s12
	ds_read2_b64 v[36:39], v36 offset1:1
	s_waitcnt lgkmcnt(2)
	v_fma_f64 v[26:27], -v[22:23], v[42:43], v[26:27]
	v_fma_f64 v[26:27], -v[24:25], v[40:41], v[26:27]
	s_add_i32 s9, s9, s31
	s_waitcnt lgkmcnt(1)
	v_fma_f64 v[26:27], -v[28:29], v[46:47], v[26:27]
	s_lshl_b32 s9, s9, 3
	v_fma_f64 v[26:27], -v[32:33], v[44:45], v[26:27]
	s_add_i32 s12, s9, -8
	v_mov_b32_e32 v40, s12
	s_waitcnt lgkmcnt(0)
	v_fma_f64 v[26:27], -v[30:31], v[38:39], v[26:27]
	ds_read2_b64 v[40:43], v40 offset1:1
	v_mul_f64 v[26:27], v[26:27], v[36:37]
	s_sub_i32 s12, s9, 24
	ds_write_b64 v35, v[26:27] offset:2048
	v_mov_b32_e32 v35, s12
	ds_read2_b64 v[36:39], v35 offset1:1
	s_sub_i32 s12, s9, 40
	v_mov_b32_e32 v35, s12
	s_waitcnt lgkmcnt(2)
	v_fma_f64 v[20:21], -v[4:5], v[42:43], v[20:21]
	ds_read2_b64 v[44:47], v35 offset1:1
	v_fma_f64 v[20:21], -v[8:9], v[40:41], v[20:21]
	s_sub_i32 s12, s9, 56
	s_waitcnt lgkmcnt(1)
	v_fma_f64 v[20:21], -v[6:7], v[38:39], v[20:21]
	v_mov_b32_e32 v35, s12
	v_fma_f64 v[20:21], -v[10:11], v[36:37], v[20:21]
	ds_read2_b64 v[36:39], v35 offset1:1
	s_add_i32 s12, s9, 0xffffffb8
	s_waitcnt lgkmcnt(1)
	v_fma_f64 v[20:21], -v[12:13], v[46:47], v[20:21]
	v_mov_b32_e32 v35, s12
	v_fma_f64 v[20:21], -v[16:17], v[44:45], v[20:21]
	ds_read2_b64 v[40:43], v35 offset1:1
	s_addk_i32 s9, 0xffa8
	s_waitcnt lgkmcnt(1)
	v_fma_f64 v[20:21], -v[18:19], v[38:39], v[20:21]
	v_mov_b32_e32 v35, s9
	v_fma_f64 v[20:21], -v[22:23], v[36:37], v[20:21]
	s_add_i32 s9, s13, 0xfffff890
	ds_read2_b64 v[36:39], v35 offset1:1
	v_mov_b32_e32 v35, s9
	ds_read2_b64 v[44:47], v35 offset1:1
	s_waitcnt lgkmcnt(2)
	v_fma_f64 v[20:21], -v[24:25], v[42:43], v[20:21]
	v_fma_f64 v[20:21], -v[28:29], v[40:41], v[20:21]
	s_add_i32 s8, s8, s31
	s_waitcnt lgkmcnt(1)
	v_fma_f64 v[20:21], -v[32:33], v[38:39], v[20:21]
	s_lshl_b32 s8, s8, 3
	v_fma_f64 v[20:21], -v[30:31], v[36:37], v[20:21]
	v_mov_b32_e32 v35, s8
	s_waitcnt lgkmcnt(0)
	v_fma_f64 v[20:21], -v[26:27], v[46:47], v[20:21]
	ds_read_b64 v[38:39], v35
	v_mul_f64 v[20:21], v[20:21], v[44:45]
	s_add_i32 s9, s8, -16
	ds_write_b64 v34, v[20:21] offset:2048
	v_mov_b32_e32 v34, s9
	ds_read2_b64 v[34:37], v34 offset1:1
	s_sub_i32 s9, s8, 32
	s_waitcnt lgkmcnt(2)
	v_fma_f64 v[14:15], -v[4:5], v[38:39], v[14:15]
	v_mov_b32_e32 v38, s9
	ds_read2_b64 v[38:41], v38 offset1:1
	s_sub_i32 s9, s8, 48
	v_mov_b32_e32 v42, s9
	ds_read2_b64 v[42:45], v42 offset1:1
	s_waitcnt lgkmcnt(2)
	v_fma_f64 v[14:15], -v[8:9], v[36:37], v[14:15]
	s_sub_i32 s9, s8, 64
	v_fma_f64 v[14:15], -v[6:7], v[34:35], v[14:15]
	v_mov_b32_e32 v34, s9
	ds_read2_b64 v[34:37], v34 offset1:1
	s_waitcnt lgkmcnt(2)
	v_fma_f64 v[14:15], -v[10:11], v[40:41], v[14:15]
	v_fma_f64 v[14:15], -v[12:13], v[38:39], v[14:15]
	s_waitcnt lgkmcnt(1)
	v_fma_f64 v[14:15], -v[16:17], v[44:45], v[14:15]
	s_add_i32 s9, s8, 0xffffffb0
	v_fma_f64 v[14:15], -v[18:19], v[42:43], v[14:15]
	v_mov_b32_e32 v38, s9
	ds_read2_b64 v[38:41], v38 offset1:1
	s_waitcnt lgkmcnt(1)
	v_fma_f64 v[14:15], -v[22:23], v[36:37], v[14:15]
	s_addk_i32 s8, 0xffa0
	v_fma_f64 v[14:15], -v[24:25], v[34:35], v[14:15]
	v_mov_b32_e32 v34, s8
	s_add_i32 s8, s13, 0xfffff808
	ds_read2_b64 v[34:37], v34 offset1:1
	v_mov_b32_e32 v42, s8
	ds_read2_b64 v[42:45], v42 offset1:1
	s_add_i32 s8, s30, -16
	s_lshl_b32 s8, s8, 4
	s_waitcnt lgkmcnt(2)
	v_fma_f64 v[14:15], -v[28:29], v[40:41], v[14:15]
	s_add_i32 s9, s8, s31
	v_fma_f64 v[14:15], -v[32:33], v[38:39], v[14:15]
	s_lshl_b32 s9, s9, 3
	s_waitcnt lgkmcnt(1)
	v_fma_f64 v[14:15], -v[30:31], v[36:37], v[14:15]
	s_add_i32 s12, s9, -8
	v_fma_f64 v[14:15], -v[26:27], v[34:35], v[14:15]
	v_mov_b32_e32 v34, s12
	ds_read2_b64 v[34:37], v34 offset1:1
	s_waitcnt lgkmcnt(1)
	v_fma_f64 v[14:15], -v[20:21], v[44:45], v[14:15]
	v_mul_f64 v[14:15], v[14:15], v[42:43]
	s_sub_i32 s12, s9, 24
	ds_write_b64 v1, v[14:15] offset:2048
	v_mov_b32_e32 v1, s12
	ds_read2_b64 v[38:41], v1 offset1:1
	s_sub_i32 s12, s9, 40
	s_waitcnt lgkmcnt(2)
	v_fma_f64 v[2:3], -v[4:5], v[36:37], v[2:3]
	v_mov_b32_e32 v1, s12
	v_fma_f64 v[8:9], -v[8:9], v[34:35], v[2:3]
	s_sub_i32 s12, s9, 56
	ds_read2_b64 v[2:5], v1 offset1:1
	v_mov_b32_e32 v1, s12
	ds_read2_b64 v[34:37], v1 offset1:1
	s_waitcnt lgkmcnt(2)
	v_fma_f64 v[6:7], -v[6:7], v[40:41], v[8:9]
	v_fma_f64 v[6:7], -v[10:11], v[38:39], v[6:7]
	s_waitcnt lgkmcnt(1)
	v_fma_f64 v[4:5], -v[12:13], v[4:5], v[6:7]
	s_add_i32 s12, s9, 0xffffffb8
	v_fma_f64 v[2:3], -v[16:17], v[2:3], v[4:5]
	v_mov_b32_e32 v1, s12
	s_waitcnt lgkmcnt(0)
	v_fma_f64 v[6:7], -v[18:19], v[36:37], v[2:3]
	ds_read2_b64 v[2:5], v1 offset1:1
	s_add_i32 s12, s9, 0xffffffa8
	v_mov_b32_e32 v1, s12
	v_fma_f64 v[10:11], -v[22:23], v[34:35], v[6:7]
	ds_read2_b64 v[6:9], v1 offset1:1
	s_addk_i32 s9, 0xff98
	s_waitcnt lgkmcnt(1)
	v_fma_f64 v[4:5], -v[24:25], v[4:5], v[10:11]
	v_mov_b32_e32 v1, s9
	v_fma_f64 v[16:17], -v[28:29], v[2:3], v[4:5]
	s_add_i32 s9, s13, 0xfffff780
	ds_read2_b64 v[2:5], v1 offset1:1
	v_mov_b32_e32 v1, s9
	ds_read2_b64 v[10:13], v1 offset1:1
	s_waitcnt lgkmcnt(2)
	v_fma_f64 v[8:9], -v[32:33], v[8:9], v[16:17]
	v_fma_f64 v[6:7], -v[30:31], v[6:7], v[8:9]
	s_waitcnt lgkmcnt(1)
	v_fma_f64 v[4:5], -v[26:27], v[4:5], v[6:7]
	v_fma_f64 v[2:3], -v[20:21], v[2:3], v[4:5]
	s_waitcnt lgkmcnt(0)
	v_fma_f64 v[2:3], -v[14:15], v[12:13], v[2:3]
	v_or_b32_e32 v1, s8, v0
	v_mul_f64 v[2:3], v[2:3], v[10:11]
	v_lshlrev_b32_e32 v1, 3, v1
	s_sub_i32 s8, s30, 17
	ds_write_b64 v1, v[2:3] offset:2048
	s_cmp_gt_i32 s8, -1
	s_cbranch_scc1 .LBB84_21
	s_branch .LBB84_39
.LBB84_20:
	s_mov_b32 s8, s31
	s_cmp_gt_i32 s8, -1
	s_cbranch_scc0 .LBB84_39
.LBB84_21:
	s_cmp_lt_u32 s8, 11
	s_cbranch_scc1 .LBB84_26
; %bb.22:
	s_lshl_b32 s12, s8, 4
	v_or_b32_e32 v1, s12, v0
	s_add_i32 s9, s12, -16
	s_sub_i32 s25, s12, 32
	v_lshlrev_b32_e32 v34, 3, v1
	v_or_b32_e32 v1, s9, v0
	v_or_b32_e32 v2, s25, v0
	s_sub_i32 s21, s12, 48
	v_lshlrev_b32_e32 v1, 3, v1
	v_lshlrev_b32_e32 v33, 3, v2
	v_or_b32_e32 v2, s21, v0
	s_sub_i32 s20, s12, 64
	v_lshlrev_b32_e32 v32, 3, v2
	ds_read_b64 v[8:9], v34 offset:2048
	ds_read_b64 v[10:11], v1 offset:2048
	;; [unrolled: 1-line block ×4, first 2 shown]
	v_or_b32_e32 v1, s20, v0
	s_add_i32 s19, s12, 0xffffffb0
	v_lshlrev_b32_e32 v31, 3, v1
	v_or_b32_e32 v1, s19, v0
	s_add_i32 s18, s12, 0xffffffa0
	v_lshlrev_b32_e32 v30, 3, v1
	v_or_b32_e32 v1, s18, v0
	s_add_i32 s17, s12, 0xffffff90
	v_lshlrev_b32_e32 v29, 3, v1
	v_or_b32_e32 v1, s17, v0
	s_add_i32 s16, s12, 0xffffff80
	v_lshlrev_b32_e32 v28, 3, v1
	v_or_b32_e32 v1, s16, v0
	s_add_i32 s13, s12, 0xffffff70
	s_add_i32 s9, s12, 0xffffff60
	s_addk_i32 s12, 0xff50
	v_lshlrev_b32_e32 v27, 3, v1
	v_or_b32_e32 v1, s13, v0
	v_or_b32_e32 v2, s12, v0
	v_lshlrev_b32_e32 v26, 3, v1
	v_or_b32_e32 v1, s9, v0
	v_lshlrev_b32_e32 v2, 3, v2
	ds_read_b64 v[22:23], v31 offset:2048
	ds_read_b64 v[24:25], v30 offset:2048
	ds_read_b64 v[18:19], v29 offset:2048
	ds_read_b64 v[16:17], v28 offset:2048
	v_lshlrev_b32_e32 v1, 3, v1
	ds_read_b64 v[12:13], v27 offset:2048
	ds_read_b64 v[6:7], v26 offset:2048
	;; [unrolled: 1-line block ×4, first 2 shown]
	s_cmp_le_i32 s31, s8
	s_cbranch_scc1 .LBB84_25
; %bb.23:
	s_lshl_b32 s12, s8, 7
	s_lshl_b32 s26, s30, 3
	v_lshlrev_b32_e32 v35, 3, v0
	s_add_i32 s12, s12, s26
	v_lshl_or_b32 v35, s30, 7, v35
	s_addk_i32 s12, 0xfa78
	v_add_u32_e32 v35, 0x780, v35
	s_mov_b32 s26, s31
.LBB84_24:                              ; =>This Inner Loop Header: Depth=1
	v_mov_b32_e32 v56, s12
	ds_read_b64 v[60:61], v35
	ds_read2_b64 v[36:39], v56 offset0:160 offset1:176
	ds_read2_b64 v[40:43], v56 offset0:128 offset1:144
	;; [unrolled: 1-line block ×5, first 2 shown]
	ds_read2_b64 v[56:59], v56 offset1:16
	s_add_i32 s26, s26, -1
	s_add_i32 s12, s12, -8
	v_add_u32_e32 v35, 0xffffff80, v35
	s_cmp_gt_i32 s26, s8
	s_waitcnt lgkmcnt(5)
	v_fma_f64 v[8:9], -v[60:61], v[38:39], v[8:9]
	v_fma_f64 v[10:11], -v[60:61], v[36:37], v[10:11]
	s_waitcnt lgkmcnt(4)
	v_fma_f64 v[14:15], -v[60:61], v[42:43], v[14:15]
	v_fma_f64 v[20:21], -v[60:61], v[40:41], v[20:21]
	;; [unrolled: 3-line block ×6, first 2 shown]
	s_cbranch_scc1 .LBB84_24
.LBB84_25:
	s_mul_i32 s12, s8, 0x88
	v_mov_b32_e32 v35, s12
	s_add_i32 s26, s12, 0xffffff78
	ds_read_b64 v[40:41], v35
	v_mov_b32_e32 v35, s26
	ds_read2_b64 v[36:39], v35 offset1:1
	s_add_i32 s25, s25, s8
	v_add_u32_e32 v34, 0x800, v34
	s_waitcnt lgkmcnt(1)
	v_mul_f64 v[8:9], v[8:9], v[40:41]
	s_lshl_b32 s25, s25, 3
	ds_write_b64 v34, v[8:9]
	v_mov_b32_e32 v34, s25
	s_add_i32 s25, s12, 0xfffffef0
	s_waitcnt lgkmcnt(1)
	v_fma_f64 v[10:11], -v[8:9], v[38:39], v[10:11]
	v_mov_b32_e32 v35, s25
	v_mul_f64 v[10:11], v[10:11], v[36:37]
	ds_read_b64 v[38:39], v34
	ds_read2_b64 v[34:37], v35 offset1:1
	s_add_i32 s21, s21, s8
	s_lshl_b32 s21, s21, 3
	s_add_i32 s21, s21, -8
	s_waitcnt lgkmcnt(1)
	v_fma_f64 v[14:15], -v[8:9], v[38:39], v[14:15]
	s_waitcnt lgkmcnt(0)
	v_fma_f64 v[14:15], -v[10:11], v[36:37], v[14:15]
	v_mul_f64 v[14:15], v[14:15], v[34:35]
	v_mov_b32_e32 v34, s21
	ds_read2_b64 v[34:37], v34 offset1:1
	s_lshl_b32 s26, s8, 7
	s_addk_i32 s26, 0xff80
	s_add_i32 s21, s12, 0xfffffe68
	s_add_i32 s20, s20, s8
	v_lshl_or_b32 v40, v0, 3, s26
	ds_write_b64 v33, v[14:15] offset:2048
	v_mov_b32_e32 v33, s21
	s_lshl_b32 s20, s20, 3
	ds_write_b64 v40, v[10:11] offset:2048
	ds_read2_b64 v[38:41], v33 offset1:1
	s_waitcnt lgkmcnt(3)
	v_fma_f64 v[20:21], -v[8:9], v[36:37], v[20:21]
	v_mov_b32_e32 v33, s20
	s_add_i32 s20, s20, -16
	v_fma_f64 v[20:21], -v[10:11], v[34:35], v[20:21]
	v_mov_b32_e32 v34, s20
	ds_read_b64 v[42:43], v33
	ds_read2_b64 v[34:37], v34 offset1:1
	s_waitcnt lgkmcnt(2)
	v_fma_f64 v[20:21], -v[14:15], v[40:41], v[20:21]
	v_mul_f64 v[20:21], v[20:21], v[38:39]
	s_add_i32 s20, s12, 0xfffffde0
	s_waitcnt lgkmcnt(1)
	v_fma_f64 v[22:23], -v[8:9], v[42:43], v[22:23]
	ds_write_b64 v32, v[20:21] offset:2048
	s_waitcnt lgkmcnt(1)
	v_fma_f64 v[22:23], -v[10:11], v[36:37], v[22:23]
	v_mov_b32_e32 v32, s20
	v_fma_f64 v[22:23], -v[14:15], v[34:35], v[22:23]
	ds_read2_b64 v[32:35], v32 offset1:1
	s_add_i32 s19, s19, s8
	s_lshl_b32 s19, s19, 3
	s_add_i32 s20, s19, -8
	v_mov_b32_e32 v36, s20
	s_waitcnt lgkmcnt(0)
	v_fma_f64 v[22:23], -v[20:21], v[34:35], v[22:23]
	ds_read2_b64 v[36:39], v36 offset1:1
	v_mul_f64 v[22:23], v[22:23], v[32:33]
	s_sub_i32 s19, s19, 24
	ds_write_b64 v31, v[22:23] offset:2048
	v_mov_b32_e32 v31, s19
	ds_read2_b64 v[32:35], v31 offset1:1
	s_add_i32 s19, s12, 0xfffffd58
	v_mov_b32_e32 v31, s19
	ds_read2_b64 v[40:43], v31 offset1:1
	s_waitcnt lgkmcnt(3)
	v_fma_f64 v[24:25], -v[8:9], v[38:39], v[24:25]
	v_fma_f64 v[24:25], -v[10:11], v[36:37], v[24:25]
	s_waitcnt lgkmcnt(1)
	v_fma_f64 v[24:25], -v[14:15], v[34:35], v[24:25]
	v_fma_f64 v[24:25], -v[20:21], v[32:33], v[24:25]
	s_add_i32 s18, s18, s8
	s_waitcnt lgkmcnt(0)
	v_fma_f64 v[24:25], -v[22:23], v[42:43], v[24:25]
	s_lshl_b32 s18, s18, 3
	v_mul_f64 v[24:25], v[24:25], v[40:41]
	s_add_i32 s19, s18, -8
	ds_write_b64 v30, v[24:25] offset:2048
	v_mov_b32_e32 v30, s19
	s_sub_i32 s19, s18, 24
	v_mov_b32_e32 v34, s19
	ds_read2_b64 v[30:33], v30 offset1:1
	ds_read2_b64 v[34:37], v34 offset1:1
	s_sub_i32 s18, s18, 40
	v_mov_b32_e32 v38, s18
	s_add_i32 s17, s17, s8
	s_waitcnt lgkmcnt(1)
	v_fma_f64 v[18:19], -v[8:9], v[32:33], v[18:19]
	ds_read2_b64 v[38:41], v38 offset1:1
	v_fma_f64 v[18:19], -v[10:11], v[30:31], v[18:19]
	s_add_i32 s18, s12, 0xfffffcd0
	s_lshl_b32 s17, s17, 3
	s_waitcnt lgkmcnt(1)
	v_fma_f64 v[18:19], -v[14:15], v[36:37], v[18:19]
	v_mov_b32_e32 v30, s18
	s_add_i32 s18, s17, -16
	v_fma_f64 v[18:19], -v[20:21], v[34:35], v[18:19]
	ds_read_b64 v[34:35], v30
	v_mov_b32_e32 v30, s17
	v_mov_b32_e32 v31, s18
	ds_read_b64 v[36:37], v30
	ds_read2_b64 v[30:33], v31 offset1:1
	s_waitcnt lgkmcnt(3)
	v_fma_f64 v[18:19], -v[22:23], v[40:41], v[18:19]
	v_fma_f64 v[18:19], -v[24:25], v[38:39], v[18:19]
	s_waitcnt lgkmcnt(2)
	v_mul_f64 v[18:19], v[18:19], v[34:35]
	s_waitcnt lgkmcnt(1)
	v_fma_f64 v[16:17], -v[8:9], v[36:37], v[16:17]
	s_sub_i32 s18, s17, 32
	s_sub_i32 s17, s17, 48
	ds_write_b64 v29, v[18:19] offset:2048
	s_waitcnt lgkmcnt(1)
	v_fma_f64 v[16:17], -v[10:11], v[32:33], v[16:17]
	v_mov_b32_e32 v29, s18
	v_mov_b32_e32 v34, s17
	v_fma_f64 v[16:17], -v[14:15], v[30:31], v[16:17]
	ds_read2_b64 v[30:33], v29 offset1:1
	ds_read2_b64 v[34:37], v34 offset1:1
	s_add_i32 s17, s12, 0xfffffc48
	v_mov_b32_e32 v29, s17
	s_add_i32 s16, s16, s8
	ds_read_b64 v[38:39], v29
	s_lshl_b32 s16, s16, 3
	s_waitcnt lgkmcnt(2)
	v_fma_f64 v[16:17], -v[20:21], v[32:33], v[16:17]
	s_add_i32 s17, s16, -8
	v_fma_f64 v[16:17], -v[22:23], v[30:31], v[16:17]
	v_mov_b32_e32 v29, s17
	s_waitcnt lgkmcnt(1)
	v_fma_f64 v[16:17], -v[24:25], v[36:37], v[16:17]
	ds_read2_b64 v[30:33], v29 offset1:1
	v_fma_f64 v[16:17], -v[18:19], v[34:35], v[16:17]
	s_waitcnt lgkmcnt(1)
	v_mul_f64 v[16:17], v[16:17], v[38:39]
	s_sub_i32 s17, s16, 24
	ds_write_b64 v28, v[16:17] offset:2048
	v_mov_b32_e32 v28, s17
	ds_read2_b64 v[34:37], v28 offset1:1
	s_sub_i32 s17, s16, 40
	s_waitcnt lgkmcnt(2)
	v_fma_f64 v[12:13], -v[8:9], v[32:33], v[12:13]
	v_mov_b32_e32 v28, s17
	v_fma_f64 v[12:13], -v[10:11], v[30:31], v[12:13]
	ds_read2_b64 v[28:31], v28 offset1:1
	s_sub_i32 s16, s16, 56
	s_waitcnt lgkmcnt(1)
	v_fma_f64 v[12:13], -v[14:15], v[36:37], v[12:13]
	v_mov_b32_e32 v32, s16
	ds_read2_b64 v[38:41], v32 offset1:1
	v_fma_f64 v[12:13], -v[20:21], v[34:35], v[12:13]
	s_add_i32 s13, s13, s8
	s_waitcnt lgkmcnt(1)
	v_fma_f64 v[12:13], -v[22:23], v[30:31], v[12:13]
	s_add_i32 s16, s12, 0xfffffbc0
	s_lshl_b32 s13, s13, 3
	v_fma_f64 v[12:13], -v[24:25], v[28:29], v[12:13]
	v_mov_b32_e32 v28, s16
	s_add_i32 s16, s13, -16
	ds_read_b64 v[32:33], v28
	v_mov_b32_e32 v28, s13
	v_mov_b32_e32 v29, s16
	ds_read_b64 v[34:35], v28
	ds_read2_b64 v[28:31], v29 offset1:1
	s_waitcnt lgkmcnt(3)
	v_fma_f64 v[12:13], -v[18:19], v[40:41], v[12:13]
	v_fma_f64 v[12:13], -v[16:17], v[38:39], v[12:13]
	s_waitcnt lgkmcnt(2)
	v_mul_f64 v[40:41], v[12:13], v[32:33]
	s_waitcnt lgkmcnt(1)
	v_fma_f64 v[6:7], -v[8:9], v[34:35], v[6:7]
	s_sub_i32 s16, s13, 32
	ds_write_b64 v27, v[40:41] offset:2048
	s_waitcnt lgkmcnt(1)
	v_fma_f64 v[6:7], -v[10:11], v[30:31], v[6:7]
	v_mov_b32_e32 v12, s16
	s_sub_i32 s16, s13, 48
	v_fma_f64 v[6:7], -v[14:15], v[28:29], v[6:7]
	v_mov_b32_e32 v13, s16
	ds_read2_b64 v[28:31], v12 offset1:1
	ds_read2_b64 v[32:35], v13 offset1:1
	s_sub_i32 s13, s13, 64
	s_add_i32 s9, s9, s8
	v_mov_b32_e32 v12, s13
	s_waitcnt lgkmcnt(1)
	v_fma_f64 v[6:7], -v[20:21], v[30:31], v[6:7]
	s_add_i32 s13, s12, 0xfffffb38
	s_lshl_b32 s9, s9, 3
	ds_read2_b64 v[36:39], v12 offset1:1
	v_fma_f64 v[6:7], -v[22:23], v[28:29], v[6:7]
	v_mov_b32_e32 v12, s13
	s_add_i32 s13, s9, -16
	s_waitcnt lgkmcnt(1)
	v_fma_f64 v[6:7], -v[24:25], v[34:35], v[6:7]
	v_mov_b32_e32 v27, s9
	v_mov_b32_e32 v28, s13
	v_fma_f64 v[6:7], -v[18:19], v[32:33], v[6:7]
	ds_read_b64 v[12:13], v12
	ds_read_b64 v[32:33], v27
	ds_read2_b64 v[28:31], v28 offset1:1
	s_waitcnt lgkmcnt(3)
	v_fma_f64 v[6:7], -v[16:17], v[38:39], v[6:7]
	v_fma_f64 v[6:7], -v[40:41], v[36:37], v[6:7]
	s_sub_i32 s13, s9, 32
	s_waitcnt lgkmcnt(1)
	v_fma_f64 v[4:5], -v[8:9], v[32:33], v[4:5]
	v_mul_f64 v[34:35], v[6:7], v[12:13]
	s_waitcnt lgkmcnt(0)
	v_fma_f64 v[12:13], -v[10:11], v[30:31], v[4:5]
	v_mov_b32_e32 v4, s13
	ds_read2_b64 v[4:7], v4 offset1:1
	s_sub_i32 s13, s9, 48
	ds_write_b64 v26, v[34:35] offset:2048
	v_fma_f64 v[12:13], -v[14:15], v[28:29], v[12:13]
	v_mov_b32_e32 v26, s13
	ds_read2_b64 v[26:29], v26 offset1:1
	s_waitcnt lgkmcnt(2)
	v_fma_f64 v[6:7], -v[20:21], v[6:7], v[12:13]
	s_sub_i32 s9, s9, 64
	v_fma_f64 v[12:13], -v[22:23], v[4:5], v[6:7]
	v_mov_b32_e32 v4, s9
	s_add_i32 s9, s12, 0xfffffab0
	ds_read2_b64 v[4:7], v4 offset1:1
	v_mov_b32_e32 v30, s9
	ds_read2_b64 v[30:33], v30 offset1:1
	s_add_i32 s9, s8, -11
	s_waitcnt lgkmcnt(2)
	v_fma_f64 v[12:13], -v[24:25], v[28:29], v[12:13]
	s_lshl_b32 s9, s9, 4
	v_fma_f64 v[12:13], -v[18:19], v[26:27], v[12:13]
	s_add_i32 s13, s9, s8
	s_waitcnt lgkmcnt(1)
	v_fma_f64 v[6:7], -v[16:17], v[6:7], v[12:13]
	s_lshl_b32 s13, s13, 3
	v_fma_f64 v[4:5], -v[40:41], v[4:5], v[6:7]
	s_add_i32 s16, s13, -8
	s_waitcnt lgkmcnt(0)
	v_fma_f64 v[12:13], -v[34:35], v[32:33], v[4:5]
	v_mov_b32_e32 v4, s16
	s_sub_i32 s16, s13, 24
	ds_read2_b64 v[4:7], v4 offset1:1
	v_mov_b32_e32 v26, s16
	ds_read2_b64 v[26:29], v26 offset1:1
	v_mul_f64 v[30:31], v[12:13], v[30:31]
	s_sub_i32 s16, s13, 40
	s_waitcnt lgkmcnt(1)
	v_fma_f64 v[2:3], -v[8:9], v[6:7], v[2:3]
	ds_write_b64 v1, v[30:31] offset:2048
	v_fma_f64 v[2:3], -v[10:11], v[4:5], v[2:3]
	v_mov_b32_e32 v1, s16
	s_waitcnt lgkmcnt(1)
	v_fma_f64 v[6:7], -v[14:15], v[28:29], v[2:3]
	ds_read2_b64 v[2:5], v1 offset1:1
	s_sub_i32 s16, s13, 56
	v_mov_b32_e32 v1, s16
	v_fma_f64 v[10:11], -v[20:21], v[26:27], v[6:7]
	ds_read2_b64 v[6:9], v1 offset1:1
	s_addk_i32 s13, 0xffb8
	s_waitcnt lgkmcnt(1)
	v_fma_f64 v[4:5], -v[22:23], v[4:5], v[10:11]
	v_mov_b32_e32 v1, s13
	v_fma_f64 v[14:15], -v[24:25], v[2:3], v[4:5]
	s_addk_i32 s12, 0xfa28
	ds_read2_b64 v[2:5], v1 offset1:1
	v_mov_b32_e32 v1, s12
	ds_read2_b64 v[10:13], v1 offset1:1
	s_waitcnt lgkmcnt(2)
	v_fma_f64 v[8:9], -v[18:19], v[8:9], v[14:15]
	v_fma_f64 v[6:7], -v[16:17], v[6:7], v[8:9]
	s_waitcnt lgkmcnt(1)
	v_fma_f64 v[4:5], -v[40:41], v[4:5], v[6:7]
	v_fma_f64 v[2:3], -v[34:35], v[2:3], v[4:5]
	s_waitcnt lgkmcnt(0)
	v_fma_f64 v[2:3], -v[30:31], v[12:13], v[2:3]
	v_or_b32_e32 v1, s9, v0
	v_mul_f64 v[2:3], v[2:3], v[10:11]
	v_lshlrev_b32_e32 v1, 3, v1
	s_add_i32 s8, s8, -12
	ds_write_b64 v1, v[2:3] offset:2048
.LBB84_26:
	s_cmp_lt_i32 s8, 0
	s_cbranch_scc1 .LBB84_39
; %bb.27:
	s_bitcmp1_b32 s8, 0
	s_cselect_b64 s[12:13], -1, 0
	s_and_b64 vcc, exec, s[12:13]
	s_mov_b32 s9, s8
	s_cbranch_vccnz .LBB84_32
; %bb.28:
	v_lshlrev_b32_e32 v4, 3, v0
	v_lshl_or_b32 v1, s8, 7, v4
	ds_read_b64 v[2:3], v1 offset:2048
	s_cmp_le_i32 s31, s8
	s_cbranch_scc1 .LBB84_31
; %bb.29:
	s_lshl_b32 s9, s8, 7
	s_lshl_b32 s12, s30, 3
	s_add_i32 s9, s9, s12
	v_lshl_or_b32 v4, s30, 7, v4
	s_add_i32 s9, s9, -8
	v_add_u32_e32 v4, 0x780, v4
	s_mov_b32 s12, s31
.LBB84_30:                              ; =>This Inner Loop Header: Depth=1
	v_mov_b32_e32 v5, s9
	ds_read_b64 v[6:7], v4
	ds_read_b64 v[8:9], v5
	s_add_i32 s12, s12, -1
	s_add_i32 s9, s9, -8
	v_add_u32_e32 v4, 0xffffff80, v4
	s_cmp_gt_i32 s12, s8
	s_waitcnt lgkmcnt(0)
	v_fma_f64 v[2:3], -v[6:7], v[8:9], v[2:3]
	s_cbranch_scc1 .LBB84_30
.LBB84_31:
	s_mul_i32 s9, s8, 0x88
	v_mov_b32_e32 v4, s9
	ds_read_b64 v[4:5], v4
	v_add_u32_e32 v1, 0x800, v1
	s_add_i32 s9, s8, -1
	s_waitcnt lgkmcnt(0)
	v_mul_f64 v[2:3], v[2:3], v[4:5]
	ds_write_b64 v1, v[2:3]
.LBB84_32:
	s_cmp_eq_u32 s8, 0
	s_cbranch_scc1 .LBB84_39
; %bb.33:
	s_lshl_b32 s8, s9, 7
	s_lshl_b32 s12, s30, 3
	v_lshlrev_b32_e32 v1, 3, v0
	s_add_i32 s12, s8, s12
	v_lshl_or_b32 v2, s30, 7, v1
	s_add_i32 s8, s12, -8
	v_add_u32_e32 v6, 0x780, v2
	s_addk_i32 s12, 0xff78
	s_branch .LBB84_35
.LBB84_34:                              ;   in Loop: Header=BB84_35 Depth=1
	s_addk_i32 s13, 0xff78
	v_mov_b32_e32 v5, s13
	ds_read_b64 v[8:9], v5
	s_add_i32 s13, s9, -2
	s_addk_i32 s8, 0xff00
	s_addk_i32 s12, 0xff00
	v_add_u32_e32 v4, 0x800, v7
	s_cmp_lt_i32 s9, 2
	s_waitcnt lgkmcnt(0)
	v_mul_f64 v[2:3], v[2:3], v[8:9]
	s_mov_b32 s9, s13
	ds_write_b64 v4, v[2:3]
	s_cbranch_scc1 .LBB84_39
.LBB84_35:                              ; =>This Loop Header: Depth=1
                                        ;     Child Loop BB84_36 Depth 2
                                        ;     Child Loop BB84_38 Depth 2
	v_lshl_or_b32 v2, s9, 7, v1
	ds_read_b64 v[4:5], v2 offset:2048
	s_cmp_le_i32 s31, s9
	v_mov_b32_e32 v3, v6
	s_mov_b32 s13, s8
	s_mov_b32 s16, s31
	s_cbranch_scc1 .LBB84_37
.LBB84_36:                              ;   Parent Loop BB84_35 Depth=1
                                        ; =>  This Inner Loop Header: Depth=2
	v_mov_b32_e32 v7, s13
	ds_read_b64 v[8:9], v3
	ds_read_b64 v[10:11], v7
	s_add_i32 s16, s16, -1
	s_add_i32 s13, s13, -8
	v_add_u32_e32 v3, 0xffffff80, v3
	s_cmp_gt_i32 s16, s9
	s_waitcnt lgkmcnt(0)
	v_fma_f64 v[4:5], -v[8:9], v[10:11], v[4:5]
	s_cbranch_scc1 .LBB84_36
.LBB84_37:                              ;   in Loop: Header=BB84_35 Depth=1
	s_mul_i32 s13, s9, 0x88
	v_add_u32_e32 v8, 0x800, v2
	v_mov_b32_e32 v2, s13
	s_lshl_b32 s16, s9, 7
	ds_read_b64 v[10:11], v2
	s_addk_i32 s16, 0xff80
	v_lshl_or_b32 v7, v0, 3, s16
	ds_read_b64 v[2:3], v7 offset:2048
	s_cmp_lt_i32 s31, s9
	s_waitcnt lgkmcnt(1)
	v_mul_f64 v[4:5], v[4:5], v[10:11]
	ds_write_b64 v8, v[4:5]
	v_mov_b32_e32 v4, v6
	s_mov_b32 s16, s12
	s_mov_b32 s17, s30
	s_cbranch_scc1 .LBB84_34
.LBB84_38:                              ;   Parent Loop BB84_35 Depth=1
                                        ; =>  This Inner Loop Header: Depth=2
	v_mov_b32_e32 v5, s16
	ds_read_b64 v[8:9], v4
	ds_read_b64 v[10:11], v5
	s_add_i32 s17, s17, -1
	s_add_i32 s16, s16, -8
	v_add_u32_e32 v4, 0xffffff80, v4
	s_cmp_gt_i32 s17, s9
	s_waitcnt lgkmcnt(0)
	v_fma_f64 v[2:3], -v[8:9], v[10:11], v[2:3]
	s_cbranch_scc1 .LBB84_38
	s_branch .LBB84_34
.LBB84_39:
	s_mov_b64 s[8:9], 0
.LBB84_40:
	s_and_b64 vcc, exec, s[8:9]
	s_cbranch_vccz .LBB84_65
; %bb.41:
	s_cmp_gt_i32 s10, 15
	s_cselect_b64 s[8:9], -1, 0
	s_and_b64 vcc, exec, s[8:9]
	s_cbranch_vccz .LBB84_43
; %bb.42:
	v_lshlrev_b32_e32 v1, 3, v0
	v_add_u32_e32 v1, 0x800, v1
	v_mov_b32_e32 v50, 0
	ds_read2_b64 v[34:37], v1 offset1:16
	ds_read2_b64 v[26:29], v1 offset0:32 offset1:48
	ds_read2_b64 v[22:25], v1 offset0:64 offset1:80
	;; [unrolled: 1-line block ×5, first 2 shown]
	ds_read_b128 v[38:41], v50
	ds_read2_b64 v[6:9], v1 offset0:192 offset1:208
	ds_read2_b64 v[2:5], v1 offset0:224 offset1:240
	;; [unrolled: 1-line block ×3, first 2 shown]
	ds_read_b128 v[30:33], v50 offset:16
	s_waitcnt lgkmcnt(4)
	v_mul_f64 v[46:47], v[34:35], v[38:39]
	v_fma_f64 v[38:39], -v[46:47], v[40:41], v[36:37]
	ds_read2_b64 v[34:37], v50 offset0:19 offset1:20
	s_waitcnt lgkmcnt(2)
	v_mul_f64 v[48:49], v[38:39], v[42:43]
	ds_read_b128 v[38:41], v50 offset:272
	s_waitcnt lgkmcnt(2)
	v_fma_f64 v[26:27], -v[46:47], v[30:31], v[26:27]
	v_fma_f64 v[26:27], -v[48:49], v[44:45], v[26:27]
	v_fma_f64 v[32:33], -v[46:47], v[32:33], v[28:29]
	ds_read2_b64 v[28:31], v50 offset0:51 offset1:52
	ds_write2_b64 v1, v[46:47], v[48:49] offset1:16
	ds_read2_b64 v[42:45], v50 offset0:29 offset1:30
	s_waitcnt lgkmcnt(3)
	v_mul_f64 v[26:27], v[26:27], v[38:39]
	v_fma_f64 v[32:33], -v[48:49], v[34:35], v[32:33]
	v_fma_f64 v[52:53], -v[26:27], v[40:41], v[32:33]
	ds_read2_b64 v[32:35], v50 offset0:53 offset1:54
	ds_read_b128 v[38:41], v50 offset:32
	s_waitcnt lgkmcnt(4)
	v_mul_f64 v[28:29], v[52:53], v[28:29]
	ds_write2_b64 v1, v[26:27], v[28:29] offset0:32 offset1:48
	ds_read_b128 v[52:55], v50 offset:48
	ds_read_b128 v[56:59], v50 offset:288
	s_mov_b32 s12, 16
	s_waitcnt lgkmcnt(3)
	v_fma_f64 v[22:23], -v[46:47], v[38:39], v[22:23]
	v_fma_f64 v[22:23], -v[48:49], v[36:37], v[22:23]
	ds_read_b128 v[36:39], v50 offset:304
	ds_read_b128 v[60:63], v50 offset:544
	ds_read2_b64 v[64:67], v50 offset0:21 offset1:22
	ds_read_b128 v[68:71], v50 offset:560
	v_fma_f64 v[24:25], -v[46:47], v[40:41], v[24:25]
	s_waitcnt lgkmcnt(4)
	v_fma_f64 v[22:23], -v[26:27], v[56:57], v[22:23]
	v_fma_f64 v[22:23], -v[28:29], v[30:31], v[22:23]
	s_waitcnt lgkmcnt(1)
	v_fma_f64 v[24:25], -v[48:49], v[64:65], v[24:25]
	ds_read2_b64 v[72:75], v50 offset0:23 offset1:24
	v_fma_f64 v[24:25], -v[26:27], v[58:59], v[24:25]
	v_mul_f64 v[22:23], v[22:23], v[60:61]
	v_fma_f64 v[24:25], -v[28:29], v[32:33], v[24:25]
	ds_read2_b64 v[76:79], v50 offset0:85 offset1:86
	v_fma_f64 v[24:25], -v[22:23], v[62:63], v[24:25]
	ds_read2_b64 v[60:63], v50 offset0:55 offset1:56
	;; [unrolled: 2-line block ×3, first 2 shown]
	v_fma_f64 v[18:19], -v[48:49], v[66:67], v[18:19]
	ds_read_b128 v[56:59], v50 offset:816
	v_fma_f64 v[20:21], -v[46:47], v[54:55], v[20:21]
	ds_read2_b64 v[52:55], v50 offset0:119 offset1:120
	v_fma_f64 v[18:19], -v[26:27], v[36:37], v[18:19]
	s_waitcnt lgkmcnt(5)
	v_fma_f64 v[20:21], -v[48:49], v[72:73], v[20:21]
	v_fma_f64 v[18:19], -v[28:29], v[34:35], v[18:19]
	;; [unrolled: 1-line block ×4, first 2 shown]
	ds_read2_b64 v[38:41], v50 offset0:57 offset1:58
	s_waitcnt lgkmcnt(5)
	v_mul_f64 v[24:25], v[24:25], v[76:77]
	s_waitcnt lgkmcnt(4)
	v_fma_f64 v[20:21], -v[28:29], v[60:61], v[20:21]
	v_fma_f64 v[18:19], -v[24:25], v[78:79], v[18:19]
	;; [unrolled: 1-line block ×3, first 2 shown]
	ds_read2_b64 v[34:37], v50 offset0:93 offset1:94
	s_waitcnt lgkmcnt(3)
	v_mul_f64 v[18:19], v[18:19], v[56:57]
	v_fma_f64 v[20:21], -v[24:25], v[30:31], v[20:21]
	ds_write2_b64 v1, v[22:23], v[24:25] offset0:64 offset1:80
	v_fma_f64 v[20:21], -v[18:19], v[58:59], v[20:21]
	ds_read2_b64 v[56:59], v50 offset0:121 offset1:122
	ds_read_b128 v[64:67], v50 offset:64
	s_waitcnt lgkmcnt(5)
	v_mul_f64 v[20:21], v[20:21], v[52:53]
	ds_write2_b64 v1, v[18:19], v[20:21] offset0:96 offset1:112
	ds_read_b128 v[68:71], v50 offset:80
	ds_read_b128 v[76:79], v50 offset:320
	s_waitcnt lgkmcnt(3)
	v_fma_f64 v[14:15], -v[46:47], v[64:65], v[14:15]
	v_fma_f64 v[14:15], -v[48:49], v[74:75], v[14:15]
	ds_read_b128 v[72:75], v50 offset:336
	ds_read_b128 v[80:83], v50 offset:576
	s_waitcnt lgkmcnt(2)
	v_fma_f64 v[14:15], -v[26:27], v[76:77], v[14:15]
	v_fma_f64 v[14:15], -v[28:29], v[62:63], v[14:15]
	ds_read_b128 v[60:63], v50 offset:592
	ds_read_b128 v[84:87], v50 offset:832
	v_fma_f64 v[16:17], -v[46:47], v[66:67], v[16:17]
	s_waitcnt lgkmcnt(2)
	v_fma_f64 v[14:15], -v[22:23], v[80:81], v[14:15]
	v_fma_f64 v[14:15], -v[24:25], v[32:33], v[14:15]
	ds_read_b128 v[30:33], v50 offset:848
	ds_read_b128 v[88:91], v50 offset:1088
	s_waitcnt lgkmcnt(2)
	v_fma_f64 v[14:15], -v[18:19], v[84:85], v[14:15]
	v_fma_f64 v[14:15], -v[20:21], v[54:55], v[14:15]
	ds_read2_b64 v[52:55], v50 offset0:25 offset1:26
	ds_read_b128 v[92:95], v50 offset:1104
	ds_read2_b64 v[96:99], v50 offset0:89 offset1:90
	v_fma_f64 v[10:11], -v[46:47], v[68:69], v[10:11]
	s_waitcnt lgkmcnt(3)
	v_mul_f64 v[14:15], v[14:15], v[88:89]
	s_waitcnt lgkmcnt(2)
	v_fma_f64 v[16:17], -v[48:49], v[52:53], v[16:17]
	v_fma_f64 v[16:17], -v[26:27], v[78:79], v[16:17]
	;; [unrolled: 1-line block ×6, first 2 shown]
	ds_read2_b64 v[80:83], v50 offset0:153 offset1:154
	v_fma_f64 v[10:11], -v[28:29], v[40:41], v[10:11]
	s_waitcnt lgkmcnt(1)
	v_fma_f64 v[16:17], -v[24:25], v[96:97], v[16:17]
	v_fma_f64 v[10:11], -v[22:23], v[60:61], v[10:11]
	;; [unrolled: 1-line block ×4, first 2 shown]
	ds_read_b128 v[38:41], v50 offset:1360
	ds_read2_b64 v[64:67], v50 offset0:27 offset1:28
	v_fma_f64 v[16:17], -v[20:21], v[56:57], v[16:17]
	v_fma_f64 v[10:11], -v[18:19], v[30:31], v[10:11]
	;; [unrolled: 1-line block ×4, first 2 shown]
	ds_read2_b64 v[56:59], v50 offset0:59 offset1:60
	s_waitcnt lgkmcnt(3)
	v_mul_f64 v[16:17], v[16:17], v[80:81]
	v_fma_f64 v[10:11], -v[14:15], v[92:93], v[10:11]
	v_fma_f64 v[10:11], -v[16:17], v[82:83], v[10:11]
	ds_read2_b64 v[76:79], v50 offset0:91 offset1:92
	s_waitcnt lgkmcnt(3)
	v_mul_f64 v[112:113], v[10:11], v[38:39]
	v_fma_f64 v[10:11], -v[46:47], v[70:71], v[12:13]
	s_waitcnt lgkmcnt(2)
	v_fma_f64 v[10:11], -v[48:49], v[64:65], v[10:11]
	v_fma_f64 v[30:31], -v[26:27], v[74:75], v[10:11]
	ds_read2_b64 v[10:13], v50 offset0:61 offset1:62
	ds_read2_b64 v[68:71], v50 offset0:123 offset1:124
	s_waitcnt lgkmcnt(3)
	v_fma_f64 v[30:31], -v[28:29], v[56:57], v[30:31]
	ds_read2_b64 v[84:87], v50 offset0:155 offset1:156
	ds_read2_b64 v[52:55], v50 offset0:157 offset1:158
	v_fma_f64 v[30:31], -v[22:23], v[62:63], v[30:31]
	s_waitcnt lgkmcnt(4)
	v_fma_f64 v[30:31], -v[24:25], v[76:77], v[30:31]
	v_fma_f64 v[38:39], -v[18:19], v[32:33], v[30:31]
	ds_read2_b64 v[60:63], v50 offset0:187 offset1:188
	ds_read2_b64 v[30:33], v50 offset0:125 offset1:126
	s_waitcnt lgkmcnt(4)
	v_fma_f64 v[38:39], -v[20:21], v[68:69], v[38:39]
	v_fma_f64 v[38:39], -v[14:15], v[94:95], v[38:39]
	ds_write2_b64 v1, v[14:15], v[16:17] offset0:128 offset1:144
	s_waitcnt lgkmcnt(4)
	v_fma_f64 v[38:39], -v[16:17], v[84:85], v[38:39]
	v_fma_f64 v[56:57], -v[112:113], v[40:41], v[38:39]
	ds_read2_b64 v[38:41], v50 offset0:189 offset1:190
	ds_read_b128 v[72:75], v50 offset:96
	s_waitcnt lgkmcnt(4)
	v_mul_f64 v[114:115], v[56:57], v[60:61]
	ds_write2_b64 v1, v[112:113], v[114:115] offset0:160 offset1:176
	ds_read_b128 v[80:83], v50 offset:112
	ds_read_b128 v[88:91], v50 offset:352
	s_waitcnt lgkmcnt(3)
	v_fma_f64 v[6:7], -v[46:47], v[72:73], v[6:7]
	v_fma_f64 v[6:7], -v[48:49], v[66:67], v[6:7]
	ds_read_b128 v[64:67], v50 offset:368
	ds_read_b128 v[92:95], v50 offset:608
	s_waitcnt lgkmcnt(2)
	v_fma_f64 v[6:7], -v[26:27], v[88:89], v[6:7]
	v_fma_f64 v[6:7], -v[28:29], v[58:59], v[6:7]
	ds_read_b128 v[56:59], v50 offset:624
	ds_read_b128 v[96:99], v50 offset:864
	v_fma_f64 v[2:3], -v[46:47], v[80:81], v[2:3]
	s_waitcnt lgkmcnt(2)
	v_fma_f64 v[6:7], -v[22:23], v[92:93], v[6:7]
	v_fma_f64 v[6:7], -v[24:25], v[78:79], v[6:7]
	ds_read_b128 v[76:79], v50 offset:880
	ds_read_b128 v[100:103], v50 offset:1120
	s_waitcnt lgkmcnt(2)
	v_fma_f64 v[6:7], -v[18:19], v[96:97], v[6:7]
	v_fma_f64 v[6:7], -v[20:21], v[70:71], v[6:7]
	ds_read_b128 v[68:71], v50 offset:1136
	ds_read_b128 v[104:107], v50 offset:1376
	v_fma_f64 v[2:3], -v[48:49], v[44:45], v[2:3]
	s_waitcnt lgkmcnt(2)
	v_fma_f64 v[6:7], -v[14:15], v[100:101], v[6:7]
	v_fma_f64 v[6:7], -v[16:17], v[86:87], v[6:7]
	ds_read_b128 v[84:87], v50 offset:1632
	ds_read_b128 v[108:111], v50 offset:1392
	s_waitcnt lgkmcnt(2)
	v_fma_f64 v[6:7], -v[112:113], v[104:105], v[6:7]
	v_fma_f64 v[6:7], -v[114:115], v[62:63], v[6:7]
	;; [unrolled: 1-line block ×3, first 2 shown]
	s_waitcnt lgkmcnt(1)
	v_mul_f64 v[84:85], v[6:7], v[84:85]
	v_fma_f64 v[6:7], -v[46:47], v[74:75], v[8:9]
	v_fma_f64 v[6:7], -v[48:49], v[42:43], v[6:7]
	;; [unrolled: 1-line block ×11, first 2 shown]
	ds_read_b128 v[60:63], v50 offset:1648
	v_fma_f64 v[10:11], -v[16:17], v[52:53], v[6:7]
	ds_read2_b64 v[6:9], v50 offset0:221 offset1:222
	v_fma_f64 v[2:3], -v[24:25], v[36:37], v[2:3]
	v_fma_f64 v[2:3], -v[18:19], v[76:77], v[2:3]
	;; [unrolled: 1-line block ×7, first 2 shown]
	ds_read_b128 v[72:75], v50 offset:1904
	v_fma_f64 v[2:3], -v[16:17], v[54:55], v[2:3]
	s_waitcnt lgkmcnt(1)
	v_mul_f64 v[30:31], v[10:11], v[6:7]
	v_fma_f64 v[2:3], -v[112:113], v[108:109], v[2:3]
	ds_read2_b64 v[10:13], v50 offset0:31 offset1:63
	v_fma_f64 v[2:3], -v[114:115], v[40:41], v[2:3]
	v_fma_f64 v[2:3], -v[84:85], v[60:61], v[2:3]
	;; [unrolled: 1-line block ×3, first 2 shown]
	s_waitcnt lgkmcnt(1)
	v_mul_f64 v[32:33], v[2:3], v[72:73]
	v_fma_f64 v[6:7], -v[46:47], v[82:83], v[4:5]
	ds_read2_b64 v[2:5], v50 offset0:95 offset1:127
	s_waitcnt lgkmcnt(1)
	v_fma_f64 v[6:7], -v[48:49], v[10:11], v[6:7]
	v_fma_f64 v[6:7], -v[26:27], v[66:67], v[6:7]
	;; [unrolled: 1-line block ×4, first 2 shown]
	s_waitcnt lgkmcnt(0)
	v_fma_f64 v[2:3], -v[24:25], v[2:3], v[6:7]
	ds_read2_b64 v[6:9], v50 offset0:159 offset1:191
	v_fma_f64 v[2:3], -v[18:19], v[78:79], v[2:3]
	v_fma_f64 v[2:3], -v[20:21], v[4:5], v[2:3]
	;; [unrolled: 1-line block ×3, first 2 shown]
	ds_read2_b64 v[2:5], v50 offset0:223 offset1:255
	s_waitcnt lgkmcnt(1)
	v_fma_f64 v[6:7], -v[16:17], v[6:7], v[10:11]
	v_fma_f64 v[6:7], -v[112:113], v[110:111], v[6:7]
	;; [unrolled: 1-line block ×4, first 2 shown]
	s_waitcnt lgkmcnt(0)
	v_fma_f64 v[2:3], -v[30:31], v[2:3], v[6:7]
	v_fma_f64 v[2:3], -v[32:33], v[74:75], v[2:3]
	v_mul_f64 v[2:3], v[2:3], v[4:5]
	ds_write2_b64 v1, v[84:85], v[30:31] offset0:192 offset1:208
	ds_write2_b64 v1, v[32:33], v[2:3] offset0:224 offset1:240
	s_cmp_lt_i32 s12, s30
	s_cbranch_scc1 .LBB84_44
	s_branch .LBB84_65
.LBB84_43:
	s_mov_b32 s12, 0
	s_cmp_lt_i32 s12, s30
	s_cbranch_scc0 .LBB84_65
.LBB84_44:
	s_or_b32 s13, s12, 11
	s_cmp_ge_u32 s13, s30
	s_cbranch_scc1 .LBB84_54
; %bb.45:
	s_lshl_b32 s16, s12, 4
	v_or_b32_e32 v1, s16, v0
	v_lshlrev_b32_e32 v22, 3, v1
	v_add_u32_e32 v26, 0x800, v22
	ds_read2_b64 v[18:21], v26 offset1:16
	ds_read2_b64 v[14:17], v26 offset0:32 offset1:48
	ds_read2_b64 v[10:13], v26 offset0:64 offset1:80
	;; [unrolled: 1-line block ×4, first 2 shown]
	v_lshlrev_b32_e32 v1, 3, v0
	v_lshl_or_b32 v27, s13, 7, v1
	ds_read_b64 v[40:41], v22 offset:3328
	ds_read_b64 v[38:39], v27 offset:2048
	s_andn2_b64 vcc, exec, s[8:9]
	s_cbranch_vccnz .LBB84_53
; %bb.46:
	s_max_u32 s8, s12, 1
	s_cmp_eq_u32 s8, 1
	s_cbranch_scc1 .LBB84_50
; %bb.47:
	v_mov_b32_e32 v22, 0x800
	s_and_b32 s9, s8, 16
	s_lshl_b32 s17, s12, 3
	v_lshl_or_b32 v28, v0, 3, v22
	s_mov_b32 s18, 0
.LBB84_48:                              ; =>This Inner Loop Header: Depth=1
	ds_read2_b64 v[22:25], v28 offset1:16
	v_mov_b32_e32 v29, s17
	ds_read_b128 v[30:33], v29
	ds_read_b128 v[34:37], v29 offset:16
	ds_read_b128 v[42:45], v29 offset:32
	;; [unrolled: 1-line block ×11, first 2 shown]
	s_add_i32 s18, s18, 2
	s_addk_i32 s17, 0x100
	s_waitcnt lgkmcnt(11)
	v_fma_f64 v[18:19], -v[22:23], v[30:31], v[18:19]
	v_fma_f64 v[20:21], -v[22:23], v[32:33], v[20:21]
	s_waitcnt lgkmcnt(10)
	v_fma_f64 v[14:15], -v[22:23], v[34:35], v[14:15]
	v_fma_f64 v[16:17], -v[22:23], v[36:37], v[16:17]
	;; [unrolled: 3-line block ×6, first 2 shown]
	v_add_u32_e32 v28, 0x100, v28
	s_cmp_lg_u32 s9, s18
	s_waitcnt lgkmcnt(5)
	v_fma_f64 v[18:19], -v[24:25], v[58:59], v[18:19]
	v_fma_f64 v[20:21], -v[24:25], v[60:61], v[20:21]
	s_waitcnt lgkmcnt(4)
	v_fma_f64 v[14:15], -v[24:25], v[62:63], v[14:15]
	v_fma_f64 v[16:17], -v[24:25], v[64:65], v[16:17]
	;; [unrolled: 3-line block ×6, first 2 shown]
	s_cbranch_scc1 .LBB84_48
; %bb.49:
	s_lshl_b32 s9, s9, 4
	s_branch .LBB84_51
.LBB84_50:
	s_mov_b32 s9, 0
.LBB84_51:
	s_bitcmp0_b32 s8, 0
	s_cbranch_scc1 .LBB84_53
; %bb.52:
	s_add_i32 s8, s9, s12
	v_add_lshl_u32 v22, s9, v0, 3
	s_lshl_b32 s8, s8, 3
	v_mov_b32_e32 v42, s8
	ds_read_b64 v[36:37], v22 offset:2048
	ds_read_b128 v[22:25], v42
	ds_read_b128 v[28:31], v42 offset:16
	ds_read_b128 v[32:35], v42 offset:32
	s_waitcnt lgkmcnt(2)
	v_fma_f64 v[18:19], -v[36:37], v[22:23], v[18:19]
	v_fma_f64 v[20:21], -v[36:37], v[24:25], v[20:21]
	s_waitcnt lgkmcnt(1)
	v_fma_f64 v[14:15], -v[36:37], v[28:29], v[14:15]
	v_fma_f64 v[16:17], -v[36:37], v[30:31], v[16:17]
	ds_read_b128 v[22:25], v42 offset:48
	ds_read_b128 v[28:31], v42 offset:64
	s_waitcnt lgkmcnt(2)
	v_fma_f64 v[10:11], -v[36:37], v[32:33], v[10:11]
	v_fma_f64 v[12:13], -v[36:37], v[34:35], v[12:13]
	ds_read_b128 v[32:35], v42 offset:80
	s_waitcnt lgkmcnt(2)
	v_fma_f64 v[6:7], -v[36:37], v[22:23], v[6:7]
	v_fma_f64 v[8:9], -v[36:37], v[24:25], v[8:9]
	s_waitcnt lgkmcnt(1)
	v_fma_f64 v[2:3], -v[36:37], v[28:29], v[2:3]
	v_fma_f64 v[4:5], -v[36:37], v[30:31], v[4:5]
	;; [unrolled: 3-line block ×3, first 2 shown]
.LBB84_53:
	s_mul_i32 s8, s12, 0x88
	v_mov_b32_e32 v49, s8
	ds_read_b128 v[22:25], v49
	ds_read_b128 v[28:31], v49 offset:16
	ds_read2_b64 v[32:35], v49 offset0:17 offset1:18
	s_or_b32 s8, s16, 16
	ds_read_b128 v[50:53], v49 offset:272
	s_or_b32 s9, s16, 32
	s_waitcnt lgkmcnt(3)
	v_mul_f64 v[42:43], v[18:19], v[22:23]
	v_fma_f64 v[22:23], -v[42:43], v[24:25], v[20:21]
	s_waitcnt lgkmcnt(1)
	v_mul_f64 v[44:45], v[22:23], v[32:33]
	v_or_b32_e32 v22, s8, v0
	s_add_i32 s8, s12, s8
	s_lshl_b32 s8, s8, 3
	v_mov_b32_e32 v58, s8
	v_fma_f64 v[14:15], -v[42:43], v[28:29], v[14:15]
	ds_read2_b64 v[54:57], v58 offset0:3 offset1:4
	v_fma_f64 v[14:15], -v[44:45], v[34:35], v[14:15]
	v_add_u32_e32 v48, 0x800, v27
	ds_write_b64 v26, v[42:43]
	ds_read2_b64 v[26:29], v49 offset0:51 offset1:52
	s_waitcnt lgkmcnt(3)
	v_mul_f64 v[46:47], v[14:15], v[50:51]
	v_or_b32_e32 v14, s9, v0
	v_lshlrev_b32_e32 v14, 3, v14
	v_lshlrev_b32_e32 v22, 3, v22
	ds_write_b64 v14, v[46:47] offset:2048
	v_fma_f64 v[14:15], -v[42:43], v[30:31], v[16:17]
	ds_write_b64 v22, v[44:45] offset:2048
	ds_read2_b64 v[22:25], v58 offset0:5 offset1:6
	s_waitcnt lgkmcnt(5)
	v_fma_f64 v[14:15], -v[44:45], v[54:55], v[14:15]
	s_add_i32 s8, s12, s9
	s_lshl_b32 s9, s8, 3
	v_fma_f64 v[14:15], -v[46:47], v[52:53], v[14:15]
	s_or_b32 s8, s16, 48
	ds_read_b128 v[18:21], v49 offset:64
	ds_read_b128 v[30:33], v49 offset:32
	s_waitcnt lgkmcnt(5)
	v_mul_f64 v[26:27], v[14:15], v[26:27]
	v_or_b32_e32 v14, s8, v0
	v_lshlrev_b32_e32 v14, 3, v14
	ds_write_b64 v14, v[26:27] offset:2048
	v_mov_b32_e32 v59, s9
	ds_read_b128 v[34:37], v59 offset:32
	ds_read_b128 v[14:17], v49 offset:48
	;; [unrolled: 1-line block ×3, first 2 shown]
	s_waitcnt lgkmcnt(4)
	v_fma_f64 v[10:11], -v[42:43], v[30:31], v[10:11]
	v_fma_f64 v[10:11], -v[44:45], v[56:57], v[10:11]
	s_add_i32 s8, s12, s8
	s_waitcnt lgkmcnt(2)
	v_fma_f64 v[10:11], -v[46:47], v[34:35], v[10:11]
	s_lshl_b32 s8, s8, 3
	v_fma_f64 v[10:11], -v[26:27], v[28:29], v[10:11]
	ds_read2_b64 v[28:31], v49 offset0:85 offset1:86
	s_or_b32 s9, s16, 64
	v_mov_b32_e32 v60, s8
	s_waitcnt lgkmcnt(1)
	v_mul_f64 v[68:69], v[10:11], v[50:51]
	v_or_b32_e32 v10, s9, v0
	ds_read2_b64 v[54:57], v60 offset0:5 offset1:6
	v_lshlrev_b32_e32 v10, 3, v10
	ds_write_b64 v10, v[68:69] offset:2048
	v_fma_f64 v[10:11], -v[42:43], v[32:33], v[12:13]
	v_fma_f64 v[10:11], -v[44:45], v[22:23], v[10:11]
	;; [unrolled: 1-line block ×3, first 2 shown]
	ds_read_b128 v[10:13], v59 offset:80
	s_waitcnt lgkmcnt(2)
	v_fma_f64 v[22:23], -v[26:27], v[54:55], v[22:23]
	s_add_i32 s8, s12, s9
	v_fma_f64 v[22:23], -v[68:69], v[52:53], v[22:23]
	s_or_b32 s9, s16, 0x50
	ds_read_b64 v[66:67], v58 offset:88
	ds_read_b128 v[32:35], v59 offset:48
	v_mul_f64 v[36:37], v[22:23], v[28:29]
	v_or_b32_e32 v22, s9, v0
	s_lshl_b32 s8, s8, 3
	v_lshlrev_b32_e32 v22, 3, v22
	ds_write_b64 v22, v[36:37] offset:2048
	v_fma_f64 v[6:7], -v[42:43], v[14:15], v[6:7]
	v_mov_b32_e32 v76, s8
	v_fma_f64 v[6:7], -v[44:45], v[24:25], v[6:7]
	ds_read_b128 v[22:25], v76 offset:48
	ds_read_b128 v[50:53], v59 offset:64
	s_waitcnt lgkmcnt(3)
	v_fma_f64 v[6:7], -v[46:47], v[32:33], v[6:7]
	v_fma_f64 v[6:7], -v[26:27], v[56:57], v[6:7]
	ds_read2_b64 v[54:57], v49 offset0:102 offset1:119
	s_waitcnt lgkmcnt(2)
	v_fma_f64 v[6:7], -v[68:69], v[22:23], v[6:7]
	ds_read_b64 v[70:71], v60 offset:88
	v_fma_f64 v[6:7], -v[36:37], v[30:31], v[6:7]
	ds_read2_b64 v[28:31], v58 offset0:7 offset1:8
	s_add_i32 s8, s12, s9
	s_or_b32 s9, s16, 0x60
	s_lshl_b32 s8, s8, 3
	s_waitcnt lgkmcnt(2)
	v_mul_f64 v[72:73], v[6:7], v[54:55]
	v_or_b32_e32 v6, s9, v0
	v_fma_f64 v[22:23], -v[42:43], v[16:17], v[8:9]
	v_lshlrev_b32_e32 v6, 3, v6
	s_waitcnt lgkmcnt(0)
	v_fma_f64 v[22:23], -v[44:45], v[28:29], v[22:23]
	v_mov_b32_e32 v28, s8
	s_add_i32 s8, s12, s9
	ds_write_b64 v6, v[72:73] offset:2048
	s_lshl_b32 s8, s8, 3
	ds_read2_b64 v[6:9], v60 offset0:7 offset1:8
	ds_read2_b64 v[14:17], v58 offset0:9 offset1:10
	v_mov_b32_e32 v77, s8
	v_fma_f64 v[22:23], -v[46:47], v[34:35], v[22:23]
	ds_read2_b64 v[32:35], v60 offset0:9 offset1:10
	ds_read2_b64 v[62:65], v77 offset0:7 offset1:8
	;; [unrolled: 1-line block ×3, first 2 shown]
	s_waitcnt lgkmcnt(4)
	v_fma_f64 v[6:7], -v[26:27], v[6:7], v[22:23]
	v_fma_f64 v[6:7], -v[68:69], v[24:25], v[6:7]
	ds_read2_b64 v[22:25], v28 offset0:9 offset1:10
	s_or_b32 s8, s16, 0x70
	s_waitcnt lgkmcnt(1)
	v_fma_f64 v[6:7], -v[36:37], v[58:59], v[6:7]
	v_fma_f64 v[6:7], -v[72:73], v[62:63], v[6:7]
	v_mul_f64 v[62:63], v[6:7], v[56:57]
	v_or_b32_e32 v6, s8, v0
	v_fma_f64 v[2:3], -v[42:43], v[18:19], v[2:3]
	ds_read_b128 v[54:57], v76 offset:64
	s_add_i32 s8, s12, s8
	v_fma_f64 v[2:3], -v[44:45], v[30:31], v[2:3]
	s_lshl_b32 s8, s8, 3
	v_fma_f64 v[2:3], -v[46:47], v[50:51], v[2:3]
	v_mov_b32_e32 v50, s8
	ds_read_b64 v[74:75], v28 offset:88
	ds_read_b128 v[28:31], v50 offset:64
	v_lshlrev_b32_e32 v6, 3, v6
	v_fma_f64 v[2:3], -v[26:27], v[8:9], v[2:3]
	ds_read_b64 v[18:19], v49 offset:1088
	ds_write_b64 v6, v[62:63] offset:2048
	ds_read_b128 v[6:9], v76 offset:80
	s_waitcnt lgkmcnt(5)
	v_fma_f64 v[2:3], -v[68:69], v[54:55], v[2:3]
	v_fma_f64 v[2:3], -v[36:37], v[60:61], v[2:3]
	ds_read_b128 v[58:61], v50 offset:80
	v_fma_f64 v[2:3], -v[72:73], v[64:65], v[2:3]
	s_waitcnt lgkmcnt(4)
	v_fma_f64 v[2:3], -v[62:63], v[28:29], v[2:3]
	s_or_b32 s8, s16, 0x80
	s_waitcnt lgkmcnt(3)
	v_mul_f64 v[54:55], v[2:3], v[18:19]
	v_or_b32_e32 v2, s8, v0
	v_lshlrev_b32_e32 v2, 3, v2
	ds_write_b64 v2, v[54:55] offset:2048
	v_fma_f64 v[2:3], -v[42:43], v[20:21], v[4:5]
	v_fma_f64 v[2:3], -v[44:45], v[14:15], v[2:3]
	;; [unrolled: 1-line block ×6, first 2 shown]
	s_add_i32 s8, s12, s8
	ds_read2_b64 v[2:5], v77 offset0:9 offset1:10
	s_lshl_b32 s8, s8, 3
	v_mov_b32_e32 v28, s8
	ds_read2_b64 v[18:21], v28 offset0:9 offset1:10
	ds_read_b64 v[22:23], v77 offset:88
	s_or_b32 s9, s12, 9
	s_waitcnt lgkmcnt(2)
	v_fma_f64 v[2:3], -v[72:73], v[2:3], v[14:15]
	v_fma_f64 v[2:3], -v[62:63], v[30:31], v[2:3]
	s_lshl_b32 s8, s9, 4
	s_mulk_i32 s9, 0x88
	s_waitcnt lgkmcnt(1)
	v_fma_f64 v[2:3], -v[54:55], v[18:19], v[2:3]
	v_mov_b32_e32 v18, s9
	s_add_i32 s9, s12, s16
	ds_read_b64 v[14:15], v28 offset:88
	ds_read2_b64 v[28:31], v18 offset1:1
	s_lshl_b32 s9, s9, 3
	v_mov_b32_e32 v18, s9
	ds_read_b128 v[50:53], v18 offset:80
	s_or_b32 s9, s12, 10
	s_waitcnt lgkmcnt(1)
	v_mul_f64 v[18:19], v[2:3], v[28:29]
	v_or_b32_e32 v2, s8, v0
	v_lshlrev_b32_e32 v2, 3, v2
	ds_write_b64 v2, v[18:19] offset:2048
	s_waitcnt lgkmcnt(1)
	v_fma_f64 v[2:3], -v[42:43], v[50:51], v[40:41]
	v_fma_f64 v[2:3], -v[44:45], v[16:17], v[2:3]
	;; [unrolled: 1-line block ×8, first 2 shown]
	s_mul_i32 s16, s9, 0x88
	v_fma_f64 v[6:7], -v[54:55], v[20:21], v[2:3]
	v_mov_b32_e32 v2, s16
	ds_read_b128 v[2:5], v2
	v_fma_f64 v[6:7], -v[18:19], v[30:31], v[6:7]
	s_add_i32 s8, s12, s8
	s_lshl_b32 s8, s8, 3
	v_mov_b32_e32 v10, s8
	s_waitcnt lgkmcnt(0)
	v_mul_f64 v[2:3], v[6:7], v[2:3]
	v_fma_f64 v[6:7], -v[42:43], v[52:53], v[38:39]
	v_fma_f64 v[6:7], -v[44:45], v[66:67], v[6:7]
	;; [unrolled: 1-line block ×4, first 2 shown]
	ds_read_b64 v[10:11], v10 offset:88
	v_lshl_or_b32 v1, s9, 7, v1
	v_fma_f64 v[6:7], -v[68:69], v[8:9], v[6:7]
	s_mul_i32 s8, s13, 0x88
	ds_write_b64 v1, v[2:3] offset:2048
	v_fma_f64 v[6:7], -v[36:37], v[74:75], v[6:7]
	v_mov_b32_e32 v1, s8
	ds_read_b64 v[8:9], v1
	v_fma_f64 v[6:7], -v[72:73], v[22:23], v[6:7]
	v_fma_f64 v[6:7], -v[62:63], v[60:61], v[6:7]
	v_fma_f64 v[6:7], -v[54:55], v[14:15], v[6:7]
	s_waitcnt lgkmcnt(2)
	v_fma_f64 v[6:7], -v[18:19], v[10:11], v[6:7]
	v_fma_f64 v[2:3], -v[2:3], v[4:5], v[6:7]
	s_waitcnt lgkmcnt(0)
	v_mul_f64 v[2:3], v[2:3], v[8:9]
	s_or_b32 s12, s12, 12
	ds_write_b64 v48, v[2:3]
.LBB84_54:
	s_cmp_ge_i32 s12, s30
	s_cbranch_scc1 .LBB84_65
; %bb.55:
	v_mov_b32_e32 v1, 0x800
	s_add_i32 s8, s12, -1
	s_lshl_b32 s9, s12, 3
	v_lshl_or_b32 v1, v0, 3, v1
	s_mov_b32 s13, 0
	v_lshlrev_b32_e32 v4, 3, v0
	s_mov_b32 s16, s12
	s_branch .LBB84_57
.LBB84_56:                              ;   in Loop: Header=BB84_57 Depth=1
	s_mul_i32 s17, s12, 0x88
	v_mov_b32_e32 v6, s17
	ds_read_b64 v[6:7], v6
	s_add_i32 s12, s12, 1
	s_add_i32 s13, s13, 1
	;; [unrolled: 1-line block ×3, first 2 shown]
	v_add_u16_e64 v8, s16, 1
	v_add_u32_e32 v5, 0x800, v5
	s_waitcnt lgkmcnt(0)
	v_mul_f64 v[2:3], v[2:3], v[6:7]
	s_cmp_ge_i32 s12, s30
	v_readfirstlane_b32 s16, v8
	ds_write_b64 v5, v[2:3]
	s_cbranch_scc1 .LBB84_65
.LBB84_57:                              ; =>This Loop Header: Depth=1
                                        ;     Child Loop BB84_60 Depth 2
                                        ;     Child Loop BB84_64 Depth 2
	v_lshl_or_b32 v5, s12, 7, v4
	ds_read_b64 v[2:3], v5 offset:2048
	s_cmp_eq_u32 s12, 0
	s_cbranch_scc1 .LBB84_56
; %bb.58:                               ;   in Loop: Header=BB84_57 Depth=1
	s_add_i32 s17, s8, s13
	s_cmp_lt_u32 s17, 7
	s_cbranch_scc1 .LBB84_62
; %bb.59:                               ;   in Loop: Header=BB84_57 Depth=1
	s_and_b32 s17, s12, -8
	s_mov_b32 s18, 0
	v_mov_b32_e32 v6, v1
	s_mov_b32 s19, s9
.LBB84_60:                              ;   Parent Loop BB84_57 Depth=1
                                        ; =>  This Inner Loop Header: Depth=2
	ds_read2_b64 v[8:11], v6 offset1:16
	v_mov_b32_e32 v7, s19
	ds_read2_b64 v[12:15], v6 offset0:32 offset1:48
	ds_read2_b64 v[16:19], v6 offset0:64 offset1:80
	;; [unrolled: 1-line block ×3, first 2 shown]
	ds_read2_b64 v[24:27], v7 offset1:16
	ds_read2_b64 v[28:31], v7 offset0:32 offset1:48
	ds_read2_b64 v[32:35], v7 offset0:64 offset1:80
	;; [unrolled: 1-line block ×3, first 2 shown]
	s_add_i32 s18, s18, 8
	s_waitcnt lgkmcnt(3)
	v_fma_f64 v[2:3], -v[8:9], v[24:25], v[2:3]
	v_fma_f64 v[2:3], -v[10:11], v[26:27], v[2:3]
	s_waitcnt lgkmcnt(2)
	v_fma_f64 v[2:3], -v[12:13], v[28:29], v[2:3]
	v_fma_f64 v[2:3], -v[14:15], v[30:31], v[2:3]
	s_waitcnt lgkmcnt(1)
	v_fma_f64 v[2:3], -v[16:17], v[32:33], v[2:3]
	v_fma_f64 v[2:3], -v[18:19], v[34:35], v[2:3]
	s_addk_i32 s19, 0x400
	s_waitcnt lgkmcnt(0)
	v_fma_f64 v[2:3], -v[20:21], v[36:37], v[2:3]
	v_add_u32_e32 v6, 0x400, v6
	s_cmp_lg_u32 s17, s18
	v_fma_f64 v[2:3], -v[22:23], v[38:39], v[2:3]
	s_cbranch_scc1 .LBB84_60
; %bb.61:                               ;   in Loop: Header=BB84_57 Depth=1
	s_and_b32 s18, s12, 7
	s_cmp_eq_u32 s18, 0
	s_cbranch_scc0 .LBB84_63
	s_branch .LBB84_56
.LBB84_62:                              ;   in Loop: Header=BB84_57 Depth=1
	s_mov_b32 s17, 0
	s_and_b32 s18, s12, 7
	s_cmp_eq_u32 s18, 0
	s_cbranch_scc1 .LBB84_56
.LBB84_63:                              ;   in Loop: Header=BB84_57 Depth=1
	s_and_b32 s18, s16, 7
	s_lshl_b32 s17, s17, 7
.LBB84_64:                              ;   Parent Loop BB84_57 Depth=1
                                        ; =>  This Inner Loop Header: Depth=2
	s_add_i32 s19, s9, s17
	v_add_u32_e32 v6, s17, v1
	v_mov_b32_e32 v8, s19
	ds_read_b64 v[6:7], v6
	ds_read_b64 v[8:9], v8
	s_addk_i32 s17, 0x80
	s_add_i32 s18, s18, -1
	s_cmp_lg_u32 s18, 0
	s_waitcnt lgkmcnt(0)
	v_fma_f64 v[2:3], -v[6:7], v[8:9], v[2:3]
	s_cbranch_scc1 .LBB84_64
	s_branch .LBB84_56
.LBB84_65:
	s_waitcnt lgkmcnt(0)
	; wave barrier
	s_waitcnt lgkmcnt(0)
	s_and_saveexec_b64 s[8:9], s[6:7]
	s_cbranch_execz .LBB84_72
; %bb.66:
	s_cmp_lt_i32 s10, 8
	s_mov_b32 s6, 0
	s_cbranch_scc1 .LBB84_69
; %bb.67:
	v_mad_i64_i32 v[2:3], s[6:7], s22, v0, 0
	v_lshlrev_b64 v[2:3], 3, v[2:3]
	v_mov_b32_e32 v4, s24
	v_add_co_u32_e32 v1, vcc, s11, v2
	v_addc_co_u32_e32 v2, vcc, v4, v3, vcc
	v_mov_b32_e32 v3, 0x800
	s_lshl_b32 s6, s30, 3
	v_lshl_or_b32 v3, v0, 3, v3
	s_and_b32 s7, s6, 0xc0
	s_mov_b32 s6, 0
	s_mov_b64 s[8:9], 0
.LBB84_68:                              ; =>This Inner Loop Header: Depth=1
	ds_read2_b64 v[4:7], v3 offset1:16
	ds_read2_b64 v[8:11], v3 offset0:32 offset1:48
	ds_read2_b64 v[12:15], v3 offset0:64 offset1:80
	;; [unrolled: 1-line block ×3, first 2 shown]
	s_add_i32 s6, s6, 8
	v_add_co_u32_e32 v20, vcc, s8, v1
	s_add_u32 s8, s8, 64
	v_mov_b32_e32 v21, s9
	s_addc_u32 s9, s9, 0
	v_add_u32_e32 v3, 0x400, v3
	v_addc_co_u32_e32 v21, vcc, v2, v21, vcc
	s_cmp_lg_u32 s7, s8
	s_waitcnt lgkmcnt(3)
	global_store_dwordx4 v[20:21], v[4:7], off
	s_waitcnt lgkmcnt(2)
	global_store_dwordx4 v[20:21], v[8:11], off offset:16
	s_waitcnt lgkmcnt(1)
	global_store_dwordx4 v[20:21], v[12:15], off offset:32
	s_waitcnt lgkmcnt(0)
	global_store_dwordx4 v[20:21], v[16:19], off offset:48
	s_cbranch_scc1 .LBB84_68
.LBB84_69:
	s_and_b32 s8, s30, 7
	s_cmp_eq_u32 s8, 0
	s_mov_b32 s7, 0
	s_cbranch_scc1 .LBB84_72
; %bb.70:
	s_lshl_b64 s[10:11], s[14:15], 3
	v_lshlrev_b32_e32 v2, 3, v0
	v_mov_b32_e32 v0, s11
	v_add_co_u32_e32 v3, vcc, s10, v2
	s_lshl_b64 s[10:11], s[6:7], 3
	s_add_u32 s2, s2, s10
	s_addc_u32 s3, s3, s11
	s_add_u32 s2, s2, s4
	s_addc_u32 s3, s3, s5
	s_add_u32 s0, s2, s0
	s_addc_u32 s1, s3, s1
	v_addc_co_u32_e32 v4, vcc, 0, v0, vcc
	v_pk_mov_b32 v[0:1], s[0:1], s[0:1] op_sel:[0,1]
	v_mad_u64_u32 v[0:1], s[0:1], v3, s22, v[0:1]
	v_mul_lo_u32 v3, v3, s23
	v_mul_lo_u32 v4, v4, s22
	v_lshl_or_b32 v2, s6, 7, v2
	v_add3_u32 v1, v4, v1, v3
	v_add_u32_e32 v2, 0x800, v2
.LBB84_71:                              ; =>This Inner Loop Header: Depth=1
	ds_read_b64 v[4:5], v2
	s_add_i32 s8, s8, -1
	v_add_u32_e32 v2, 0x80, v2
	s_cmp_lg_u32 s8, 0
	s_waitcnt lgkmcnt(0)
	global_store_dwordx2 v[0:1], v[4:5], off
	v_add_co_u32_e32 v0, vcc, 8, v0
	v_addc_co_u32_e32 v1, vcc, 0, v1, vcc
	s_cbranch_scc1 .LBB84_71
.LBB84_72:
	s_endpgm
	.section	.rodata,"a",@progbits
	.p2align	6, 0x0
	.amdhsa_kernel _ZL38rocblas_trsm_small_left_device_sharedBILi16ELi16ELb1EddPKdPdEv13rocblas_fill_18rocblas_operation_17rocblas_diagonal_iiT3_T4_lilT5_lili
		.amdhsa_group_segment_fixed_size 4096
		.amdhsa_private_segment_fixed_size 0
		.amdhsa_kernarg_size 360
		.amdhsa_user_sgpr_count 6
		.amdhsa_user_sgpr_private_segment_buffer 1
		.amdhsa_user_sgpr_dispatch_ptr 0
		.amdhsa_user_sgpr_queue_ptr 0
		.amdhsa_user_sgpr_kernarg_segment_ptr 1
		.amdhsa_user_sgpr_dispatch_id 0
		.amdhsa_user_sgpr_flat_scratch_init 0
		.amdhsa_user_sgpr_kernarg_preload_length 0
		.amdhsa_user_sgpr_kernarg_preload_offset 0
		.amdhsa_user_sgpr_private_segment_size 0
		.amdhsa_uses_dynamic_stack 0
		.amdhsa_system_sgpr_private_segment_wavefront_offset 0
		.amdhsa_system_sgpr_workgroup_id_x 1
		.amdhsa_system_sgpr_workgroup_id_y 0
		.amdhsa_system_sgpr_workgroup_id_z 1
		.amdhsa_system_sgpr_workgroup_info 0
		.amdhsa_system_vgpr_workitem_id 0
		.amdhsa_next_free_vgpr 116
		.amdhsa_next_free_sgpr 37
		.amdhsa_accum_offset 116
		.amdhsa_reserve_vcc 1
		.amdhsa_reserve_flat_scratch 0
		.amdhsa_float_round_mode_32 0
		.amdhsa_float_round_mode_16_64 0
		.amdhsa_float_denorm_mode_32 3
		.amdhsa_float_denorm_mode_16_64 3
		.amdhsa_dx10_clamp 1
		.amdhsa_ieee_mode 1
		.amdhsa_fp16_overflow 0
		.amdhsa_tg_split 0
		.amdhsa_exception_fp_ieee_invalid_op 0
		.amdhsa_exception_fp_denorm_src 0
		.amdhsa_exception_fp_ieee_div_zero 0
		.amdhsa_exception_fp_ieee_overflow 0
		.amdhsa_exception_fp_ieee_underflow 0
		.amdhsa_exception_fp_ieee_inexact 0
		.amdhsa_exception_int_div_zero 0
	.end_amdhsa_kernel
	.section	.text._ZL38rocblas_trsm_small_left_device_sharedBILi16ELi16ELb1EddPKdPdEv13rocblas_fill_18rocblas_operation_17rocblas_diagonal_iiT3_T4_lilT5_lili,"axG",@progbits,_ZL38rocblas_trsm_small_left_device_sharedBILi16ELi16ELb1EddPKdPdEv13rocblas_fill_18rocblas_operation_17rocblas_diagonal_iiT3_T4_lilT5_lili,comdat
.Lfunc_end84:
	.size	_ZL38rocblas_trsm_small_left_device_sharedBILi16ELi16ELb1EddPKdPdEv13rocblas_fill_18rocblas_operation_17rocblas_diagonal_iiT3_T4_lilT5_lili, .Lfunc_end84-_ZL38rocblas_trsm_small_left_device_sharedBILi16ELi16ELb1EddPKdPdEv13rocblas_fill_18rocblas_operation_17rocblas_diagonal_iiT3_T4_lilT5_lili
                                        ; -- End function
	.section	.AMDGPU.csdata,"",@progbits
; Kernel info:
; codeLenInByte = 12340
; NumSgprs: 41
; NumVgprs: 116
; NumAgprs: 0
; TotalNumVgprs: 116
; ScratchSize: 0
; MemoryBound: 0
; FloatMode: 240
; IeeeMode: 1
; LDSByteSize: 4096 bytes/workgroup (compile time only)
; SGPRBlocks: 5
; VGPRBlocks: 14
; NumSGPRsForWavesPerEU: 41
; NumVGPRsForWavesPerEU: 116
; AccumOffset: 116
; Occupancy: 4
; WaveLimiterHint : 0
; COMPUTE_PGM_RSRC2:SCRATCH_EN: 0
; COMPUTE_PGM_RSRC2:USER_SGPR: 6
; COMPUTE_PGM_RSRC2:TRAP_HANDLER: 0
; COMPUTE_PGM_RSRC2:TGID_X_EN: 1
; COMPUTE_PGM_RSRC2:TGID_Y_EN: 0
; COMPUTE_PGM_RSRC2:TGID_Z_EN: 1
; COMPUTE_PGM_RSRC2:TIDIG_COMP_CNT: 0
; COMPUTE_PGM_RSRC3_GFX90A:ACCUM_OFFSET: 28
; COMPUTE_PGM_RSRC3_GFX90A:TG_SPLIT: 0
	.section	.text._ZL30rocblas_trsm_small_left_deviceILi16ELi16ELb1EddPKdPdEv13rocblas_fill_18rocblas_operation_17rocblas_diagonal_iiT3_T4_lilT5_lili,"axG",@progbits,_ZL30rocblas_trsm_small_left_deviceILi16ELi16ELb1EddPKdPdEv13rocblas_fill_18rocblas_operation_17rocblas_diagonal_iiT3_T4_lilT5_lili,comdat
	.globl	_ZL30rocblas_trsm_small_left_deviceILi16ELi16ELb1EddPKdPdEv13rocblas_fill_18rocblas_operation_17rocblas_diagonal_iiT3_T4_lilT5_lili ; -- Begin function _ZL30rocblas_trsm_small_left_deviceILi16ELi16ELb1EddPKdPdEv13rocblas_fill_18rocblas_operation_17rocblas_diagonal_iiT3_T4_lilT5_lili
	.p2align	8
	.type	_ZL30rocblas_trsm_small_left_deviceILi16ELi16ELb1EddPKdPdEv13rocblas_fill_18rocblas_operation_17rocblas_diagonal_iiT3_T4_lilT5_lili,@function
_ZL30rocblas_trsm_small_left_deviceILi16ELi16ELb1EddPKdPdEv13rocblas_fill_18rocblas_operation_17rocblas_diagonal_iiT3_T4_lilT5_lili: ; @_ZL30rocblas_trsm_small_left_deviceILi16ELi16ELb1EddPKdPdEv13rocblas_fill_18rocblas_operation_17rocblas_diagonal_iiT3_T4_lilT5_lili
; %bb.0:
	s_load_dwordx4 s[12:15], s[4:5], 0x4
	s_load_dwordx4 s[0:3], s[4:5], 0x18
	s_load_dwordx2 s[24:25], s[4:5], 0x28
	s_load_dwordx4 s[8:11], s[4:5], 0x38
	s_load_dwordx2 s[20:21], s[4:5], 0x48
	s_waitcnt lgkmcnt(0)
	s_min_i32 s16, s14, 16
	s_mov_b32 s17, 0
	s_add_i32 s18, s16, -1
	v_cmp_gt_i32_e32 vcc, s16, v0
	s_and_saveexec_b64 s[22:23], vcc
	s_cbranch_execz .LBB85_10
; %bb.1:
	s_load_dword s26, s[4:5], 0x30
	s_mul_i32 s9, s7, s9
	s_mul_hi_u32 s19, s7, s8
	s_add_i32 s9, s19, s9
	s_mul_i32 s8, s7, s8
	s_waitcnt lgkmcnt(0)
	s_ashr_i32 s27, s26, 31
	s_cmp_lt_u32 s18, 3
	v_lshlrev_b32_e32 v1, 3, v0
	s_cbranch_scc1 .LBB85_4
; %bb.2:
	s_lshl_b64 s[28:29], s[8:9], 3
	s_add_u32 s17, s2, s28
	s_addc_u32 s19, s3, s29
	s_lshl_b64 s[28:29], s[24:25], 3
	s_add_u32 s17, s17, s28
	s_addc_u32 s19, s19, s29
	v_mov_b32_e32 v3, s19
	v_add_co_u32_e32 v2, vcc, s17, v1
	s_mul_hi_i32 s36, s26, 24
	s_lshl_b64 s[28:29], s[26:27], 5
	s_lshl_b64 s[30:31], s[26:27], 4
	;; [unrolled: 1-line block ×3, first 2 shown]
	v_addc_co_u32_e32 v3, vcc, 0, v3, vcc
	s_and_b32 s17, s16, -4
	s_mul_i32 s19, s26, 24
	s_mov_b32 s33, 0
	v_mov_b32_e32 v4, s35
	v_mov_b32_e32 v5, s31
	;; [unrolled: 1-line block ×5, first 2 shown]
.LBB85_3:                               ; =>This Inner Loop Header: Depth=1
	v_add_co_u32_e32 v12, vcc, s34, v2
	v_addc_co_u32_e32 v13, vcc, v3, v4, vcc
	v_add_co_u32_e32 v14, vcc, s30, v2
	v_addc_co_u32_e32 v15, vcc, v3, v5, vcc
	v_add_co_u32_e32 v16, vcc, s19, v2
	global_load_dwordx2 v[10:11], v[2:3], off
	v_addc_co_u32_e32 v17, vcc, v3, v6, vcc
	global_load_dwordx2 v[18:19], v[12:13], off
	global_load_dwordx2 v[20:21], v[14:15], off
	;; [unrolled: 1-line block ×3, first 2 shown]
	s_add_i32 s33, s33, 4
	v_add_co_u32_e32 v2, vcc, s28, v2
	v_addc_co_u32_e32 v3, vcc, v3, v7, vcc
	s_cmp_eq_u32 s17, s33
	s_waitcnt vmcnt(2)
	ds_write2_b64 v8, v[10:11], v[18:19] offset1:16
	s_waitcnt vmcnt(0)
	ds_write2_b64 v8, v[20:21], v[22:23] offset0:32 offset1:48
	v_add_u32_e32 v8, 0x200, v8
	s_cbranch_scc0 .LBB85_3
.LBB85_4:
	s_and_b32 s19, s16, 3
	s_cmp_eq_u32 s19, 0
	s_cbranch_scc1 .LBB85_7
; %bb.5:
	s_mul_i32 s28, s27, s17
	s_mul_hi_u32 s29, s26, s17
	s_add_i32 s29, s29, s28
	s_mul_i32 s28, s26, s17
	s_lshl_b64 s[8:9], s[8:9], 3
	s_lshl_b64 s[28:29], s[28:29], 3
	v_lshl_or_b32 v4, s17, 7, v1
	s_add_u32 s17, s8, s28
	s_addc_u32 s28, s9, s29
	s_lshl_b64 s[8:9], s[24:25], 3
	s_add_u32 s8, s17, s8
	s_addc_u32 s9, s28, s9
	s_add_u32 s2, s2, s8
	s_addc_u32 s3, s3, s9
	v_mov_b32_e32 v3, s3
	v_add_co_u32_e32 v2, vcc, s2, v1
	s_lshl_b64 s[2:3], s[26:27], 3
	v_addc_co_u32_e32 v3, vcc, 0, v3, vcc
	v_mov_b32_e32 v1, s3
.LBB85_6:                               ; =>This Inner Loop Header: Depth=1
	global_load_dwordx2 v[6:7], v[2:3], off
	v_add_co_u32_e32 v2, vcc, s2, v2
	s_add_i32 s19, s19, -1
	v_addc_co_u32_e32 v3, vcc, v3, v1, vcc
	s_cmp_lg_u32 s19, 0
	s_waitcnt vmcnt(0)
	ds_write_b64 v4, v[6:7]
	v_add_u32_e32 v4, 0x80, v4
	s_cbranch_scc1 .LBB85_6
.LBB85_7:
	v_mul_u32_u24_e32 v1, 17, v0
	v_mov_b32_e32 v2, 0
	s_cmpk_lg_i32 s13, 0x84
	v_lshlrev_b32_e32 v1, 3, v1
	v_mov_b32_e32 v3, 0x3ff00000
	s_cbranch_scc0 .LBB85_9
; %bb.8:
	ds_read_b64 v[2:3], v1
	s_waitcnt lgkmcnt(0)
	v_div_scale_f64 v[4:5], s[2:3], v[2:3], v[2:3], 1.0
	v_rcp_f64_e32 v[6:7], v[4:5]
	v_div_scale_f64 v[8:9], vcc, 1.0, v[2:3], 1.0
	v_fma_f64 v[10:11], -v[4:5], v[6:7], 1.0
	v_fmac_f64_e32 v[6:7], v[6:7], v[10:11]
	v_fma_f64 v[10:11], -v[4:5], v[6:7], 1.0
	v_fmac_f64_e32 v[6:7], v[6:7], v[10:11]
	v_mul_f64 v[10:11], v[8:9], v[6:7]
	v_fma_f64 v[4:5], -v[4:5], v[10:11], v[8:9]
	v_div_fmas_f64 v[4:5], v[4:5], v[6:7], v[10:11]
	v_div_fixup_f64 v[2:3], v[4:5], v[2:3], 1.0
.LBB85_9:
	ds_write_b64 v1, v[2:3]
.LBB85_10:
	s_or_b64 exec, exec, s[22:23]
	s_load_dword s2, s[4:5], 0x68
	s_lshl_b32 s8, s6, 4
	s_sub_i32 s3, s15, s8
	s_waitcnt lgkmcnt(0)
	; wave barrier
	s_waitcnt lgkmcnt(0)
	s_add_i32 s2, s2, -1
	s_cmp_ge_u32 s6, s2
	s_cselect_b32 s2, s3, 16
	v_cmp_gt_i32_e32 vcc, s2, v0
	s_and_saveexec_b64 s[2:3], vcc
	s_cbranch_execz .LBB85_61
; %bb.11:
	s_load_dwordx2 s[2:3], s[4:5], 0x58
	s_load_dword s6, s[4:5], 0x50
	v_add_u32_e32 v0, s8, v0
	s_waitcnt lgkmcnt(0)
	s_mul_i32 s3, s7, s3
	s_mul_hi_u32 s4, s7, s2
	s_mul_i32 s2, s7, s2
	s_add_i32 s3, s4, s3
	s_lshl_b64 s[2:3], s[2:3], 3
	s_add_u32 s7, s10, s2
	s_addc_u32 s9, s11, s3
	s_lshl_b64 s[4:5], s[20:21], 3
	s_add_u32 s13, s7, s4
	v_mad_i64_i32 v[0:1], s[6:7], s6, v0, 0
	s_addc_u32 s9, s9, s5
	v_lshlrev_b64 v[86:87], 3, v[0:1]
	v_mov_b32_e32 v0, s9
	v_add_co_u32_e32 v84, vcc, s13, v86
	v_addc_co_u32_e32 v85, vcc, v0, v87, vcc
	s_cmpk_eq_i32 s12, 0x6f
	s_mov_b64 s[6:7], -1
	s_cbranch_scc1 .LBB85_38
; %bb.12:
	s_cmp_gt_i32 s14, 15
	s_cbranch_scc0 .LBB85_14
; %bb.13:
	s_ashr_i32 s19, s18, 31
	s_lshl_b64 s[6:7], s[18:19], 3
	v_mov_b32_e32 v0, s7
	v_add_co_u32_e32 v12, vcc, s6, v84
	v_addc_co_u32_e32 v13, vcc, v85, v0, vcc
	global_load_dwordx2 v[14:15], v[12:13], off
	s_mov_b32 s17, 0
	s_lshl_b64 s[6:7], s[16:17], 3
	v_mov_b32_e32 v0, s7
	v_add_co_u32_e32 v28, vcc, s6, v84
	v_addc_co_u32_e32 v29, vcc, v85, v0, vcc
	global_load_dwordx2 v[32:33], v[28:29], off offset:-16
	global_load_dwordx4 v[8:11], v[28:29], off offset:-32
	global_load_dwordx4 v[4:7], v[28:29], off offset:-48
	;; [unrolled: 1-line block ×3, first 2 shown]
	s_mul_i32 s7, s18, 0x88
	s_add_i32 s8, s7, 0xffffff78
	v_mov_b32_e32 v0, s7
	v_mov_b32_e32 v1, s8
	ds_read_b64 v[30:31], v0
	ds_read2_b64 v[38:41], v1 offset1:1
	global_load_dwordx4 v[16:19], v[28:29], off offset:-80
	global_load_dwordx4 v[24:27], v[28:29], off offset:-96
	;; [unrolled: 1-line block ×4, first 2 shown]
	s_lshl_b32 s6, s16, 4
	s_ashr_i32 s17, s16, 31
	s_add_i32 s6, s6, s18
	s_add_i32 s12, s7, 0xfffffef0
	;; [unrolled: 1-line block ×5, first 2 shown]
	s_lshl_b64 s[8:9], s[16:17], 3
	s_lshl_b32 s6, s6, 3
	v_mov_b32_e32 v42, s12
	v_mov_b32_e32 v50, s13
	;; [unrolled: 1-line block ×5, first 2 shown]
	s_add_i32 s9, s6, 0xfffffe80
	s_add_i32 s12, s6, 0xfffffdf8
	;; [unrolled: 1-line block ×6, first 2 shown]
	v_add_co_u32_e32 v28, vcc, s8, v84
	v_addc_co_u32_e32 v29, vcc, v85, v43, vcc
	v_mov_b32_e32 v43, s9
	v_mov_b32_e32 v46, s12
	;; [unrolled: 1-line block ×6, first 2 shown]
	ds_read_b64 v[74:75], v43
	ds_read2_b64 v[42:45], v42 offset1:1
	ds_read2_b64 v[46:49], v46 offset1:1
	;; [unrolled: 1-line block ×3, first 2 shown]
	ds_read_b64 v[76:77], v54
	ds_read2_b64 v[54:57], v55 offset1:1
	ds_read2_b64 v[58:61], v58 offset1:1
	;; [unrolled: 1-line block ×5, first 2 shown]
	s_add_i32 s8, s6, 0xfffffc78
	s_waitcnt vmcnt(8)
	v_mul_f64 v[14:15], v[14:15], s[0:1]
	s_waitcnt lgkmcnt(11)
	v_mul_f64 v[30:31], v[14:15], v[30:31]
	global_store_dwordx2 v[12:13], v[30:31], off
	s_waitcnt lgkmcnt(10)
	v_mul_f64 v[12:13], v[30:31], v[40:41]
	s_waitcnt lgkmcnt(9)
	v_mul_f64 v[14:15], v[30:31], v[74:75]
	;; [unrolled: 2-line block ×3, first 2 shown]
	s_waitcnt vmcnt(8)
	v_fma_f64 v[12:13], v[32:33], s[0:1], -v[12:13]
	s_waitcnt lgkmcnt(5)
	v_mul_f64 v[48:49], v[30:31], v[76:77]
	s_waitcnt vmcnt(7)
	v_fma_f64 v[10:11], v[10:11], s[0:1], -v[14:15]
	v_mul_f64 v[32:33], v[12:13], v[38:39]
	s_waitcnt lgkmcnt(2)
	v_mul_f64 v[64:65], v[30:31], v[64:65]
	v_fma_f64 v[8:9], v[8:9], s[0:1], -v[40:41]
	s_waitcnt vmcnt(6)
	v_fma_f64 v[6:7], v[6:7], s[0:1], -v[48:49]
	v_fma_f64 v[10:11], -v[32:33], v[44:45], v[10:11]
	v_fma_f64 v[4:5], v[4:5], s[0:1], -v[64:65]
	v_fma_f64 v[8:9], -v[32:33], v[46:47], v[8:9]
	v_fma_f64 v[12:13], -v[32:33], v[56:57], v[6:7]
	v_mul_f64 v[6:7], v[10:11], v[42:43]
	v_fma_f64 v[14:15], -v[32:33], v[62:63], v[4:5]
	v_fma_f64 v[4:5], -v[6:7], v[52:53], v[8:9]
	;; [unrolled: 1-line block ×3, first 2 shown]
	v_mul_f64 v[4:5], v[4:5], v[50:51]
	v_fma_f64 v[8:9], -v[4:5], v[60:61], v[8:9]
	v_mov_b32_e32 v12, s8
	v_mul_f64 v[10:11], v[8:9], v[58:59]
	s_waitcnt lgkmcnt(1)
	v_fma_f64 v[8:9], -v[6:7], v[68:69], v[14:15]
	ds_read2_b64 v[12:15], v12 offset1:1
	s_add_i32 s8, s6, 0xfffffc68
	v_mov_b32_e32 v38, s8
	ds_read2_b64 v[38:41], v38 offset1:1
	s_add_i32 s8, s6, 0xfffffc58
	s_waitcnt lgkmcnt(1)
	v_mul_f64 v[14:15], v[30:31], v[14:15]
	v_mov_b32_e32 v42, s8
	s_waitcnt vmcnt(5)
	v_fma_f64 v[14:15], v[36:37], s[0:1], -v[14:15]
	s_add_i32 s8, s7, 0xfffffcd0
	ds_read2_b64 v[42:45], v42 offset1:1
	v_fma_f64 v[12:13], -v[32:33], v[12:13], v[14:15]
	v_mov_b32_e32 v14, s8
	s_add_i32 s8, s6, 0xfffffc00
	v_mov_b32_e32 v36, s8
	s_waitcnt lgkmcnt(1)
	v_fma_f64 v[12:13], -v[6:7], v[40:41], v[12:13]
	ds_read_b64 v[40:41], v36
	ds_read_b64 v[14:15], v14
	s_add_i32 s8, s6, 0xfffffbf0
	v_fma_f64 v[8:9], -v[4:5], v[66:67], v[8:9]
	v_mov_b32_e32 v36, s8
	v_fma_f64 v[8:9], -v[10:11], v[72:73], v[8:9]
	v_fma_f64 v[12:13], -v[4:5], v[38:39], v[12:13]
	ds_read2_b64 v[36:39], v36 offset1:1
	v_mul_f64 v[8:9], v[8:9], v[70:71]
	s_waitcnt lgkmcnt(3)
	v_fma_f64 v[12:13], -v[10:11], v[44:45], v[12:13]
	v_fma_f64 v[12:13], -v[8:9], v[42:43], v[12:13]
	s_waitcnt lgkmcnt(1)
	v_mul_f64 v[14:15], v[12:13], v[14:15]
	v_mul_f64 v[12:13], v[30:31], v[40:41]
	s_add_i32 s8, s6, 0xfffffbe0
	v_fma_f64 v[12:13], v[34:35], s[0:1], -v[12:13]
	v_mov_b32_e32 v34, s8
	s_add_i32 s8, s6, 0xfffffbd0
	global_store_dwordx2 v[28:29], v[32:33], off offset:-16
	global_store_dwordx4 v[28:29], v[4:7], off offset:-32
	global_store_dwordx4 v[28:29], v[8:11], off offset:-48
	s_waitcnt lgkmcnt(0)
	v_fma_f64 v[12:13], -v[32:33], v[38:39], v[12:13]
	v_mov_b32_e32 v38, s8
	v_fma_f64 v[12:13], -v[6:7], v[36:37], v[12:13]
	ds_read2_b64 v[34:37], v34 offset1:1
	ds_read2_b64 v[38:41], v38 offset1:1
	s_add_i32 s8, s7, 0xfffffc48
	v_mov_b32_e32 v42, s8
	s_add_i32 s8, s6, 0xfffffb78
	s_waitcnt lgkmcnt(1)
	v_fma_f64 v[12:13], -v[4:5], v[36:37], v[12:13]
	v_fma_f64 v[12:13], -v[10:11], v[34:35], v[12:13]
	v_mov_b32_e32 v34, s8
	ds_read2_b64 v[34:37], v34 offset1:1
	s_waitcnt lgkmcnt(1)
	v_fma_f64 v[12:13], -v[8:9], v[40:41], v[12:13]
	s_add_i32 s8, s6, 0xfffffb68
	v_fma_f64 v[12:13], -v[14:15], v[38:39], v[12:13]
	v_mov_b32_e32 v38, s8
	ds_read2_b64 v[38:41], v38 offset1:1
	s_waitcnt lgkmcnt(1)
	v_mul_f64 v[36:37], v[30:31], v[36:37]
	s_waitcnt vmcnt(7)
	v_fma_f64 v[18:19], v[18:19], s[0:1], -v[36:37]
	s_add_i32 s8, s6, 0xfffffb58
	v_fma_f64 v[18:19], -v[32:33], v[34:35], v[18:19]
	v_mov_b32_e32 v34, s8
	ds_read_b64 v[42:43], v42
	ds_read2_b64 v[34:37], v34 offset1:1
	s_waitcnt lgkmcnt(2)
	v_fma_f64 v[18:19], -v[6:7], v[40:41], v[18:19]
	s_add_i32 s8, s6, 0xfffffb48
	v_fma_f64 v[18:19], -v[4:5], v[38:39], v[18:19]
	s_waitcnt lgkmcnt(1)
	v_mul_f64 v[12:13], v[12:13], v[42:43]
	v_mov_b32_e32 v42, s8
	s_waitcnt lgkmcnt(0)
	v_fma_f64 v[18:19], -v[10:11], v[36:37], v[18:19]
	s_add_i32 s8, s7, 0xfffffbc0
	ds_read2_b64 v[42:45], v42 offset1:1
	v_fma_f64 v[18:19], -v[8:9], v[34:35], v[18:19]
	v_mov_b32_e32 v34, s8
	s_add_i32 s8, s6, 0xfffffb00
	ds_read_b64 v[38:39], v34
	v_mov_b32_e32 v34, s8
	ds_read_b64 v[40:41], v34
	s_add_i32 s8, s6, 0xfffffaf0
	v_mov_b32_e32 v34, s8
	ds_read2_b64 v[34:37], v34 offset1:1
	s_waitcnt lgkmcnt(3)
	v_fma_f64 v[18:19], -v[14:15], v[44:45], v[18:19]
	v_fma_f64 v[18:19], -v[12:13], v[42:43], v[18:19]
	s_waitcnt lgkmcnt(2)
	v_mul_f64 v[18:19], v[18:19], v[38:39]
	s_waitcnt lgkmcnt(1)
	v_mul_f64 v[38:39], v[30:31], v[40:41]
	v_fma_f64 v[16:17], v[16:17], s[0:1], -v[38:39]
	s_add_i32 s8, s6, 0xfffffae0
	s_waitcnt lgkmcnt(0)
	v_fma_f64 v[16:17], -v[32:33], v[36:37], v[16:17]
	v_mov_b32_e32 v36, s8
	ds_read2_b64 v[36:39], v36 offset1:1
	s_add_i32 s8, s6, 0xfffffad0
	v_fma_f64 v[16:17], -v[6:7], v[34:35], v[16:17]
	v_mov_b32_e32 v34, s8
	ds_read2_b64 v[40:43], v34 offset1:1
	s_add_i32 s8, s6, 0xfffffac0
	s_waitcnt lgkmcnt(1)
	v_fma_f64 v[16:17], -v[4:5], v[38:39], v[16:17]
	v_mov_b32_e32 v34, s8
	v_fma_f64 v[16:17], -v[10:11], v[36:37], v[16:17]
	ds_read2_b64 v[34:37], v34 offset1:1
	s_add_i32 s8, s7, 0xfffffb38
	v_mov_b32_e32 v38, s8
	s_waitcnt lgkmcnt(1)
	v_fma_f64 v[16:17], -v[8:9], v[42:43], v[16:17]
	ds_read_b64 v[38:39], v38
	v_fma_f64 v[16:17], -v[14:15], v[40:41], v[16:17]
	s_waitcnt lgkmcnt(1)
	v_fma_f64 v[16:17], -v[12:13], v[36:37], v[16:17]
	s_add_i32 s8, s6, 0xfffffa78
	v_fma_f64 v[16:17], -v[18:19], v[34:35], v[16:17]
	v_mov_b32_e32 v34, s8
	ds_read2_b64 v[34:37], v34 offset1:1
	s_add_i32 s8, s6, 0xfffffa68
	s_waitcnt lgkmcnt(1)
	v_mul_f64 v[16:17], v[16:17], v[38:39]
	v_mov_b32_e32 v38, s8
	ds_read2_b64 v[38:41], v38 offset1:1
	s_waitcnt lgkmcnt(1)
	v_mul_f64 v[36:37], v[30:31], v[36:37]
	s_waitcnt vmcnt(6)
	v_fma_f64 v[26:27], v[26:27], s[0:1], -v[36:37]
	v_fma_f64 v[26:27], -v[32:33], v[34:35], v[26:27]
	s_add_i32 s8, s6, 0xfffffa58
	s_waitcnt lgkmcnt(0)
	v_fma_f64 v[26:27], -v[6:7], v[40:41], v[26:27]
	v_mov_b32_e32 v34, s8
	s_add_i32 s8, s6, 0xfffffa48
	global_store_dwordx4 v[28:29], v[12:15], off offset:-64
	global_store_dwordx4 v[28:29], v[16:19], off offset:-80
	v_fma_f64 v[26:27], -v[4:5], v[38:39], v[26:27]
	v_mov_b32_e32 v38, s8
	ds_read2_b64 v[34:37], v34 offset1:1
	ds_read2_b64 v[38:41], v38 offset1:1
	s_add_i32 s8, s6, 0xfffffa38
	v_mov_b32_e32 v42, s8
	ds_read2_b64 v[42:45], v42 offset1:1
	s_waitcnt lgkmcnt(2)
	v_fma_f64 v[26:27], -v[10:11], v[36:37], v[26:27]
	v_fma_f64 v[26:27], -v[8:9], v[34:35], v[26:27]
	s_waitcnt lgkmcnt(1)
	v_fma_f64 v[26:27], -v[14:15], v[40:41], v[26:27]
	v_fma_f64 v[26:27], -v[12:13], v[38:39], v[26:27]
	s_addk_i32 s7, 0xfab0
	s_waitcnt lgkmcnt(0)
	v_fma_f64 v[26:27], -v[18:19], v[44:45], v[26:27]
	v_mov_b32_e32 v34, s7
	s_add_i32 s7, s6, 0xfffff9f8
	v_fma_f64 v[26:27], -v[16:17], v[42:43], v[26:27]
	ds_read_b64 v[42:43], v34
	v_mov_b32_e32 v34, s7
	ds_read2_b64 v[34:37], v34 offset1:1
	s_add_i32 s7, s6, 0xfffff9e8
	v_mov_b32_e32 v38, s7
	ds_read2_b64 v[38:41], v38 offset1:1
	s_add_i32 s7, s6, 0xfffff9d8
	s_waitcnt lgkmcnt(1)
	v_mul_f64 v[36:37], v[30:31], v[36:37]
	v_fma_f64 v[24:25], v[24:25], s[0:1], -v[36:37]
	v_fma_f64 v[24:25], -v[32:33], v[34:35], v[24:25]
	v_mov_b32_e32 v34, s7
	ds_read2_b64 v[34:37], v34 offset1:1
	s_waitcnt lgkmcnt(1)
	v_fma_f64 v[24:25], -v[6:7], v[40:41], v[24:25]
	s_add_i32 s7, s6, 0xfffff9c8
	v_fma_f64 v[24:25], -v[4:5], v[38:39], v[24:25]
	v_mov_b32_e32 v38, s7
	ds_read2_b64 v[38:41], v38 offset1:1
	s_waitcnt lgkmcnt(1)
	v_fma_f64 v[24:25], -v[10:11], v[36:37], v[24:25]
	s_add_i32 s7, s6, 0xfffff9b8
	v_fma_f64 v[24:25], -v[8:9], v[34:35], v[24:25]
	v_mov_b32_e32 v34, s7
	ds_read2_b64 v[34:37], v34 offset1:1
	s_mul_i32 s7, s16, 0x88
	s_add_i32 s8, s7, 0xfffff9a0
	s_waitcnt lgkmcnt(1)
	v_fma_f64 v[24:25], -v[14:15], v[40:41], v[24:25]
	v_mul_f64 v[26:27], v[26:27], v[42:43]
	v_mov_b32_e32 v42, s8
	ds_read2_b64 v[42:45], v42 offset1:1
	v_fma_f64 v[24:25], -v[12:13], v[38:39], v[24:25]
	s_waitcnt lgkmcnt(1)
	v_fma_f64 v[24:25], -v[18:19], v[36:37], v[24:25]
	s_add_i32 s8, s6, 0xfffff980
	v_fma_f64 v[24:25], -v[16:17], v[34:35], v[24:25]
	v_mov_b32_e32 v34, s8
	ds_read_b64 v[38:39], v34
	s_add_i32 s8, s6, 0xfffff970
	v_mov_b32_e32 v34, s8
	ds_read2_b64 v[34:37], v34 offset1:1
	s_add_i32 s8, s6, 0xfffff960
	s_waitcnt lgkmcnt(1)
	v_mul_f64 v[38:39], v[30:31], v[38:39]
	s_waitcnt vmcnt(7)
	v_fma_f64 v[22:23], v[22:23], s[0:1], -v[38:39]
	v_mov_b32_e32 v38, s8
	ds_read2_b64 v[38:41], v38 offset1:1
	v_fma_f64 v[24:25], -v[26:27], v[44:45], v[24:25]
	s_add_i32 s8, s6, 0xfffff950
	v_mul_f64 v[24:25], v[24:25], v[42:43]
	v_mov_b32_e32 v42, s8
	ds_read2_b64 v[42:45], v42 offset1:1
	s_waitcnt lgkmcnt(2)
	v_fma_f64 v[22:23], -v[32:33], v[36:37], v[22:23]
	s_add_i32 s8, s6, 0xfffff940
	v_fma_f64 v[22:23], -v[6:7], v[34:35], v[22:23]
	v_mov_b32_e32 v34, s8
	ds_read2_b64 v[34:37], v34 offset1:1
	s_waitcnt lgkmcnt(2)
	v_fma_f64 v[22:23], -v[4:5], v[40:41], v[22:23]
	v_fma_f64 v[22:23], -v[10:11], v[38:39], v[22:23]
	s_waitcnt lgkmcnt(1)
	v_fma_f64 v[22:23], -v[8:9], v[44:45], v[22:23]
	s_add_i32 s8, s6, 0xfffff930
	v_fma_f64 v[22:23], -v[14:15], v[42:43], v[22:23]
	v_mov_b32_e32 v38, s8
	ds_read2_b64 v[38:41], v38 offset1:1
	s_waitcnt lgkmcnt(1)
	v_fma_f64 v[22:23], -v[12:13], v[36:37], v[22:23]
	s_add_i32 s8, s7, 0xfffff918
	v_fma_f64 v[22:23], -v[18:19], v[34:35], v[22:23]
	v_mov_b32_e32 v34, s8
	ds_read2_b64 v[34:37], v34 offset1:1
	s_add_i32 s8, s6, 0xfffff8f8
	v_mov_b32_e32 v42, s8
	ds_read2_b64 v[42:45], v42 offset1:1
	s_waitcnt lgkmcnt(2)
	v_fma_f64 v[22:23], -v[16:17], v[40:41], v[22:23]
	v_fma_f64 v[22:23], -v[26:27], v[38:39], v[22:23]
	s_waitcnt lgkmcnt(1)
	v_fma_f64 v[22:23], -v[24:25], v[36:37], v[22:23]
	s_add_i32 s8, s6, 0xfffff8e8
	v_mul_f64 v[22:23], v[22:23], v[34:35]
	v_mov_b32_e32 v34, s8
	ds_read2_b64 v[34:37], v34 offset1:1
	s_waitcnt lgkmcnt(1)
	v_mul_f64 v[44:45], v[30:31], v[44:45]
	s_add_i32 s8, s6, 0xfffff8d8
	v_fma_f64 v[20:21], v[20:21], s[0:1], -v[44:45]
	v_mov_b32_e32 v38, s8
	ds_read2_b64 v[38:41], v38 offset1:1
	v_fma_f64 v[20:21], -v[32:33], v[42:43], v[20:21]
	s_waitcnt lgkmcnt(1)
	v_fma_f64 v[20:21], -v[6:7], v[36:37], v[20:21]
	s_add_i32 s8, s6, 0xfffff8c8
	v_fma_f64 v[20:21], -v[4:5], v[34:35], v[20:21]
	v_mov_b32_e32 v34, s8
	ds_read2_b64 v[34:37], v34 offset1:1
	s_waitcnt lgkmcnt(1)
	v_fma_f64 v[20:21], -v[10:11], v[40:41], v[20:21]
	s_add_i32 s8, s6, 0xfffff8b8
	v_fma_f64 v[20:21], -v[8:9], v[38:39], v[20:21]
	v_mov_b32_e32 v38, s8
	ds_read2_b64 v[38:41], v38 offset1:1
	;; [unrolled: 6-line block ×3, first 2 shown]
	s_add_i32 s8, s7, 0xfffff890
	s_waitcnt lgkmcnt(1)
	v_fma_f64 v[20:21], -v[18:19], v[40:41], v[20:21]
	v_mov_b32_e32 v42, s8
	ds_read2_b64 v[42:45], v42 offset1:1
	v_fma_f64 v[20:21], -v[16:17], v[38:39], v[20:21]
	s_waitcnt lgkmcnt(1)
	v_fma_f64 v[20:21], -v[26:27], v[36:37], v[20:21]
	s_add_i32 s8, s6, 0xfffff880
	v_fma_f64 v[20:21], -v[24:25], v[34:35], v[20:21]
	v_mov_b32_e32 v34, s8
	ds_read_b64 v[38:39], v34
	s_add_i32 s8, s6, 0xfffff870
	v_mov_b32_e32 v34, s8
	ds_read2_b64 v[34:37], v34 offset1:1
	s_add_i32 s8, s6, 0xfffff860
	s_waitcnt lgkmcnt(1)
	v_mul_f64 v[38:39], v[30:31], v[38:39]
	s_waitcnt vmcnt(6)
	v_fma_f64 v[2:3], v[2:3], s[0:1], -v[38:39]
	v_mov_b32_e32 v38, s8
	ds_read2_b64 v[38:41], v38 offset1:1
	v_fma_f64 v[20:21], -v[22:23], v[44:45], v[20:21]
	s_add_i32 s8, s6, 0xfffff850
	v_mul_f64 v[20:21], v[20:21], v[42:43]
	v_mov_b32_e32 v42, s8
	ds_read2_b64 v[42:45], v42 offset1:1
	s_waitcnt lgkmcnt(2)
	v_fma_f64 v[2:3], -v[32:33], v[36:37], v[2:3]
	s_add_i32 s8, s6, 0xfffff840
	v_fma_f64 v[2:3], -v[6:7], v[34:35], v[2:3]
	v_mov_b32_e32 v34, s8
	ds_read2_b64 v[34:37], v34 offset1:1
	s_waitcnt lgkmcnt(2)
	v_fma_f64 v[2:3], -v[4:5], v[40:41], v[2:3]
	v_fma_f64 v[2:3], -v[10:11], v[38:39], v[2:3]
	s_waitcnt lgkmcnt(1)
	v_fma_f64 v[2:3], -v[8:9], v[44:45], v[2:3]
	s_add_i32 s8, s6, 0xfffff830
	v_fma_f64 v[2:3], -v[14:15], v[42:43], v[2:3]
	v_mov_b32_e32 v38, s8
	ds_read2_b64 v[38:41], v38 offset1:1
	s_waitcnt lgkmcnt(1)
	v_fma_f64 v[2:3], -v[12:13], v[36:37], v[2:3]
	s_add_i32 s8, s6, 0xfffff820
	v_fma_f64 v[2:3], -v[18:19], v[34:35], v[2:3]
	v_mov_b32_e32 v34, s8
	ds_read2_b64 v[34:37], v34 offset1:1
	s_add_i32 s8, s7, 0xfffff808
	s_waitcnt lgkmcnt(1)
	v_fma_f64 v[2:3], -v[16:17], v[40:41], v[2:3]
	v_mov_b32_e32 v42, s8
	ds_read2_b64 v[42:45], v42 offset1:1
	v_fma_f64 v[2:3], -v[26:27], v[38:39], v[2:3]
	s_waitcnt lgkmcnt(1)
	v_fma_f64 v[2:3], -v[24:25], v[36:37], v[2:3]
	s_add_i32 s8, s6, 0xfffff7f8
	v_fma_f64 v[2:3], -v[22:23], v[34:35], v[2:3]
	v_mov_b32_e32 v34, s8
	ds_read2_b64 v[34:37], v34 offset1:1
	s_add_i32 s8, s6, 0xfffff7e8
	v_mov_b32_e32 v38, s8
	ds_read2_b64 v[38:41], v38 offset1:1
	s_add_i32 s8, s6, 0xfffff7d8
	s_waitcnt lgkmcnt(1)
	v_mul_f64 v[30:31], v[30:31], v[36:37]
	v_fma_f64 v[0:1], v[0:1], s[0:1], -v[30:31]
	v_mov_b32_e32 v30, s8
	v_fma_f64 v[0:1], -v[32:33], v[34:35], v[0:1]
	s_add_i32 s8, s6, 0xfffff7c8
	ds_read2_b64 v[30:33], v30 offset1:1
	v_mov_b32_e32 v34, s8
	ds_read2_b64 v[34:37], v34 offset1:1
	s_waitcnt lgkmcnt(2)
	v_fma_f64 v[0:1], -v[6:7], v[40:41], v[0:1]
	s_add_i32 s8, s6, 0xfffff7b8
	v_fma_f64 v[0:1], -v[4:5], v[38:39], v[0:1]
	v_mov_b32_e32 v4, s8
	ds_read2_b64 v[4:7], v4 offset1:1
	s_waitcnt lgkmcnt(2)
	v_fma_f64 v[0:1], -v[10:11], v[32:33], v[0:1]
	v_fma_f64 v[0:1], -v[8:9], v[30:31], v[0:1]
	s_waitcnt lgkmcnt(1)
	v_fma_f64 v[0:1], -v[14:15], v[36:37], v[0:1]
	s_add_i32 s8, s6, 0xfffff7a8
	v_fma_f64 v[0:1], -v[12:13], v[34:35], v[0:1]
	v_mov_b32_e32 v8, s8
	ds_read2_b64 v[8:11], v8 offset1:1
	s_waitcnt lgkmcnt(1)
	v_fma_f64 v[0:1], -v[18:19], v[6:7], v[0:1]
	s_addk_i32 s6, 0xf798
	v_fma_f64 v[0:1], -v[16:17], v[4:5], v[0:1]
	v_mov_b32_e32 v4, s6
	s_add_i32 s6, s7, 0xfffff780
	ds_read2_b64 v[4:7], v4 offset1:1
	v_mov_b32_e32 v12, s6
	ds_read2_b64 v[12:15], v12 offset1:1
	s_waitcnt lgkmcnt(2)
	v_fma_f64 v[0:1], -v[26:27], v[10:11], v[0:1]
	v_fma_f64 v[0:1], -v[24:25], v[8:9], v[0:1]
	;; [unrolled: 1-line block ×3, first 2 shown]
	s_waitcnt lgkmcnt(1)
	v_fma_f64 v[0:1], -v[22:23], v[6:7], v[0:1]
	v_mul_f64 v[2:3], v[2:3], v[42:43]
	v_fma_f64 v[0:1], -v[20:21], v[4:5], v[0:1]
	s_waitcnt lgkmcnt(0)
	v_fma_f64 v[0:1], -v[2:3], v[14:15], v[0:1]
	v_mul_f64 v[0:1], v[0:1], v[12:13]
	s_sub_i32 s6, s16, 17
	global_store_dwordx4 v[28:29], v[24:27], off offset:-96
	global_store_dwordx4 v[28:29], v[20:23], off offset:-112
	;; [unrolled: 1-line block ×3, first 2 shown]
	s_cmp_gt_i32 s6, -1
	s_cbranch_scc1 .LBB85_15
	s_branch .LBB85_37
.LBB85_14:
	s_mov_b32 s6, s18
	s_cmp_gt_i32 s6, -1
	s_cbranch_scc0 .LBB85_37
.LBB85_15:
	s_cmp_lt_u32 s6, 11
	s_cbranch_scc1 .LBB85_20
; %bb.16:
	s_mov_b32 s7, 0
	s_lshl_b64 s[8:9], s[6:7], 3
	v_mov_b32_e32 v1, s9
	v_add_co_u32_e32 v0, vcc, s8, v84
	v_addc_co_u32_e32 v1, vcc, v85, v1, vcc
	global_load_dwordx4 v[2:5], v[0:1], off offset:-8
	global_load_dwordx4 v[6:9], v[0:1], off offset:-24
	;; [unrolled: 1-line block ×6, first 2 shown]
	s_cmp_le_i32 s18, s6
	s_waitcnt vmcnt(5)
	v_mul_f64 v[20:21], v[4:5], s[0:1]
	v_mul_f64 v[18:19], v[2:3], s[0:1]
	s_waitcnt vmcnt(4)
	v_mul_f64 v[2:3], v[8:9], s[0:1]
	v_mul_f64 v[26:27], v[6:7], s[0:1]
	;; [unrolled: 3-line block ×6, first 2 shown]
	s_cbranch_scc1 .LBB85_19
; %bb.17:
	s_lshl_b32 s7, s6, 7
	s_lshl_b32 s8, s16, 3
	s_add_i32 s7, s7, s8
	s_ashr_i32 s19, s18, 31
	s_addk_i32 s7, 0xfa78
	s_lshl_b64 s[8:9], s[18:19], 3
	s_add_u32 s8, s10, s8
	s_addc_u32 s9, s11, s9
	s_add_u32 s8, s8, s4
	s_addc_u32 s9, s9, s5
	;; [unrolled: 2-line block ×3, first 2 shown]
	v_mov_b32_e32 v25, s9
	v_add_co_u32_e32 v24, vcc, s8, v86
	v_addc_co_u32_e32 v25, vcc, v25, v87, vcc
	s_mov_b32 s8, s18
.LBB85_18:                              ; =>This Inner Loop Header: Depth=1
	global_load_dwordx2 v[52:53], v[24:25], off
	v_mov_b32_e32 v48, s7
	ds_read2_b64 v[28:31], v48 offset0:160 offset1:176
	ds_read2_b64 v[32:35], v48 offset0:128 offset1:144
	;; [unrolled: 1-line block ×5, first 2 shown]
	ds_read2_b64 v[48:51], v48 offset1:16
	s_add_i32 s8, s8, -1
	s_add_i32 s7, s7, -8
	v_add_co_u32_e32 v24, vcc, -8, v24
	v_addc_co_u32_e32 v25, vcc, -1, v25, vcc
	s_cmp_gt_i32 s8, s6
	s_waitcnt vmcnt(0) lgkmcnt(5)
	v_fma_f64 v[20:21], -v[52:53], v[30:31], v[20:21]
	v_fma_f64 v[18:19], -v[52:53], v[28:29], v[18:19]
	s_waitcnt lgkmcnt(4)
	v_fma_f64 v[2:3], -v[52:53], v[34:35], v[2:3]
	v_fma_f64 v[26:27], -v[52:53], v[32:33], v[26:27]
	s_waitcnt lgkmcnt(3)
	;; [unrolled: 3-line block ×5, first 2 shown]
	v_fma_f64 v[14:15], -v[52:53], v[50:51], v[14:15]
	v_fma_f64 v[12:13], -v[52:53], v[48:49], v[12:13]
	s_cbranch_scc1 .LBB85_18
.LBB85_19:
	s_mul_i32 s8, s6, 0x88
	v_mov_b32_e32 v24, s8
	s_add_i32 s7, s8, 0xffffff78
	ds_read_b64 v[24:25], v24
	v_mov_b32_e32 v28, s7
	ds_read2_b64 v[28:31], v28 offset1:1
	s_ashr_i32 s7, s6, 31
	s_lshl_b64 s[12:13], s[6:7], 3
	s_lshl_b32 s7, s6, 4
	s_add_i32 s7, s7, s6
	s_waitcnt lgkmcnt(1)
	v_mul_f64 v[20:21], v[20:21], v[24:25]
	s_lshl_b32 s7, s7, 3
	global_store_dwordx2 v[0:1], v[20:21], off
	s_waitcnt lgkmcnt(0)
	v_fma_f64 v[0:1], -v[20:21], v[30:31], v[18:19]
	s_add_i32 s9, s7, 0xffffff00
	v_mul_f64 v[24:25], v[0:1], v[28:29]
	v_mov_b32_e32 v0, s9
	s_add_i32 s9, s8, 0xfffffef0
	v_mov_b32_e32 v18, s9
	ds_read_b64 v[0:1], v0
	ds_read2_b64 v[28:31], v18 offset1:1
	s_add_i32 s9, s7, 0xfffffe78
	v_mov_b32_e32 v19, s13
	v_add_co_u32_e32 v18, vcc, s12, v84
	s_waitcnt lgkmcnt(1)
	v_fma_f64 v[0:1], -v[20:21], v[0:1], v[2:3]
	v_mov_b32_e32 v2, s9
	s_waitcnt lgkmcnt(0)
	v_fma_f64 v[0:1], -v[24:25], v[30:31], v[0:1]
	ds_read2_b64 v[30:33], v2 offset1:1
	s_add_i32 s9, s8, 0xfffffe68
	v_mul_f64 v[2:3], v[0:1], v[28:29]
	v_mov_b32_e32 v0, s9
	s_add_i32 s9, s7, 0xfffffe00
	v_addc_co_u32_e32 v19, vcc, v85, v19, vcc
	ds_read2_b64 v[34:37], v0 offset1:1
	s_waitcnt lgkmcnt(1)
	v_fma_f64 v[0:1], -v[20:21], v[32:33], v[26:27]
	v_mov_b32_e32 v26, s9
	s_add_i32 s9, s7, 0xfffffdf0
	global_store_dwordx2 v[18:19], v[24:25], off offset:-8
	v_mov_b32_e32 v27, s9
	v_fma_f64 v[0:1], -v[24:25], v[30:31], v[0:1]
	ds_read_b64 v[30:31], v26
	ds_read2_b64 v[26:29], v27 offset1:1
	s_add_i32 s9, s8, 0xfffffde0
	s_waitcnt lgkmcnt(2)
	v_fma_f64 v[0:1], -v[2:3], v[36:37], v[0:1]
	v_mul_f64 v[0:1], v[0:1], v[34:35]
	s_waitcnt lgkmcnt(1)
	v_fma_f64 v[6:7], -v[20:21], v[30:31], v[6:7]
	s_waitcnt lgkmcnt(0)
	v_fma_f64 v[6:7], -v[24:25], v[28:29], v[6:7]
	v_mov_b32_e32 v28, s9
	ds_read2_b64 v[28:31], v28 offset1:1
	s_add_i32 s9, s7, 0xfffffd78
	v_fma_f64 v[6:7], -v[2:3], v[26:27], v[6:7]
	v_mov_b32_e32 v26, s9
	ds_read2_b64 v[32:35], v26 offset1:1
	s_add_i32 s9, s7, 0xfffffd68
	s_waitcnt lgkmcnt(1)
	v_fma_f64 v[6:7], -v[0:1], v[30:31], v[6:7]
	v_mov_b32_e32 v26, s9
	v_mul_f64 v[6:7], v[6:7], v[28:29]
	s_add_i32 s9, s8, 0xfffffd58
	ds_read2_b64 v[26:29], v26 offset1:1
	v_mov_b32_e32 v30, s9
	ds_read2_b64 v[36:39], v30 offset1:1
	s_waitcnt lgkmcnt(2)
	v_fma_f64 v[4:5], -v[20:21], v[34:35], v[4:5]
	v_fma_f64 v[4:5], -v[24:25], v[32:33], v[4:5]
	s_waitcnt lgkmcnt(1)
	v_fma_f64 v[4:5], -v[2:3], v[28:29], v[4:5]
	v_fma_f64 v[4:5], -v[0:1], v[26:27], v[4:5]
	s_waitcnt lgkmcnt(0)
	v_fma_f64 v[4:5], -v[6:7], v[38:39], v[4:5]
	s_add_i32 s9, s7, 0xfffffcf8
	v_mul_f64 v[4:5], v[4:5], v[36:37]
	v_mov_b32_e32 v26, s9
	s_add_i32 s9, s7, 0xfffffce8
	global_store_dwordx4 v[18:19], v[0:3], off offset:-24
	global_store_dwordx4 v[18:19], v[4:7], off offset:-40
	v_mov_b32_e32 v30, s9
	ds_read2_b64 v[26:29], v26 offset1:1
	ds_read2_b64 v[30:33], v30 offset1:1
	s_add_i32 s9, s7, 0xfffffcd8
	v_mov_b32_e32 v34, s9
	ds_read2_b64 v[34:37], v34 offset1:1
	s_waitcnt lgkmcnt(2)
	v_fma_f64 v[10:11], -v[20:21], v[28:29], v[10:11]
	s_add_i32 s9, s8, 0xfffffcd0
	v_fma_f64 v[10:11], -v[24:25], v[26:27], v[10:11]
	v_mov_b32_e32 v26, s9
	ds_read_b64 v[26:27], v26
	s_add_i32 s9, s7, 0xfffffc80
	s_waitcnt lgkmcnt(2)
	v_fma_f64 v[10:11], -v[2:3], v[32:33], v[10:11]
	v_mov_b32_e32 v28, s9
	v_fma_f64 v[10:11], -v[0:1], v[30:31], v[10:11]
	ds_read_b64 v[30:31], v28
	s_waitcnt lgkmcnt(2)
	v_fma_f64 v[10:11], -v[6:7], v[36:37], v[10:11]
	v_fma_f64 v[10:11], -v[4:5], v[34:35], v[10:11]
	s_add_i32 s9, s7, 0xfffffc70
	s_waitcnt lgkmcnt(1)
	v_mul_f64 v[10:11], v[10:11], v[26:27]
	v_mov_b32_e32 v26, s9
	ds_read2_b64 v[26:29], v26 offset1:1
	s_add_i32 s9, s7, 0xfffffc60
	s_waitcnt lgkmcnt(1)
	v_fma_f64 v[8:9], -v[20:21], v[30:31], v[8:9]
	v_mov_b32_e32 v30, s9
	ds_read2_b64 v[30:33], v30 offset1:1
	s_add_i32 s9, s7, 0xfffffc50
	v_mov_b32_e32 v34, s9
	ds_read2_b64 v[34:37], v34 offset1:1
	s_waitcnt lgkmcnt(2)
	v_fma_f64 v[8:9], -v[24:25], v[28:29], v[8:9]
	v_fma_f64 v[8:9], -v[2:3], v[26:27], v[8:9]
	s_waitcnt lgkmcnt(1)
	v_fma_f64 v[8:9], -v[0:1], v[32:33], v[8:9]
	v_fma_f64 v[8:9], -v[6:7], v[30:31], v[8:9]
	s_add_i32 s9, s8, 0xfffffc48
	s_waitcnt lgkmcnt(0)
	v_fma_f64 v[8:9], -v[4:5], v[36:37], v[8:9]
	v_mov_b32_e32 v26, s9
	s_add_i32 s9, s7, 0xfffffbf8
	v_fma_f64 v[8:9], -v[10:11], v[34:35], v[8:9]
	ds_read_b64 v[34:35], v26
	v_mov_b32_e32 v26, s9
	ds_read2_b64 v[26:29], v26 offset1:1
	s_add_i32 s9, s7, 0xfffffbe8
	v_mov_b32_e32 v30, s9
	ds_read2_b64 v[30:33], v30 offset1:1
	s_add_i32 s9, s7, 0xfffffbd8
	s_waitcnt lgkmcnt(1)
	v_fma_f64 v[22:23], -v[20:21], v[28:29], v[22:23]
	v_fma_f64 v[22:23], -v[24:25], v[26:27], v[22:23]
	v_mov_b32_e32 v26, s9
	ds_read2_b64 v[26:29], v26 offset1:1
	s_waitcnt lgkmcnt(1)
	v_fma_f64 v[22:23], -v[2:3], v[32:33], v[22:23]
	s_add_i32 s9, s7, 0xfffffbc8
	v_fma_f64 v[22:23], -v[0:1], v[30:31], v[22:23]
	v_mov_b32_e32 v30, s9
	ds_read2_b64 v[30:33], v30 offset1:1
	s_waitcnt lgkmcnt(1)
	v_fma_f64 v[22:23], -v[6:7], v[28:29], v[22:23]
	s_add_i32 s9, s8, 0xfffffbc0
	v_fma_f64 v[22:23], -v[4:5], v[26:27], v[22:23]
	v_mov_b32_e32 v26, s9
	s_add_i32 s9, s7, 0xfffffb80
	v_mul_f64 v[8:9], v[8:9], v[34:35]
	ds_read_b64 v[34:35], v26
	v_mov_b32_e32 v26, s9
	s_add_i32 s9, s7, 0xfffffb70
	global_store_dwordx4 v[18:19], v[8:11], off offset:-56
	v_mov_b32_e32 v27, s9
	ds_read_b64 v[36:37], v26
	ds_read2_b64 v[26:29], v27 offset1:1
	s_waitcnt lgkmcnt(3)
	v_fma_f64 v[22:23], -v[10:11], v[32:33], v[22:23]
	v_fma_f64 v[22:23], -v[8:9], v[30:31], v[22:23]
	s_add_i32 s9, s7, 0xfffffb60
	s_waitcnt lgkmcnt(1)
	v_fma_f64 v[16:17], -v[20:21], v[36:37], v[16:17]
	v_mul_f64 v[30:31], v[22:23], v[34:35]
	s_waitcnt lgkmcnt(0)
	v_fma_f64 v[16:17], -v[24:25], v[28:29], v[16:17]
	v_mov_b32_e32 v22, s9
	s_add_i32 s9, s7, 0xfffffb50
	v_fma_f64 v[16:17], -v[2:3], v[26:27], v[16:17]
	v_mov_b32_e32 v23, s9
	ds_read2_b64 v[26:29], v22 offset1:1
	ds_read2_b64 v[32:35], v23 offset1:1
	s_add_i32 s9, s7, 0xfffffb40
	v_mov_b32_e32 v22, s9
	ds_read2_b64 v[36:39], v22 offset1:1
	s_waitcnt lgkmcnt(2)
	v_fma_f64 v[16:17], -v[0:1], v[28:29], v[16:17]
	s_add_i32 s9, s8, 0xfffffb38
	v_fma_f64 v[16:17], -v[6:7], v[26:27], v[16:17]
	v_mov_b32_e32 v22, s9
	s_add_i32 s9, s7, 0xfffffaf8
	s_waitcnt lgkmcnt(1)
	v_fma_f64 v[16:17], -v[4:5], v[34:35], v[16:17]
	v_mov_b32_e32 v26, s9
	v_fma_f64 v[16:17], -v[10:11], v[32:33], v[16:17]
	s_add_i32 s9, s7, 0xfffffae8
	ds_read2_b64 v[32:35], v26 offset1:1
	s_waitcnt lgkmcnt(1)
	v_fma_f64 v[16:17], -v[8:9], v[38:39], v[16:17]
	v_mov_b32_e32 v26, s9
	v_fma_f64 v[16:17], -v[30:31], v[36:37], v[16:17]
	ds_read_b64 v[22:23], v22
	ds_read2_b64 v[36:39], v26 offset1:1
	s_waitcnt lgkmcnt(2)
	v_fma_f64 v[14:15], -v[20:21], v[34:35], v[14:15]
	v_fma_f64 v[14:15], -v[24:25], v[32:33], v[14:15]
	s_add_i32 s9, s7, 0xfffffad8
	s_waitcnt lgkmcnt(1)
	v_mul_f64 v[28:29], v[16:17], v[22:23]
	s_waitcnt lgkmcnt(0)
	v_fma_f64 v[14:15], -v[2:3], v[38:39], v[14:15]
	global_store_dwordx4 v[18:19], v[28:31], off offset:-72
	v_fma_f64 v[22:23], -v[0:1], v[36:37], v[14:15]
	v_mov_b32_e32 v14, s9
	s_add_i32 s9, s7, 0xfffffac8
	v_mov_b32_e32 v26, s9
	ds_read2_b64 v[14:17], v14 offset1:1
	ds_read2_b64 v[32:35], v26 offset1:1
	s_addk_i32 s7, 0xfab8
	v_mov_b32_e32 v26, s7
	ds_read2_b64 v[36:39], v26 offset1:1
	s_waitcnt lgkmcnt(2)
	v_fma_f64 v[16:17], -v[6:7], v[16:17], v[22:23]
	v_fma_f64 v[14:15], -v[4:5], v[14:15], v[16:17]
	s_waitcnt lgkmcnt(1)
	v_fma_f64 v[14:15], -v[10:11], v[34:35], v[14:15]
	v_fma_f64 v[14:15], -v[8:9], v[32:33], v[14:15]
	s_add_i32 s7, s8, 0xfffffab0
	s_waitcnt lgkmcnt(0)
	v_fma_f64 v[22:23], -v[30:31], v[38:39], v[14:15]
	v_mov_b32_e32 v14, s7
	s_add_i32 s7, s6, -11
	s_lshl_b32 s7, s7, 4
	s_add_i32 s7, s7, s6
	s_lshl_b32 s7, s7, 3
	s_add_i32 s9, s7, -8
	ds_read_b64 v[26:27], v14
	v_mov_b32_e32 v14, s9
	s_sub_i32 s9, s7, 24
	ds_read2_b64 v[14:17], v14 offset1:1
	v_mov_b32_e32 v32, s9
	ds_read2_b64 v[32:35], v32 offset1:1
	s_sub_i32 s9, s7, 40
	v_fma_f64 v[22:23], -v[28:29], v[36:37], v[22:23]
	s_waitcnt lgkmcnt(1)
	v_fma_f64 v[12:13], -v[20:21], v[16:17], v[12:13]
	v_fma_f64 v[12:13], -v[24:25], v[14:15], v[12:13]
	s_waitcnt lgkmcnt(0)
	v_fma_f64 v[2:3], -v[2:3], v[34:35], v[12:13]
	v_mov_b32_e32 v12, s9
	ds_read2_b64 v[12:15], v12 offset1:1
	s_sub_i32 s9, s7, 56
	v_fma_f64 v[16:17], -v[0:1], v[32:33], v[2:3]
	v_mov_b32_e32 v0, s9
	ds_read2_b64 v[0:3], v0 offset1:1
	s_waitcnt lgkmcnt(1)
	v_fma_f64 v[6:7], -v[6:7], v[14:15], v[16:17]
	s_addk_i32 s7, 0xffb8
	v_fma_f64 v[16:17], -v[4:5], v[12:13], v[6:7]
	v_mov_b32_e32 v4, s7
	ds_read2_b64 v[4:7], v4 offset1:1
	s_add_i32 s7, s8, 0xfffffa28
	v_mov_b32_e32 v12, s7
	ds_read2_b64 v[12:15], v12 offset1:1
	s_waitcnt lgkmcnt(2)
	v_fma_f64 v[2:3], -v[10:11], v[2:3], v[16:17]
	v_fma_f64 v[0:1], -v[8:9], v[0:1], v[2:3]
	s_waitcnt lgkmcnt(1)
	v_fma_f64 v[0:1], -v[30:31], v[6:7], v[0:1]
	v_mul_f64 v[22:23], v[22:23], v[26:27]
	v_fma_f64 v[0:1], -v[28:29], v[4:5], v[0:1]
	s_waitcnt lgkmcnt(0)
	v_fma_f64 v[0:1], -v[22:23], v[14:15], v[0:1]
	v_mul_f64 v[20:21], v[0:1], v[12:13]
	s_add_i32 s6, s6, -12
	global_store_dwordx4 v[18:19], v[20:23], off offset:-88
.LBB85_20:
	s_cmp_lt_i32 s6, 0
	s_cbranch_scc1 .LBB85_37
; %bb.21:
	s_add_i32 s7, s6, 1
	s_and_b32 s7, s7, 3
	s_cmp_eq_u32 s7, 0
	s_mov_b32 s8, s6
	s_cbranch_scc1 .LBB85_26
; %bb.22:
	s_lshl_b32 s8, s6, 7
	s_lshl_b32 s9, s16, 3
	s_add_i32 s8, s8, s9
	s_ashr_i32 s19, s18, 31
	s_add_i32 s12, s8, -8
	s_lshl_b64 s[8:9], s[18:19], 3
	s_add_u32 s8, s10, s8
	s_addc_u32 s9, s11, s9
	s_add_u32 s8, s8, s4
	s_addc_u32 s9, s9, s5
	;; [unrolled: 2-line block ×3, first 2 shown]
	v_mov_b32_e32 v1, s9
	v_add_co_u32_e32 v0, vcc, s8, v86
	s_mov_b32 s9, 0
	v_addc_co_u32_e32 v1, vcc, v1, v87, vcc
	s_mov_b32 s8, s6
	s_mov_b32 s13, s9
	s_branch .LBB85_24
.LBB85_23:                              ;   in Loop: Header=BB85_24 Depth=1
	s_mul_i32 s15, s8, 0x88
	v_mov_b32_e32 v4, s15
	ds_read_b64 v[4:5], v4
	s_ashr_i32 s21, s8, 31
	s_mov_b32 s20, s8
	s_lshl_b64 s[20:21], s[20:21], 3
	v_mov_b32_e32 v6, s21
	s_waitcnt lgkmcnt(0)
	v_mul_f64 v[2:3], v[2:3], v[4:5]
	v_add_co_u32_e32 v4, vcc, s20, v84
	s_add_i32 s8, s8, -1
	s_add_i32 s13, s13, 1
	s_addk_i32 s12, 0xff80
	v_addc_co_u32_e32 v5, vcc, v85, v6, vcc
	s_cmp_lg_u32 s13, s7
	global_store_dwordx2 v[4:5], v[2:3], off
	s_cbranch_scc0 .LBB85_26
.LBB85_24:                              ; =>This Loop Header: Depth=1
                                        ;     Child Loop BB85_25 Depth 2
	s_lshl_b64 s[20:21], s[8:9], 3
	v_mov_b32_e32 v3, s21
	v_add_co_u32_e32 v2, vcc, s20, v84
	v_addc_co_u32_e32 v3, vcc, v85, v3, vcc
	global_load_dwordx2 v[2:3], v[2:3], off
	v_pk_mov_b32 v[4:5], v[0:1], v[0:1] op_sel:[0,1]
	s_mov_b32 s15, s12
	s_cmp_le_i32 s18, s8
	s_mov_b32 s17, s18
	s_waitcnt vmcnt(0)
	v_mul_f64 v[2:3], v[2:3], s[0:1]
	s_cbranch_scc1 .LBB85_23
.LBB85_25:                              ;   Parent Loop BB85_24 Depth=1
                                        ; =>  This Inner Loop Header: Depth=2
	global_load_dwordx2 v[6:7], v[4:5], off
	v_mov_b32_e32 v8, s15
	ds_read_b64 v[8:9], v8
	s_add_i32 s17, s17, -1
	s_add_i32 s15, s15, -8
	v_add_co_u32_e32 v4, vcc, -8, v4
	v_addc_co_u32_e32 v5, vcc, -1, v5, vcc
	s_cmp_gt_i32 s17, s8
	s_waitcnt vmcnt(0) lgkmcnt(0)
	v_fma_f64 v[2:3], -v[6:7], v[8:9], v[2:3]
	s_cbranch_scc1 .LBB85_25
	s_branch .LBB85_23
.LBB85_26:
	s_cmp_lt_u32 s6, 3
	s_cbranch_scc1 .LBB85_37
; %bb.27:
	s_lshl_b32 s6, s8, 7
	s_lshl_b32 s7, s16, 3
	s_add_i32 s9, s6, s7
	s_ashr_i32 s19, s18, 31
	s_add_i32 s12, s9, -8
	s_lshl_b64 s[6:7], s[18:19], 3
	s_add_u32 s6, s10, s6
	s_addc_u32 s7, s11, s7
	s_add_u32 s6, s6, s4
	s_addc_u32 s7, s7, s5
	;; [unrolled: 2-line block ×3, first 2 shown]
	v_mov_b32_e32 v1, s7
	v_add_co_u32_e32 v0, vcc, s6, v86
	v_addc_co_u32_e32 v1, vcc, v1, v87, vcc
	s_add_i32 s13, s9, 0xffffff78
	s_add_i32 s15, s9, 0xfffffef8
	;; [unrolled: 1-line block ×3, first 2 shown]
	s_mov_b32 s9, 0
	s_branch .LBB85_29
.LBB85_28:                              ;   in Loop: Header=BB85_29 Depth=1
	s_add_i32 s6, s7, 0xffffff78
	v_mov_b32_e32 v6, s6
	ds_read_b64 v[6:7], v6
	s_add_i32 s6, s8, -4
	s_addk_i32 s12, 0xfe00
	s_addk_i32 s13, 0xfe00
	;; [unrolled: 1-line block ×4, first 2 shown]
	s_waitcnt lgkmcnt(0)
	v_mul_f64 v[4:5], v[4:5], v[6:7]
	s_cmp_lt_i32 s8, 4
	s_mov_b32 s8, s6
	global_store_dwordx2 v[2:3], v[4:5], off offset:-24
	s_cbranch_scc1 .LBB85_37
.LBB85_29:                              ; =>This Loop Header: Depth=1
                                        ;     Child Loop BB85_30 Depth 2
                                        ;     Child Loop BB85_32 Depth 2
                                        ;     Child Loop BB85_34 Depth 2
                                        ;     Child Loop BB85_36 Depth 2
	s_lshl_b64 s[6:7], s[8:9], 3
	v_mov_b32_e32 v3, s7
	v_add_co_u32_e32 v2, vcc, s6, v84
	v_addc_co_u32_e32 v3, vcc, v85, v3, vcc
	global_load_dwordx2 v[4:5], v[2:3], off
	v_pk_mov_b32 v[2:3], v[0:1], v[0:1] op_sel:[0,1]
	s_mov_b32 s6, s12
	s_cmp_le_i32 s18, s8
	s_mov_b32 s7, s18
	s_waitcnt vmcnt(0)
	v_mul_f64 v[4:5], v[4:5], s[0:1]
	s_cbranch_scc1 .LBB85_31
.LBB85_30:                              ;   Parent Loop BB85_29 Depth=1
                                        ; =>  This Inner Loop Header: Depth=2
	global_load_dwordx2 v[6:7], v[2:3], off
	v_mov_b32_e32 v8, s6
	ds_read_b64 v[8:9], v8
	s_add_i32 s7, s7, -1
	s_add_i32 s6, s6, -8
	v_add_co_u32_e32 v2, vcc, -8, v2
	v_addc_co_u32_e32 v3, vcc, -1, v3, vcc
	s_cmp_gt_i32 s7, s8
	s_waitcnt vmcnt(0) lgkmcnt(0)
	v_fma_f64 v[4:5], -v[6:7], v[8:9], v[4:5]
	s_cbranch_scc1 .LBB85_30
.LBB85_31:                              ;   in Loop: Header=BB85_29 Depth=1
	s_add_i32 s6, s8, -1
	s_mov_b32 s7, s9
	s_lshl_b64 s[6:7], s[6:7], 3
	v_mov_b32_e32 v3, s7
	v_add_co_u32_e32 v2, vcc, s6, v84
	v_addc_co_u32_e32 v3, vcc, v85, v3, vcc
	global_load_dwordx2 v[8:9], v[2:3], off
	s_mul_i32 s19, s8, 0x88
	v_mov_b32_e32 v2, s19
	ds_read_b64 v[10:11], v2
	s_ashr_i32 s21, s8, 31
	s_mov_b32 s20, s8
	s_lshl_b64 s[20:21], s[20:21], 3
	v_mov_b32_e32 v3, s21
	v_add_co_u32_e32 v2, vcc, s20, v84
	v_addc_co_u32_e32 v3, vcc, v85, v3, vcc
	s_waitcnt lgkmcnt(0)
	v_mul_f64 v[4:5], v[4:5], v[10:11]
	v_pk_mov_b32 v[6:7], v[0:1], v[0:1] op_sel:[0,1]
	s_mov_b32 s6, s13
	s_cmp_lt_i32 s18, s8
	global_store_dwordx2 v[2:3], v[4:5], off
	s_mov_b32 s7, s16
	s_waitcnt vmcnt(1)
	v_mul_f64 v[4:5], v[8:9], s[0:1]
	s_cbranch_scc1 .LBB85_33
.LBB85_32:                              ;   Parent Loop BB85_29 Depth=1
                                        ; =>  This Inner Loop Header: Depth=2
	global_load_dwordx2 v[8:9], v[6:7], off
	v_mov_b32_e32 v10, s6
	ds_read_b64 v[10:11], v10
	s_add_i32 s7, s7, -1
	s_add_i32 s6, s6, -8
	v_add_co_u32_e32 v6, vcc, -8, v6
	v_addc_co_u32_e32 v7, vcc, -1, v7, vcc
	s_cmp_gt_i32 s7, s8
	s_waitcnt vmcnt(0) lgkmcnt(0)
	v_fma_f64 v[4:5], -v[8:9], v[10:11], v[4:5]
	s_cbranch_scc1 .LBB85_32
.LBB85_33:                              ;   in Loop: Header=BB85_29 Depth=1
	s_add_i32 s6, s8, -2
	s_mov_b32 s7, s9
	s_lshl_b64 s[20:21], s[6:7], 3
	v_mov_b32_e32 v7, s21
	v_add_co_u32_e32 v6, vcc, s20, v84
	v_addc_co_u32_e32 v7, vcc, v85, v7, vcc
	global_load_dwordx2 v[8:9], v[6:7], off
	s_addk_i32 s19, 0xff78
	v_mov_b32_e32 v6, s19
	ds_read_b64 v[10:11], v6
	v_pk_mov_b32 v[6:7], v[0:1], v[0:1] op_sel:[0,1]
	s_mov_b32 s7, s15
	s_cmp_le_i32 s18, s6
	s_mov_b32 s20, s18
	s_waitcnt lgkmcnt(0)
	v_mul_f64 v[4:5], v[4:5], v[10:11]
	global_store_dwordx2 v[2:3], v[4:5], off offset:-8
	s_waitcnt vmcnt(1)
	v_mul_f64 v[4:5], v[8:9], s[0:1]
	s_cbranch_scc1 .LBB85_35
.LBB85_34:                              ;   Parent Loop BB85_29 Depth=1
                                        ; =>  This Inner Loop Header: Depth=2
	global_load_dwordx2 v[8:9], v[6:7], off
	v_mov_b32_e32 v10, s7
	ds_read_b64 v[10:11], v10
	s_add_i32 s20, s20, -1
	s_add_i32 s7, s7, -8
	v_add_co_u32_e32 v6, vcc, -8, v6
	v_addc_co_u32_e32 v7, vcc, -1, v7, vcc
	s_cmp_gt_i32 s20, s6
	s_waitcnt vmcnt(0) lgkmcnt(0)
	v_fma_f64 v[4:5], -v[8:9], v[10:11], v[4:5]
	s_cbranch_scc1 .LBB85_34
.LBB85_35:                              ;   in Loop: Header=BB85_29 Depth=1
	s_add_i32 s6, s8, -3
	s_mov_b32 s7, s9
	s_lshl_b64 s[20:21], s[6:7], 3
	v_mov_b32_e32 v7, s21
	v_add_co_u32_e32 v6, vcc, s20, v84
	v_addc_co_u32_e32 v7, vcc, v85, v7, vcc
	global_load_dwordx2 v[8:9], v[6:7], off
	s_add_i32 s7, s19, 0xffffff78
	v_mov_b32_e32 v6, s7
	ds_read_b64 v[10:11], v6
	v_pk_mov_b32 v[6:7], v[0:1], v[0:1] op_sel:[0,1]
	s_mov_b32 s19, s17
	s_cmp_le_i32 s18, s6
	s_mov_b32 s20, s18
	s_waitcnt lgkmcnt(0)
	v_mul_f64 v[4:5], v[4:5], v[10:11]
	global_store_dwordx2 v[2:3], v[4:5], off offset:-16
	s_waitcnt vmcnt(1)
	v_mul_f64 v[4:5], v[8:9], s[0:1]
	s_cbranch_scc1 .LBB85_28
.LBB85_36:                              ;   Parent Loop BB85_29 Depth=1
                                        ; =>  This Inner Loop Header: Depth=2
	global_load_dwordx2 v[8:9], v[6:7], off
	v_mov_b32_e32 v10, s19
	ds_read_b64 v[10:11], v10
	s_add_i32 s20, s20, -1
	s_add_i32 s19, s19, -8
	v_add_co_u32_e32 v6, vcc, -8, v6
	v_addc_co_u32_e32 v7, vcc, -1, v7, vcc
	s_cmp_gt_i32 s20, s6
	s_waitcnt vmcnt(0) lgkmcnt(0)
	v_fma_f64 v[4:5], -v[8:9], v[10:11], v[4:5]
	s_cbranch_scc1 .LBB85_36
	s_branch .LBB85_28
.LBB85_37:
	s_mov_b64 s[6:7], 0
.LBB85_38:
	s_and_b64 vcc, exec, s[6:7]
	s_cbranch_vccz .LBB85_61
; %bb.39:
	s_cmp_gt_i32 s14, 15
	s_cselect_b64 s[8:9], -1, 0
	s_and_b64 vcc, exec, s[8:9]
	s_cbranch_vccz .LBB85_41
; %bb.40:
	global_load_dwordx4 v[8:11], v[84:85], off
	global_load_dwordx4 v[44:47], v[84:85], off offset:16
	global_load_dwordx4 v[28:31], v[84:85], off offset:32
	;; [unrolled: 1-line block ×6, first 2 shown]
	v_mov_b32_e32 v90, 0
	ds_read_b128 v[60:63], v90
	ds_read_b128 v[56:59], v90 offset:16
	ds_read2_b64 v[52:55], v90 offset0:17 offset1:18
	ds_read2_b64 v[16:19], v90 offset0:19 offset1:20
	;; [unrolled: 1-line block ×4, first 2 shown]
	ds_read_b128 v[68:71], v90 offset:32
	ds_read_b128 v[80:83], v90 offset:48
	;; [unrolled: 1-line block ×6, first 2 shown]
	ds_read2_b64 v[76:79], v90 offset0:21 offset1:22
	ds_read2_b64 v[72:75], v90 offset0:23 offset1:24
	s_mov_b32 s6, 16
	s_waitcnt vmcnt(6)
	v_mul_f64 v[8:9], v[8:9], s[0:1]
	s_waitcnt lgkmcnt(13)
	v_mul_f64 v[8:9], v[8:9], v[60:61]
	s_waitcnt lgkmcnt(12)
	v_mul_f64 v[56:57], v[8:9], v[56:57]
	v_mul_f64 v[58:59], v[8:9], v[58:59]
	;; [unrolled: 1-line block ×3, first 2 shown]
	s_waitcnt vmcnt(5)
	v_fma_f64 v[92:93], v[44:45], s[0:1], -v[56:57]
	v_fma_f64 v[44:45], v[46:47], s[0:1], -v[58:59]
	s_waitcnt lgkmcnt(7)
	v_mul_f64 v[46:47], v[8:9], v[68:69]
	v_mul_f64 v[68:69], v[8:9], v[70:71]
	v_fma_f64 v[10:11], v[10:11], s[0:1], -v[60:61]
	ds_read2_b64 v[60:63], v90 offset0:85 offset1:86
	ds_read2_b64 v[56:59], v90 offset0:87 offset1:88
	s_waitcnt vmcnt(4)
	v_fma_f64 v[46:47], v[28:29], s[0:1], -v[46:47]
	v_fma_f64 v[94:95], v[30:31], s[0:1], -v[68:69]
	ds_read_b128 v[28:31], v90 offset:64
	s_waitcnt lgkmcnt(9)
	v_mul_f64 v[70:71], v[8:9], v[80:81]
	v_mul_f64 v[68:69], v[8:9], v[82:83]
	s_waitcnt vmcnt(3)
	v_fma_f64 v[70:71], v[20:21], s[0:1], -v[70:71]
	v_fma_f64 v[68:69], v[22:23], s[0:1], -v[68:69]
	ds_read_b128 v[20:23], v90 offset:80
	s_waitcnt lgkmcnt(1)
	v_mul_f64 v[28:29], v[8:9], v[28:29]
	v_mul_f64 v[30:31], v[8:9], v[30:31]
	;; [unrolled: 1-line block ×3, first 2 shown]
	s_waitcnt vmcnt(2)
	v_fma_f64 v[96:97], v[48:49], s[0:1], -v[28:29]
	v_fma_f64 v[88:89], v[50:51], s[0:1], -v[30:31]
	ds_read_b128 v[28:31], v90 offset:1088
	v_fma_f64 v[52:53], -v[10:11], v[54:55], v[92:93]
	ds_read2_b64 v[80:83], v90 offset0:55 offset1:56
	ds_read2_b64 v[48:51], v90 offset0:57 offset1:58
	v_fma_f64 v[54:55], -v[10:11], v[16:17], v[44:45]
	v_fma_f64 v[92:93], -v[10:11], v[18:19], v[46:47]
	ds_read_b128 v[16:19], v90 offset:272
	ds_read2_b64 v[44:47], v90 offset0:29 offset1:30
	v_fma_f64 v[76:77], -v[10:11], v[76:77], v[94:95]
	v_fma_f64 v[78:79], -v[10:11], v[78:79], v[70:71]
	;; [unrolled: 1-line block ×3, first 2 shown]
	s_waitcnt lgkmcnt(1)
	v_mul_f64 v[16:17], v[52:53], v[16:17]
	v_fma_f64 v[18:19], -v[16:17], v[18:19], v[54:55]
	v_fma_f64 v[94:95], -v[10:11], v[74:75], v[96:97]
	;; [unrolled: 1-line block ×4, first 2 shown]
	ds_read2_b64 v[68:71], v90 offset0:119 offset1:120
	ds_read2_b64 v[52:55], v90 offset0:121 offset1:122
	v_fma_f64 v[76:77], -v[16:17], v[40:41], v[78:79]
	v_fma_f64 v[92:93], -v[16:17], v[42:43], v[72:73]
	v_mul_f64 v[18:19], v[18:19], v[12:13]
	ds_read_b128 v[72:75], v90 offset:320
	ds_read_b128 v[40:43], v90 offset:336
	v_fma_f64 v[12:13], -v[18:19], v[14:15], v[36:37]
	v_fma_f64 v[14:15], -v[18:19], v[24:25], v[38:39]
	v_mul_f64 v[12:13], v[12:13], v[32:33]
	v_fma_f64 v[24:25], -v[18:19], v[26:27], v[76:77]
	v_fma_f64 v[14:15], -v[12:13], v[34:35], v[14:15]
	s_waitcnt lgkmcnt(1)
	v_fma_f64 v[26:27], -v[16:17], v[72:73], v[94:95]
	v_fma_f64 v[72:73], -v[18:19], v[80:81], v[92:93]
	;; [unrolled: 1-line block ×3, first 2 shown]
	v_mul_f64 v[14:15], v[14:15], v[60:61]
	ds_read_b128 v[76:79], v90 offset:576
	ds_read_b128 v[36:39], v90 offset:592
	v_fma_f64 v[92:93], -v[18:19], v[82:83], v[26:27]
	v_fma_f64 v[72:73], -v[12:13], v[66:67], v[72:73]
	ds_read_b128 v[80:83], v90 offset:832
	ds_read_b128 v[64:67], v90 offset:848
	v_fma_f64 v[60:61], -v[14:15], v[62:63], v[24:25]
	ds_read_b128 v[24:27], v90 offset:816
	ds_read2_b64 v[32:35], v90 offset0:93 offset1:94
	s_waitcnt lgkmcnt(5)
	v_fma_f64 v[62:63], -v[12:13], v[76:77], v[92:93]
	v_fma_f64 v[56:57], -v[14:15], v[56:57], v[72:73]
	;; [unrolled: 1-line block ×3, first 2 shown]
	s_waitcnt lgkmcnt(1)
	v_mul_f64 v[24:25], v[60:61], v[24:25]
	v_fma_f64 v[26:27], -v[24:25], v[26:27], v[56:57]
	ds_read2_b64 v[56:59], v90 offset0:25 offset1:26
	ds_read2_b64 v[60:63], v90 offset0:27 offset1:28
	v_mul_f64 v[20:21], v[8:9], v[20:21]
	s_waitcnt vmcnt(1)
	v_fma_f64 v[4:5], v[4:5], s[0:1], -v[20:21]
	v_mul_f64 v[26:27], v[26:27], v[68:69]
	s_waitcnt lgkmcnt(1)
	v_fma_f64 v[56:57], -v[10:11], v[56:57], v[88:89]
	v_fma_f64 v[56:57], -v[16:17], v[74:75], v[56:57]
	;; [unrolled: 1-line block ×4, first 2 shown]
	global_load_dwordx4 v[56:59], v[84:85], off offset:112
	v_fma_f64 v[68:69], -v[24:25], v[80:81], v[72:73]
	v_fma_f64 v[80:81], -v[26:27], v[70:71], v[68:69]
	ds_read2_b64 v[68:71], v90 offset0:89 offset1:90
	ds_read2_b64 v[72:75], v90 offset0:91 offset1:92
	v_fma_f64 v[48:49], -v[12:13], v[78:79], v[48:49]
	v_fma_f64 v[4:5], -v[16:17], v[40:41], v[4:5]
	ds_read_b128 v[76:79], v90 offset:1104
	s_waitcnt lgkmcnt(2)
	v_fma_f64 v[48:49], -v[14:15], v[68:69], v[48:49]
	v_fma_f64 v[48:49], -v[24:25], v[82:83], v[48:49]
	v_mul_f64 v[28:29], v[80:81], v[28:29]
	ds_read2_b64 v[80:83], v90 offset0:153 offset1:154
	v_fma_f64 v[4:5], -v[18:19], v[50:51], v[4:5]
	v_fma_f64 v[4:5], -v[12:13], v[36:37], v[4:5]
	;; [unrolled: 1-line block ×7, first 2 shown]
	s_waitcnt lgkmcnt(0)
	v_mul_f64 v[30:31], v[30:31], v[80:81]
	v_fma_f64 v[4:5], -v[28:29], v[76:77], v[4:5]
	v_fma_f64 v[20:21], -v[30:31], v[82:83], v[4:5]
	v_mul_f64 v[4:5], v[8:9], v[22:23]
	ds_read2_b64 v[48:51], v90 offset0:155 offset1:156
	ds_read_b128 v[52:55], v90 offset:1360
	ds_read2_b64 v[68:71], v90 offset0:157 offset1:158
	v_fma_f64 v[22:23], v[6:7], s[0:1], -v[4:5]
	ds_read2_b64 v[4:7], v90 offset0:59 offset1:60
	ds_read2_b64 v[80:83], v90 offset0:123 offset1:124
	v_fma_f64 v[22:23], -v[10:11], v[60:61], v[22:23]
	v_fma_f64 v[22:23], -v[16:17], v[42:43], v[22:23]
	ds_read2_b64 v[40:43], v90 offset0:61 offset1:62
	s_waitcnt lgkmcnt(2)
	v_fma_f64 v[4:5], -v[18:19], v[4:5], v[22:23]
	v_fma_f64 v[4:5], -v[12:13], v[38:39], v[4:5]
	;; [unrolled: 1-line block ×4, first 2 shown]
	ds_read_b128 v[64:67], v90 offset:96
	s_waitcnt lgkmcnt(2)
	v_fma_f64 v[4:5], -v[26:27], v[80:81], v[4:5]
	v_fma_f64 v[4:5], -v[28:29], v[78:79], v[4:5]
	v_mul_f64 v[20:21], v[20:21], v[52:53]
	v_fma_f64 v[4:5], -v[30:31], v[48:49], v[4:5]
	ds_read2_b64 v[36:39], v90 offset0:125 offset1:126
	v_fma_f64 v[22:23], -v[20:21], v[54:55], v[4:5]
	ds_read_b128 v[52:55], v90 offset:112
	ds_read_b128 v[76:79], v90 offset:352
	s_waitcnt lgkmcnt(3)
	v_mul_f64 v[4:5], v[8:9], v[64:65]
	s_waitcnt vmcnt(1)
	v_fma_f64 v[0:1], v[0:1], s[0:1], -v[4:5]
	v_fma_f64 v[0:1], -v[10:11], v[62:63], v[0:1]
	ds_read_b128 v[60:63], v90 offset:368
	s_waitcnt lgkmcnt(1)
	v_fma_f64 v[0:1], -v[16:17], v[76:77], v[0:1]
	v_fma_f64 v[0:1], -v[18:19], v[6:7], v[0:1]
	ds_read_b128 v[4:7], v90 offset:608
	ds_read_b128 v[92:95], v90 offset:624
	s_waitcnt lgkmcnt(1)
	v_fma_f64 v[0:1], -v[12:13], v[4:5], v[0:1]
	v_fma_f64 v[0:1], -v[14:15], v[74:75], v[0:1]
	ds_read_b128 v[72:75], v90 offset:864
	;; [unrolled: 5-line block ×3, first 2 shown]
	ds_read_b128 v[100:103], v90 offset:1136
	s_waitcnt lgkmcnt(1)
	v_fma_f64 v[0:1], -v[28:29], v[80:81], v[0:1]
	v_fma_f64 v[0:1], -v[30:31], v[50:51], v[0:1]
	ds_read2_b64 v[48:51], v90 offset0:187 offset1:188
	ds_read2_b64 v[104:107], v90 offset0:189 offset1:190
	ds_read_b128 v[108:111], v90 offset:1376
	ds_read_b128 v[112:115], v90 offset:1392
	s_waitcnt lgkmcnt(3)
	v_mul_f64 v[22:23], v[22:23], v[48:49]
	s_waitcnt lgkmcnt(1)
	v_fma_f64 v[0:1], -v[20:21], v[108:109], v[0:1]
	v_fma_f64 v[48:49], -v[22:23], v[50:51], v[0:1]
	v_mul_f64 v[0:1], v[8:9], v[66:67]
	v_fma_f64 v[0:1], v[2:3], s[0:1], -v[0:1]
	v_fma_f64 v[0:1], -v[10:11], v[44:45], v[0:1]
	v_fma_f64 v[0:1], -v[16:17], v[78:79], v[0:1]
	;; [unrolled: 1-line block ×8, first 2 shown]
	ds_read_b128 v[0:3], v90 offset:1632
	v_fma_f64 v[4:5], -v[30:31], v[68:69], v[4:5]
	v_fma_f64 v[4:5], -v[20:21], v[110:111], v[4:5]
	;; [unrolled: 1-line block ×3, first 2 shown]
	ds_read_b128 v[4:7], v90 offset:1648
	s_waitcnt lgkmcnt(1)
	v_mul_f64 v[0:1], v[48:49], v[0:1]
	v_fma_f64 v[2:3], -v[0:1], v[2:3], v[32:33]
	v_mul_f64 v[32:33], v[8:9], v[52:53]
	s_waitcnt vmcnt(0)
	v_fma_f64 v[32:33], v[56:57], s[0:1], -v[32:33]
	v_fma_f64 v[32:33], -v[10:11], v[46:47], v[32:33]
	v_fma_f64 v[32:33], -v[16:17], v[60:61], v[32:33]
	;; [unrolled: 1-line block ×10, first 2 shown]
	ds_read2_b64 v[44:47], v90 offset0:221 offset1:222
	ds_read_b128 v[40:43], v90 offset:1904
	global_store_dwordx4 v[84:85], v[8:11], off
	global_store_dwordx4 v[84:85], v[16:19], off offset:16
	global_store_dwordx4 v[84:85], v[12:15], off offset:32
	;; [unrolled: 1-line block ×5, first 2 shown]
	v_fma_f64 v[32:33], -v[22:23], v[106:107], v[32:33]
	s_waitcnt lgkmcnt(2)
	v_fma_f64 v[4:5], -v[0:1], v[4:5], v[32:33]
	ds_read2_b64 v[32:35], v90 offset0:31 offset1:63
	v_mul_f64 v[8:9], v[8:9], v[54:55]
	v_fma_f64 v[8:9], v[58:59], s[0:1], -v[8:9]
	ds_read2_b64 v[36:39], v90 offset0:95 offset1:127
	s_waitcnt lgkmcnt(3)
	v_mul_f64 v[2:3], v[2:3], v[44:45]
	s_waitcnt lgkmcnt(1)
	v_fma_f64 v[8:9], -v[10:11], v[32:33], v[8:9]
	v_fma_f64 v[8:9], -v[16:17], v[62:63], v[8:9]
	;; [unrolled: 1-line block ×4, first 2 shown]
	s_waitcnt lgkmcnt(0)
	v_fma_f64 v[12:13], -v[14:15], v[36:37], v[8:9]
	ds_read2_b64 v[8:11], v90 offset0:159 offset1:191
	v_fma_f64 v[12:13], -v[24:25], v[98:99], v[12:13]
	v_fma_f64 v[12:13], -v[26:27], v[38:39], v[12:13]
	;; [unrolled: 1-line block ×3, first 2 shown]
	ds_read2_b64 v[12:15], v90 offset0:223 offset1:255
	s_waitcnt lgkmcnt(1)
	v_fma_f64 v[8:9], -v[30:31], v[8:9], v[16:17]
	v_fma_f64 v[8:9], -v[20:21], v[114:115], v[8:9]
	;; [unrolled: 1-line block ×3, first 2 shown]
	global_store_dwordx4 v[84:85], v[0:3], off offset:96
	v_fma_f64 v[4:5], -v[2:3], v[46:47], v[4:5]
	v_fma_f64 v[0:1], -v[0:1], v[6:7], v[8:9]
	v_mul_f64 v[4:5], v[4:5], v[40:41]
	s_waitcnt lgkmcnt(0)
	v_fma_f64 v[0:1], -v[2:3], v[12:13], v[0:1]
	v_fma_f64 v[0:1], -v[4:5], v[42:43], v[0:1]
	v_mul_f64 v[6:7], v[0:1], v[14:15]
	global_store_dwordx4 v[84:85], v[4:7], off offset:112
	s_cmp_lt_i32 s6, s16
	s_cbranch_scc1 .LBB85_42
	s_branch .LBB85_61
.LBB85_41:
	s_mov_b32 s6, 0
	s_cmp_lt_i32 s6, s16
	s_cbranch_scc0 .LBB85_61
.LBB85_42:
	s_or_b32 s7, s6, 11
	s_cmp_ge_u32 s7, s16
	s_cbranch_scc1 .LBB85_50
; %bb.43:
	s_lshl_b32 s12, s6, 3
	v_add_co_u32_e32 v20, vcc, s12, v84
	v_addc_co_u32_e32 v21, vcc, 0, v85, vcc
	global_load_dwordx4 v[0:3], v[20:21], off
	global_load_dwordx4 v[4:7], v[20:21], off offset:16
	global_load_dwordx4 v[8:11], v[20:21], off offset:32
	;; [unrolled: 1-line block ×5, first 2 shown]
	s_mov_b32 s13, 0
	s_andn2_b64 vcc, exec, s[8:9]
	s_waitcnt vmcnt(5)
	v_mul_f64 v[44:45], v[0:1], s[0:1]
	v_mul_f64 v[42:43], v[2:3], s[0:1]
	s_waitcnt vmcnt(4)
	v_mul_f64 v[40:41], v[4:5], s[0:1]
	v_mul_f64 v[38:39], v[6:7], s[0:1]
	;; [unrolled: 3-line block ×6, first 2 shown]
	s_cbranch_vccnz .LBB85_49
; %bb.44:
	s_max_u32 s8, s6, 1
	s_cmp_eq_u32 s8, 1
	s_cbranch_scc1 .LBB85_47
; %bb.45:
	s_and_b32 s13, s8, 16
	s_add_u32 s9, s10, s4
	s_addc_u32 s14, s11, s5
	s_add_u32 s9, s9, s2
	s_addc_u32 s14, s14, s3
	v_mov_b32_e32 v0, s14
	v_add_co_u32_e32 v1, vcc, s9, v86
	v_addc_co_u32_e32 v0, vcc, v0, v87, vcc
	v_add_co_u32_e32 v4, vcc, 8, v1
	v_addc_co_u32_e32 v5, vcc, 0, v0, vcc
	s_mov_b32 s9, 0
.LBB85_46:                              ; =>This Inner Loop Header: Depth=1
	global_load_dwordx4 v[0:3], v[4:5], off offset:-8
	v_mov_b32_e32 v18, s12
	ds_read_b128 v[6:9], v18
	ds_read_b128 v[10:13], v18 offset:16
	ds_read_b128 v[14:17], v18 offset:32
	;; [unrolled: 1-line block ×11, first 2 shown]
	s_add_i32 s9, s9, 2
	s_addk_i32 s12, 0x100
	v_add_co_u32_e32 v4, vcc, 16, v4
	v_addc_co_u32_e32 v5, vcc, 0, v5, vcc
	s_cmp_lg_u32 s13, s9
	s_waitcnt vmcnt(0) lgkmcnt(11)
	v_fma_f64 v[6:7], -v[0:1], v[6:7], v[44:45]
	v_fma_f64 v[8:9], -v[0:1], v[8:9], v[42:43]
	s_waitcnt lgkmcnt(10)
	v_fma_f64 v[10:11], -v[0:1], v[10:11], v[40:41]
	v_fma_f64 v[12:13], -v[0:1], v[12:13], v[38:39]
	s_waitcnt lgkmcnt(9)
	;; [unrolled: 3-line block ×11, first 2 shown]
	v_fma_f64 v[24:25], -v[2:3], v[78:79], v[24:25]
	v_fma_f64 v[22:23], -v[2:3], v[80:81], v[0:1]
	s_cbranch_scc1 .LBB85_46
.LBB85_47:
	s_bitcmp0_b32 s8, 0
	s_cbranch_scc1 .LBB85_49
; %bb.48:
	s_lshl_b32 s8, s13, 3
	v_add_co_u32_e32 v0, vcc, s8, v84
	v_addc_co_u32_e32 v1, vcc, 0, v85, vcc
	global_load_dwordx2 v[50:51], v[0:1], off
	s_lshl_b32 s8, s13, 4
	s_add_i32 s8, s8, s6
	s_lshl_b32 s8, s8, 3
	v_mov_b32_e32 v46, s8
	ds_read_b128 v[0:3], v46
	ds_read_b128 v[4:7], v46 offset:16
	ds_read_b128 v[8:11], v46 offset:32
	;; [unrolled: 1-line block ×5, first 2 shown]
	s_waitcnt vmcnt(0) lgkmcnt(5)
	v_fma_f64 v[44:45], -v[50:51], v[0:1], v[44:45]
	v_fma_f64 v[42:43], -v[50:51], v[2:3], v[42:43]
	s_waitcnt lgkmcnt(4)
	v_fma_f64 v[40:41], -v[50:51], v[4:5], v[40:41]
	v_fma_f64 v[38:39], -v[50:51], v[6:7], v[38:39]
	s_waitcnt lgkmcnt(3)
	;; [unrolled: 3-line block ×5, first 2 shown]
	v_fma_f64 v[24:25], -v[50:51], v[46:47], v[24:25]
	v_fma_f64 v[22:23], -v[50:51], v[48:49], v[22:23]
.LBB85_49:
	s_mul_i32 s8, s6, 0x88
	v_mov_b32_e32 v46, s8
	ds_read_b128 v[0:3], v46
	ds_read_b128 v[12:15], v46 offset:16
	ds_read2_b64 v[16:19], v46 offset0:17 offset1:18
	ds_read_b128 v[8:11], v46 offset:32
	ds_read_b128 v[4:7], v46 offset:48
	s_waitcnt lgkmcnt(4)
	v_mul_f64 v[0:1], v[44:45], v[0:1]
	s_lshl_b32 s8, s6, 4
	v_fma_f64 v[2:3], -v[0:1], v[2:3], v[42:43]
	s_add_i32 s8, s6, s8
	s_waitcnt lgkmcnt(2)
	v_mul_f64 v[2:3], v[2:3], v[16:17]
	v_fma_f64 v[12:13], -v[0:1], v[12:13], v[40:41]
	s_lshl_b32 s8, s8, 3
	ds_read_b128 v[42:45], v46 offset:64
	v_fma_f64 v[12:13], -v[2:3], v[18:19], v[12:13]
	ds_read_b128 v[16:19], v46 offset:272
	v_mov_b32_e32 v47, s8
	ds_read2_b64 v[48:51], v47 offset0:19 offset1:20
	ds_read2_b64 v[52:55], v46 offset0:51 offset1:52
	v_fma_f64 v[14:15], -v[0:1], v[14:15], v[38:39]
	ds_read_b128 v[38:41], v47 offset:80
	s_waitcnt lgkmcnt(3)
	v_mul_f64 v[12:13], v[12:13], v[16:17]
	s_waitcnt lgkmcnt(2)
	v_fma_f64 v[14:15], -v[2:3], v[48:49], v[14:15]
	v_fma_f64 v[14:15], -v[12:13], v[18:19], v[14:15]
	ds_read_b128 v[16:19], v47 offset:288
	v_fma_f64 v[8:9], -v[0:1], v[8:9], v[36:37]
	v_fma_f64 v[8:9], -v[2:3], v[50:51], v[8:9]
	ds_read2_b64 v[48:51], v47 offset0:25 offset1:26
	ds_read2_b64 v[56:59], v47 offset0:21 offset1:22
	s_waitcnt lgkmcnt(4)
	v_mul_f64 v[14:15], v[14:15], v[52:53]
	s_waitcnt lgkmcnt(2)
	v_fma_f64 v[8:9], -v[12:13], v[16:17], v[8:9]
	v_fma_f64 v[64:65], -v[14:15], v[54:55], v[8:9]
	v_fma_f64 v[16:17], -v[0:1], v[10:11], v[34:35]
	ds_read2_b64 v[8:11], v47 offset0:23 offset1:24
	ds_read2_b64 v[34:37], v47 offset0:53 offset1:54
	ds_read_b128 v[52:55], v46 offset:544
	s_waitcnt lgkmcnt(3)
	v_fma_f64 v[16:17], -v[2:3], v[56:57], v[16:17]
	v_fma_f64 v[56:57], -v[12:13], v[18:19], v[16:17]
	ds_read2_b64 v[16:19], v46 offset0:85 offset1:86
	ds_read_b128 v[60:63], v47 offset:336
	s_waitcnt lgkmcnt(3)
	v_fma_f64 v[34:35], -v[14:15], v[34:35], v[56:57]
	s_waitcnt lgkmcnt(2)
	v_mul_f64 v[52:53], v[64:65], v[52:53]
	ds_read_b128 v[64:67], v47 offset:304
	v_fma_f64 v[34:35], -v[52:53], v[54:55], v[34:35]
	v_fma_f64 v[4:5], -v[0:1], v[4:5], v[32:33]
	s_waitcnt lgkmcnt(2)
	v_mul_f64 v[54:55], v[34:35], v[16:17]
	v_fma_f64 v[4:5], -v[2:3], v[58:59], v[4:5]
	ds_read_b128 v[32:35], v47 offset:560
	ds_read_b128 v[56:59], v47 offset:320
	s_waitcnt lgkmcnt(2)
	v_fma_f64 v[4:5], -v[12:13], v[64:65], v[4:5]
	v_fma_f64 v[4:5], -v[14:15], v[36:37], v[4:5]
	ds_read_b128 v[68:71], v47 offset:576
	s_waitcnt lgkmcnt(2)
	v_fma_f64 v[4:5], -v[52:53], v[32:33], v[4:5]
	v_fma_f64 v[76:77], -v[54:55], v[18:19], v[4:5]
	ds_read2_b64 v[16:19], v47 offset0:55 offset1:56
	v_fma_f64 v[4:5], -v[0:1], v[6:7], v[30:31]
	v_fma_f64 v[4:5], -v[2:3], v[8:9], v[4:5]
	;; [unrolled: 1-line block ×3, first 2 shown]
	ds_read2_b64 v[4:7], v47 offset0:57 offset1:58
	ds_read2_b64 v[30:33], v47 offset0:87 offset1:88
	;; [unrolled: 1-line block ×3, first 2 shown]
	s_waitcnt lgkmcnt(3)
	v_fma_f64 v[8:9], -v[14:15], v[16:17], v[8:9]
	v_fma_f64 v[8:9], -v[52:53], v[34:35], v[8:9]
	ds_read2_b64 v[34:37], v47 offset0:103 offset1:104
	ds_read_b128 v[72:75], v47 offset:592
	s_waitcnt lgkmcnt(3)
	v_fma_f64 v[8:9], -v[54:55], v[30:31], v[8:9]
	s_waitcnt lgkmcnt(2)
	v_mul_f64 v[64:65], v[76:77], v[64:65]
	v_fma_f64 v[16:17], -v[0:1], v[44:45], v[26:27]
	s_waitcnt lgkmcnt(1)
	v_fma_f64 v[8:9], -v[64:65], v[34:35], v[8:9]
	v_mul_f64 v[66:67], v[8:9], v[66:67]
	v_fma_f64 v[8:9], -v[0:1], v[42:43], v[28:29]
	v_fma_f64 v[8:9], -v[2:3], v[10:11], v[8:9]
	;; [unrolled: 1-line block ×5, first 2 shown]
	ds_read2_b64 v[76:79], v47 offset0:89 offset1:90
	v_fma_f64 v[8:9], -v[54:55], v[32:33], v[8:9]
	global_store_dwordx4 v[20:21], v[0:3], off
	global_store_dwordx4 v[20:21], v[12:15], off offset:16
	global_store_dwordx4 v[20:21], v[52:55], off offset:32
	;; [unrolled: 1-line block ×3, first 2 shown]
	v_fma_f64 v[16:17], -v[2:3], v[48:49], v[16:17]
	v_fma_f64 v[28:29], -v[64:65], v[36:37], v[8:9]
	ds_read_b128 v[8:11], v47 offset:960
	ds_read_b64 v[26:27], v46 offset:1088
	v_fma_f64 v[30:31], -v[12:13], v[58:59], v[16:17]
	ds_read2_b64 v[16:19], v47 offset0:105 offset1:106
	v_fma_f64 v[4:5], -v[14:15], v[4:5], v[30:31]
	v_fma_f64 v[4:5], -v[52:53], v[70:71], v[4:5]
	s_or_b32 s8, s6, 9
	s_waitcnt lgkmcnt(3)
	v_fma_f64 v[4:5], -v[54:55], v[76:77], v[4:5]
	s_waitcnt lgkmcnt(2)
	v_fma_f64 v[8:9], -v[66:67], v[8:9], v[28:29]
	;; [unrolled: 2-line block ×3, first 2 shown]
	s_mul_i32 s9, s8, 0x88
	v_mul_f64 v[8:9], v[8:9], v[26:27]
	v_fma_f64 v[4:5], -v[66:67], v[10:11], v[4:5]
	v_mov_b32_e32 v10, s9
	ds_read2_b64 v[26:29], v47 offset0:137 offset1:138
	ds_read2_b64 v[30:33], v10 offset1:1
	v_fma_f64 v[10:11], -v[0:1], v[38:39], v[24:25]
	v_fma_f64 v[16:17], -v[2:3], v[50:51], v[10:11]
	ds_read_b128 v[34:37], v47 offset:976
	s_waitcnt lgkmcnt(2)
	v_fma_f64 v[4:5], -v[8:9], v[26:27], v[4:5]
	s_waitcnt lgkmcnt(1)
	v_mul_f64 v[10:11], v[4:5], v[30:31]
	v_fma_f64 v[4:5], -v[12:13], v[60:61], v[16:17]
	v_fma_f64 v[4:5], -v[14:15], v[6:7], v[4:5]
	;; [unrolled: 1-line block ×5, first 2 shown]
	s_or_b32 s9, s6, 10
	s_waitcnt lgkmcnt(0)
	v_fma_f64 v[4:5], -v[66:67], v[34:35], v[4:5]
	v_fma_f64 v[16:17], -v[8:9], v[28:29], v[4:5]
	s_mulk_i32 s9, 0x88
	v_mov_b32_e32 v4, s9
	v_fma_f64 v[24:25], -v[10:11], v[32:33], v[16:17]
	ds_read2_b64 v[16:19], v47 offset0:27 offset1:59
	ds_read_b128 v[4:7], v4
	v_fma_f64 v[0:1], -v[0:1], v[40:41], v[22:23]
	s_mulk_i32 s7, 0x88
	s_lshl_b32 s8, s8, 4
	s_waitcnt lgkmcnt(1)
	v_fma_f64 v[0:1], -v[2:3], v[16:17], v[0:1]
	v_mov_b32_e32 v2, s7
	ds_read_b64 v[2:3], v2
	s_waitcnt lgkmcnt(1)
	v_mul_f64 v[4:5], v[24:25], v[4:5]
	ds_read2_b64 v[22:25], v47 offset0:91 offset1:107
	s_add_i32 s8, s6, s8
	s_lshl_b32 s8, s8, 3
	v_fma_f64 v[0:1], -v[12:13], v[62:63], v[0:1]
	ds_read_b64 v[26:27], v47 offset:1112
	v_mov_b32_e32 v28, s8
	ds_read_b64 v[28:29], v28 offset:88
	v_fma_f64 v[0:1], -v[14:15], v[18:19], v[0:1]
	v_fma_f64 v[0:1], -v[52:53], v[74:75], v[0:1]
	s_waitcnt lgkmcnt(2)
	v_fma_f64 v[0:1], -v[54:55], v[22:23], v[0:1]
	v_fma_f64 v[0:1], -v[64:65], v[24:25], v[0:1]
	;; [unrolled: 1-line block ×3, first 2 shown]
	s_waitcnt lgkmcnt(1)
	v_fma_f64 v[0:1], -v[8:9], v[26:27], v[0:1]
	s_waitcnt lgkmcnt(0)
	v_fma_f64 v[0:1], -v[10:11], v[28:29], v[0:1]
	v_fma_f64 v[0:1], -v[4:5], v[6:7], v[0:1]
	v_mul_f64 v[6:7], v[0:1], v[2:3]
	s_or_b32 s6, s6, 12
	global_store_dwordx4 v[20:21], v[8:11], off offset:64
	global_store_dwordx4 v[20:21], v[4:7], off offset:80
.LBB85_50:
	s_cmp_ge_i32 s6, s16
	s_cbranch_scc1 .LBB85_61
; %bb.51:
	s_add_i32 s8, s6, -1
	s_lshl_b32 s9, s6, 3
	s_add_u32 s4, s10, s4
	s_addc_u32 s5, s11, s5
	s_add_u32 s2, s4, s2
	s_addc_u32 s3, s5, s3
	v_mov_b32_e32 v0, s3
	v_add_co_u32_e32 v8, vcc, s2, v86
	v_addc_co_u32_e32 v9, vcc, v0, v87, vcc
	v_add_co_u32_e32 v0, vcc, 56, v8
	v_addc_co_u32_e32 v1, vcc, 0, v9, vcc
	s_mov_b32 s3, 0
	s_mov_b32 s5, s6
	s_mov_b32 s4, 0
	s_branch .LBB85_53
.LBB85_52:                              ;   in Loop: Header=BB85_53 Depth=1
	s_mul_i32 s2, s6, 0x88
	v_mov_b32_e32 v6, s2
	ds_read_b64 v[6:7], v6
	s_add_i32 s6, s6, 1
	s_add_i32 s4, s4, 1
	;; [unrolled: 1-line block ×3, first 2 shown]
	v_add_u16_e64 v10, s5, 1
	s_waitcnt lgkmcnt(0)
	v_mul_f64 v[4:5], v[4:5], v[6:7]
	s_cmp_ge_i32 s6, s16
	v_readfirstlane_b32 s5, v10
	global_store_dwordx2 v[2:3], v[4:5], off
	s_cbranch_scc1 .LBB85_61
.LBB85_53:                              ; =>This Loop Header: Depth=1
                                        ;     Child Loop BB85_56 Depth 2
                                        ;     Child Loop BB85_60 Depth 2
	s_ashr_i32 s7, s6, 31
	s_lshl_b64 s[10:11], s[6:7], 3
	v_mov_b32_e32 v3, s11
	v_add_co_u32_e32 v2, vcc, s10, v84
	v_addc_co_u32_e32 v3, vcc, v85, v3, vcc
	global_load_dwordx2 v[4:5], v[2:3], off
	s_cmp_eq_u32 s6, 0
	s_waitcnt vmcnt(0)
	v_mul_f64 v[4:5], v[4:5], s[0:1]
	s_cbranch_scc1 .LBB85_52
; %bb.54:                               ;   in Loop: Header=BB85_53 Depth=1
	s_add_i32 s2, s8, s4
	s_cmp_lt_u32 s2, 7
	s_cbranch_scc1 .LBB85_58
; %bb.55:                               ;   in Loop: Header=BB85_53 Depth=1
	s_and_b32 s2, s6, -8
	s_mov_b32 s7, 0
	v_pk_mov_b32 v[6:7], v[0:1], v[0:1] op_sel:[0,1]
	s_mov_b32 s10, s9
.LBB85_56:                              ;   Parent Loop BB85_53 Depth=1
                                        ; =>  This Inner Loop Header: Depth=2
	global_load_dwordx4 v[10:13], v[6:7], off offset:-56
	global_load_dwordx4 v[14:17], v[6:7], off offset:-40
	;; [unrolled: 1-line block ×4, first 2 shown]
	v_mov_b32_e32 v38, s10
	ds_read2_b64 v[26:29], v38 offset1:16
	ds_read2_b64 v[30:33], v38 offset0:32 offset1:48
	ds_read2_b64 v[34:37], v38 offset0:64 offset1:80
	;; [unrolled: 1-line block ×3, first 2 shown]
	s_add_i32 s7, s7, 8
	s_addk_i32 s10, 0x400
	v_add_co_u32_e32 v6, vcc, 64, v6
	v_addc_co_u32_e32 v7, vcc, 0, v7, vcc
	s_cmp_lg_u32 s2, s7
	s_waitcnt vmcnt(3) lgkmcnt(3)
	v_fma_f64 v[4:5], -v[10:11], v[26:27], v[4:5]
	v_fma_f64 v[4:5], -v[12:13], v[28:29], v[4:5]
	s_waitcnt vmcnt(2) lgkmcnt(2)
	v_fma_f64 v[4:5], -v[14:15], v[30:31], v[4:5]
	v_fma_f64 v[4:5], -v[16:17], v[32:33], v[4:5]
	;; [unrolled: 3-line block ×4, first 2 shown]
	s_cbranch_scc1 .LBB85_56
; %bb.57:                               ;   in Loop: Header=BB85_53 Depth=1
	s_and_b32 s7, s6, 7
	s_cmp_eq_u32 s7, 0
	s_cbranch_scc0 .LBB85_59
	s_branch .LBB85_52
.LBB85_58:                              ;   in Loop: Header=BB85_53 Depth=1
	s_mov_b32 s2, 0
	s_and_b32 s7, s6, 7
	s_cmp_eq_u32 s7, 0
	s_cbranch_scc1 .LBB85_52
.LBB85_59:                              ;   in Loop: Header=BB85_53 Depth=1
	s_lshl_b64 s[12:13], s[2:3], 3
	v_mov_b32_e32 v7, s13
	v_add_co_u32_e32 v6, vcc, s12, v8
	s_and_b32 s7, s5, 7
	s_lshl_b32 s10, s2, 7
	v_addc_co_u32_e32 v7, vcc, v9, v7, vcc
.LBB85_60:                              ;   Parent Loop BB85_53 Depth=1
                                        ; =>  This Inner Loop Header: Depth=2
	global_load_dwordx2 v[10:11], v[6:7], off
	s_add_i32 s2, s9, s10
	v_mov_b32_e32 v12, s2
	ds_read_b64 v[12:13], v12
	s_addk_i32 s10, 0x80
	v_add_co_u32_e32 v6, vcc, 8, v6
	s_add_i32 s7, s7, -1
	v_addc_co_u32_e32 v7, vcc, 0, v7, vcc
	s_cmp_lg_u32 s7, 0
	s_waitcnt vmcnt(0) lgkmcnt(0)
	v_fma_f64 v[4:5], -v[10:11], v[12:13], v[4:5]
	s_cbranch_scc1 .LBB85_60
	s_branch .LBB85_52
.LBB85_61:
	s_endpgm
	.section	.rodata,"a",@progbits
	.p2align	6, 0x0
	.amdhsa_kernel _ZL30rocblas_trsm_small_left_deviceILi16ELi16ELb1EddPKdPdEv13rocblas_fill_18rocblas_operation_17rocblas_diagonal_iiT3_T4_lilT5_lili
		.amdhsa_group_segment_fixed_size 2048
		.amdhsa_private_segment_fixed_size 0
		.amdhsa_kernarg_size 360
		.amdhsa_user_sgpr_count 6
		.amdhsa_user_sgpr_private_segment_buffer 1
		.amdhsa_user_sgpr_dispatch_ptr 0
		.amdhsa_user_sgpr_queue_ptr 0
		.amdhsa_user_sgpr_kernarg_segment_ptr 1
		.amdhsa_user_sgpr_dispatch_id 0
		.amdhsa_user_sgpr_flat_scratch_init 0
		.amdhsa_user_sgpr_kernarg_preload_length 0
		.amdhsa_user_sgpr_kernarg_preload_offset 0
		.amdhsa_user_sgpr_private_segment_size 0
		.amdhsa_uses_dynamic_stack 0
		.amdhsa_system_sgpr_private_segment_wavefront_offset 0
		.amdhsa_system_sgpr_workgroup_id_x 1
		.amdhsa_system_sgpr_workgroup_id_y 0
		.amdhsa_system_sgpr_workgroup_id_z 1
		.amdhsa_system_sgpr_workgroup_info 0
		.amdhsa_system_vgpr_workitem_id 0
		.amdhsa_next_free_vgpr 116
		.amdhsa_next_free_sgpr 37
		.amdhsa_accum_offset 116
		.amdhsa_reserve_vcc 1
		.amdhsa_reserve_flat_scratch 0
		.amdhsa_float_round_mode_32 0
		.amdhsa_float_round_mode_16_64 0
		.amdhsa_float_denorm_mode_32 3
		.amdhsa_float_denorm_mode_16_64 3
		.amdhsa_dx10_clamp 1
		.amdhsa_ieee_mode 1
		.amdhsa_fp16_overflow 0
		.amdhsa_tg_split 0
		.amdhsa_exception_fp_ieee_invalid_op 0
		.amdhsa_exception_fp_denorm_src 0
		.amdhsa_exception_fp_ieee_div_zero 0
		.amdhsa_exception_fp_ieee_overflow 0
		.amdhsa_exception_fp_ieee_underflow 0
		.amdhsa_exception_fp_ieee_inexact 0
		.amdhsa_exception_int_div_zero 0
	.end_amdhsa_kernel
	.section	.text._ZL30rocblas_trsm_small_left_deviceILi16ELi16ELb1EddPKdPdEv13rocblas_fill_18rocblas_operation_17rocblas_diagonal_iiT3_T4_lilT5_lili,"axG",@progbits,_ZL30rocblas_trsm_small_left_deviceILi16ELi16ELb1EddPKdPdEv13rocblas_fill_18rocblas_operation_17rocblas_diagonal_iiT3_T4_lilT5_lili,comdat
.Lfunc_end85:
	.size	_ZL30rocblas_trsm_small_left_deviceILi16ELi16ELb1EddPKdPdEv13rocblas_fill_18rocblas_operation_17rocblas_diagonal_iiT3_T4_lilT5_lili, .Lfunc_end85-_ZL30rocblas_trsm_small_left_deviceILi16ELi16ELb1EddPKdPdEv13rocblas_fill_18rocblas_operation_17rocblas_diagonal_iiT3_T4_lilT5_lili
                                        ; -- End function
	.section	.AMDGPU.csdata,"",@progbits
; Kernel info:
; codeLenInByte = 11944
; NumSgprs: 41
; NumVgprs: 116
; NumAgprs: 0
; TotalNumVgprs: 116
; ScratchSize: 0
; MemoryBound: 1
; FloatMode: 240
; IeeeMode: 1
; LDSByteSize: 2048 bytes/workgroup (compile time only)
; SGPRBlocks: 5
; VGPRBlocks: 14
; NumSGPRsForWavesPerEU: 41
; NumVGPRsForWavesPerEU: 116
; AccumOffset: 116
; Occupancy: 4
; WaveLimiterHint : 0
; COMPUTE_PGM_RSRC2:SCRATCH_EN: 0
; COMPUTE_PGM_RSRC2:USER_SGPR: 6
; COMPUTE_PGM_RSRC2:TRAP_HANDLER: 0
; COMPUTE_PGM_RSRC2:TGID_X_EN: 1
; COMPUTE_PGM_RSRC2:TGID_Y_EN: 0
; COMPUTE_PGM_RSRC2:TGID_Z_EN: 1
; COMPUTE_PGM_RSRC2:TIDIG_COMP_CNT: 0
; COMPUTE_PGM_RSRC3_GFX90A:ACCUM_OFFSET: 28
; COMPUTE_PGM_RSRC3_GFX90A:TG_SPLIT: 0
	.section	.text._ZL31rocblas_trsm_small_right_deviceIddPKdPdLi16EEv13rocblas_fill_18rocblas_operation_17rocblas_diagonal_iiT0_T1_lilT2_lili,"axG",@progbits,_ZL31rocblas_trsm_small_right_deviceIddPKdPdLi16EEv13rocblas_fill_18rocblas_operation_17rocblas_diagonal_iiT0_T1_lilT2_lili,comdat
	.globl	_ZL31rocblas_trsm_small_right_deviceIddPKdPdLi16EEv13rocblas_fill_18rocblas_operation_17rocblas_diagonal_iiT0_T1_lilT2_lili ; -- Begin function _ZL31rocblas_trsm_small_right_deviceIddPKdPdLi16EEv13rocblas_fill_18rocblas_operation_17rocblas_diagonal_iiT0_T1_lilT2_lili
	.p2align	8
	.type	_ZL31rocblas_trsm_small_right_deviceIddPKdPdLi16EEv13rocblas_fill_18rocblas_operation_17rocblas_diagonal_iiT0_T1_lilT2_lili,@function
_ZL31rocblas_trsm_small_right_deviceIddPKdPdLi16EEv13rocblas_fill_18rocblas_operation_17rocblas_diagonal_iiT0_T1_lilT2_lili: ; @_ZL31rocblas_trsm_small_right_deviceIddPKdPdLi16EEv13rocblas_fill_18rocblas_operation_17rocblas_diagonal_iiT0_T1_lilT2_lili
; %bb.0:
	s_load_dwordx4 s[8:11], s[4:5], 0x0
	s_load_dword s30, s[4:5], 0x10
	s_load_dwordx4 s[12:15], s[4:5], 0x18
	s_load_dwordx2 s[20:21], s[4:5], 0x28
	s_load_dwordx4 s[0:3], s[4:5], 0x38
	s_load_dwordx2 s[16:17], s[4:5], 0x48
	s_waitcnt lgkmcnt(0)
	s_min_i32 s31, s30, 16
	s_mov_b32 s34, 0
	s_add_i32 s33, s31, -1
	v_cmp_gt_i32_e32 vcc, s31, v0
	s_and_saveexec_b64 s[18:19], vcc
	s_cbranch_execz .LBB86_9
; %bb.1:
	s_load_dword s22, s[4:5], 0x30
	s_mul_i32 s1, s7, s1
	s_mul_hi_u32 s24, s7, s0
	s_add_i32 s1, s24, s1
	s_mul_i32 s0, s7, s0
	s_waitcnt lgkmcnt(0)
	s_ashr_i32 s23, s22, 31
	s_cmp_lt_u32 s33, 3
	s_cbranch_scc1 .LBB86_4
; %bb.2:
	s_lshl_b64 s[24:25], s[0:1], 3
	s_add_u32 s26, s14, s24
	s_addc_u32 s27, s15, s25
	s_lshl_b64 s[24:25], s[20:21], 3
	s_add_u32 s24, s26, s24
	s_addc_u32 s25, s27, s25
	v_lshlrev_b32_e32 v1, 3, v0
	v_mov_b32_e32 v3, s25
	v_add_co_u32_e32 v2, vcc, s24, v1
	s_mul_hi_i32 s37, s22, 24
	s_lshl_b64 s[24:25], s[22:23], 5
	s_lshl_b64 s[26:27], s[22:23], 4
	;; [unrolled: 1-line block ×3, first 2 shown]
	v_addc_co_u32_e32 v3, vcc, 0, v3, vcc
	s_and_b32 s34, s31, -4
	s_mul_i32 s35, s22, 24
	s_mov_b32 s36, 0
	v_mov_b32_e32 v4, s29
	v_mov_b32_e32 v5, s27
	;; [unrolled: 1-line block ×4, first 2 shown]
.LBB86_3:                               ; =>This Inner Loop Header: Depth=1
	v_add_co_u32_e32 v10, vcc, s28, v2
	v_addc_co_u32_e32 v11, vcc, v3, v4, vcc
	v_add_co_u32_e32 v12, vcc, s26, v2
	v_addc_co_u32_e32 v13, vcc, v3, v5, vcc
	v_add_co_u32_e32 v14, vcc, s35, v2
	global_load_dwordx2 v[8:9], v[2:3], off
	v_addc_co_u32_e32 v15, vcc, v3, v6, vcc
	global_load_dwordx2 v[16:17], v[10:11], off
	global_load_dwordx2 v[18:19], v[12:13], off
	;; [unrolled: 1-line block ×3, first 2 shown]
	s_add_i32 s36, s36, 4
	v_add_co_u32_e32 v2, vcc, s24, v2
	v_addc_co_u32_e32 v3, vcc, v3, v7, vcc
	s_cmp_eq_u32 s34, s36
	s_waitcnt vmcnt(2)
	ds_write2_b64 v1, v[8:9], v[16:17] offset1:16
	s_waitcnt vmcnt(0)
	ds_write2_b64 v1, v[18:19], v[20:21] offset0:32 offset1:48
	v_add_u32_e32 v1, 0x200, v1
	s_cbranch_scc0 .LBB86_3
.LBB86_4:
	s_and_b32 s24, s31, 3
	s_cmp_eq_u32 s24, 0
	s_cbranch_scc1 .LBB86_7
; %bb.5:
	s_mul_i32 s25, s23, s34
	s_mul_hi_u32 s26, s22, s34
	s_add_i32 s27, s26, s25
	s_mul_i32 s26, s22, s34
	s_lshl_b64 s[0:1], s[0:1], 3
	s_lshl_b64 s[26:27], s[26:27], 3
	s_add_u32 s25, s0, s26
	s_addc_u32 s26, s1, s27
	s_lshl_b64 s[0:1], s[20:21], 3
	s_add_u32 s0, s25, s0
	s_addc_u32 s1, s26, s1
	s_add_u32 s0, s14, s0
	v_lshlrev_b32_e32 v2, 3, v0
	s_addc_u32 s1, s15, s1
	v_lshl_or_b32 v1, s34, 7, v2
	v_mov_b32_e32 v3, s1
	v_add_co_u32_e32 v2, vcc, s0, v2
	s_lshl_b64 s[0:1], s[22:23], 3
	v_addc_co_u32_e32 v3, vcc, 0, v3, vcc
	v_mov_b32_e32 v4, s1
.LBB86_6:                               ; =>This Inner Loop Header: Depth=1
	global_load_dwordx2 v[6:7], v[2:3], off
	v_add_co_u32_e32 v2, vcc, s0, v2
	s_add_i32 s24, s24, -1
	v_addc_co_u32_e32 v3, vcc, v3, v4, vcc
	s_cmp_lg_u32 s24, 0
	s_waitcnt vmcnt(0)
	ds_write_b64 v1, v[6:7]
	v_add_u32_e32 v1, 0x80, v1
	s_cbranch_scc1 .LBB86_6
.LBB86_7:
	s_cmpk_eq_i32 s10, 0x84
	s_cbranch_scc0 .LBB86_9
; %bb.8:
	v_mul_u32_u24_e32 v1, 17, v0
	v_lshlrev_b32_e32 v1, 3, v1
	v_mov_b32_e32 v2, 0
	v_mov_b32_e32 v3, 0x3ff00000
	ds_write_b64 v1, v[2:3]
.LBB86_9:
	s_or_b64 exec, exec, s[18:19]
	s_load_dword s1, s[4:5], 0x68
	s_load_dwordx2 s[14:15], s[4:5], 0x58
	s_load_dword s0, s[4:5], 0x50
	s_mov_b32 s26, 0
	s_waitcnt lgkmcnt(0)
	s_mul_i32 s5, s7, s15
	s_mul_hi_u32 s10, s7, s14
	s_mul_i32 s4, s7, s14
	s_add_i32 s5, s10, s5
	s_lshl_b64 s[14:15], s[4:5], 3
	s_add_u32 s7, s2, s14
	s_addc_u32 s10, s3, s15
	s_lshl_b64 s[4:5], s[16:17], 3
	s_add_u32 s16, s7, s4
	s_addc_u32 s10, s10, s5
	s_lshl_b32 s7, s6, 4
	s_add_i32 s1, s1, -1
	s_sub_i32 s7, s11, s7
	s_cmp_ge_u32 s6, s1
	s_cselect_b32 s1, s7, 16
	s_ashr_i32 s7, s6, 31
	s_lshl_b64 s[6:7], s[6:7], 7
	s_add_u32 s24, s16, s6
	s_addc_u32 s25, s10, s7
	s_cmp_gt_i32 s30, 0
	v_cmp_gt_i32_e32 vcc, s1, v0
	s_cselect_b64 s[10:11], -1, 0
	s_and_b64 s[10:11], vcc, s[10:11]
	s_and_saveexec_b64 s[16:17], s[10:11]
	s_cbranch_execz .LBB86_16
; %bb.10:
	s_ashr_i32 s1, s0, 31
	s_cmp_lt_u32 s30, 4
	s_cbranch_scc1 .LBB86_13
; %bb.11:
	v_lshlrev_b32_e32 v1, 3, v0
	v_mov_b32_e32 v3, s25
	v_add_co_u32_e32 v2, vcc, s24, v1
	s_mul_hi_i32 s29, s0, 24
	s_lshl_b64 s[18:19], s[0:1], 5
	v_mov_b32_e32 v1, 0x800
	s_lshl_b64 s[20:21], s[0:1], 4
	s_lshl_b64 s[22:23], s[0:1], 3
	v_addc_co_u32_e32 v3, vcc, 0, v3, vcc
	s_and_b32 s26, s30, 0x7ffffffc
	s_mul_i32 s27, s0, 24
	v_lshl_or_b32 v1, v0, 3, v1
	s_mov_b32 s28, 0
	v_mov_b32_e32 v4, s23
	v_mov_b32_e32 v5, s21
	;; [unrolled: 1-line block ×4, first 2 shown]
.LBB86_12:                              ; =>This Inner Loop Header: Depth=1
	v_add_co_u32_e32 v10, vcc, s22, v2
	v_addc_co_u32_e32 v11, vcc, v3, v4, vcc
	v_add_co_u32_e32 v12, vcc, s20, v2
	v_addc_co_u32_e32 v13, vcc, v3, v5, vcc
	global_load_dwordx2 v[8:9], v[2:3], off
	v_add_co_u32_e32 v14, vcc, s27, v2
	v_addc_co_u32_e32 v15, vcc, v3, v6, vcc
	global_load_dwordx2 v[16:17], v[10:11], off
	global_load_dwordx2 v[18:19], v[12:13], off
	;; [unrolled: 1-line block ×3, first 2 shown]
	s_add_i32 s28, s28, 4
	v_add_co_u32_e32 v2, vcc, s18, v2
	v_addc_co_u32_e32 v3, vcc, v3, v7, vcc
	s_cmp_lg_u32 s26, s28
	s_waitcnt vmcnt(3)
	v_mul_f64 v[8:9], v[8:9], s[12:13]
	s_waitcnt vmcnt(2)
	v_mul_f64 v[10:11], v[16:17], s[12:13]
	;; [unrolled: 2-line block ×4, first 2 shown]
	ds_write2_b64 v1, v[8:9], v[10:11] offset1:16
	ds_write2_b64 v1, v[12:13], v[14:15] offset0:32 offset1:48
	v_add_u32_e32 v1, 0x200, v1
	s_cbranch_scc1 .LBB86_12
.LBB86_13:
	s_and_b32 s20, s30, 3
	s_cmp_eq_u32 s20, 0
	s_cbranch_scc1 .LBB86_16
; %bb.14:
	s_mul_hi_i32 s19, s0, s26
	s_mul_i32 s18, s0, s26
	s_lshl_b64 s[18:19], s[18:19], 3
	s_add_u32 s18, s14, s18
	s_addc_u32 s19, s15, s19
	s_add_u32 s18, s18, s6
	s_addc_u32 s19, s19, s7
	;; [unrolled: 2-line block ×3, first 2 shown]
	s_add_u32 s18, s2, s18
	v_lshlrev_b32_e32 v2, 3, v0
	s_addc_u32 s19, s3, s19
	v_lshl_or_b32 v1, s26, 7, v2
	v_mov_b32_e32 v3, s19
	v_add_co_u32_e32 v2, vcc, s18, v2
	s_lshl_b64 s[18:19], s[0:1], 3
	v_add_u32_e32 v1, 0x800, v1
	v_addc_co_u32_e32 v3, vcc, 0, v3, vcc
	v_mov_b32_e32 v4, s19
.LBB86_15:                              ; =>This Inner Loop Header: Depth=1
	global_load_dwordx2 v[6:7], v[2:3], off
	v_add_co_u32_e32 v2, vcc, s18, v2
	s_add_i32 s20, s20, -1
	v_addc_co_u32_e32 v3, vcc, v3, v4, vcc
	s_cmp_lg_u32 s20, 0
	s_waitcnt vmcnt(0)
	v_mul_f64 v[6:7], v[6:7], s[12:13]
	ds_write_b64 v1, v[6:7]
	v_add_u32_e32 v1, 0x80, v1
	s_cbranch_scc1 .LBB86_15
.LBB86_16:
	s_or_b64 exec, exec, s[16:17]
	s_cmpk_eq_i32 s9, 0x6f
	s_cselect_b64 s[16:17], -1, 0
	s_cmpk_eq_i32 s8, 0x79
	s_cselect_b64 s[18:19], -1, 0
	s_cmpk_lg_i32 s8, 0x79
	s_cselect_b64 s[12:13], -1, 0
	s_and_b64 s[18:19], s[18:19], s[16:17]
	s_andn2_b64 vcc, exec, s[18:19]
	s_mov_b64 s[18:19], -1
	s_waitcnt lgkmcnt(0)
	; wave barrier
	s_waitcnt lgkmcnt(0)
	s_cbranch_vccz .LBB86_80
; %bb.17:
	s_cmpk_lg_i32 s8, 0x7a
	s_cselect_b64 s[8:9], -1, 0
	s_xor_b64 s[16:17], s[16:17], -1
	s_or_b64 s[16:17], s[8:9], s[16:17]
	s_cmp_gt_i32 s30, 3
	s_cselect_b64 s[8:9], -1, 0
	s_and_b64 vcc, exec, s[16:17]
	s_cbranch_vccz .LBB86_59
; %bb.18:
	s_andn2_b64 vcc, exec, s[12:13]
	s_mov_b64 s[12:13], -1
	s_cbranch_vccnz .LBB86_38
; %bb.19:
	s_andn2_b64 vcc, exec, s[8:9]
	s_mov_b32 s13, 0
	s_cbranch_vccnz .LBB86_26
; %bb.20:
	v_mov_b32_e32 v1, 0x800
	v_lshl_or_b32 v1, v0, 3, v1
	s_mov_b32 s1, 0
	s_mov_b32 s12, 0
.LBB86_21:                              ; =>This Loop Header: Depth=1
                                        ;     Child Loop BB86_23 Depth 2
	s_lshl_b32 s13, s12, 4
	s_lshl_b32 s16, s12, 7
	v_or_b32_e32 v2, s13, v0
	s_or_b32 s13, s13, 16
	v_lshlrev_b32_e32 v10, 3, v2
	v_or_b32_e32 v2, s13, v0
	v_lshl_or_b32 v12, v0, 3, s16
	v_lshlrev_b32_e32 v11, 3, v2
	v_add_u32_e32 v2, 0x800, v12
	ds_read_b64 v[8:9], v10 offset:2048
	ds_read_b64 v[6:7], v11 offset:2048
	ds_read2_b64 v[2:5], v2 offset0:32 offset1:48
	s_cmp_eq_u32 s12, 0
	s_cbranch_scc1 .LBB86_24
; %bb.22:                               ;   in Loop: Header=BB86_21 Depth=1
	s_mov_b32 s16, 0
	v_mov_b32_e32 v13, v1
	s_mov_b32 s17, s1
.LBB86_23:                              ;   Parent Loop BB86_21 Depth=1
                                        ; =>  This Inner Loop Header: Depth=2
	ds_read2_b64 v[14:17], v13 offset1:16
	v_mov_b32_e32 v50, s17
	ds_read2_b64 v[18:21], v13 offset0:32 offset1:48
	ds_read_b128 v[22:25], v50
	ds_read_b128 v[26:29], v50 offset:16
	ds_read_b128 v[30:33], v50 offset:128
	;; [unrolled: 1-line block ×7, first 2 shown]
	s_add_i32 s16, s16, 4
	s_waitcnt lgkmcnt(7)
	v_fma_f64 v[8:9], -v[14:15], v[22:23], v[8:9]
	v_fma_f64 v[6:7], -v[14:15], v[24:25], v[6:7]
	s_waitcnt lgkmcnt(6)
	v_fma_f64 v[2:3], -v[14:15], v[26:27], v[2:3]
	v_fma_f64 v[4:5], -v[14:15], v[28:29], v[4:5]
	s_waitcnt lgkmcnt(5)
	v_fma_f64 v[8:9], -v[16:17], v[30:31], v[8:9]
	v_fma_f64 v[6:7], -v[16:17], v[32:33], v[6:7]
	s_waitcnt lgkmcnt(4)
	v_fma_f64 v[2:3], -v[16:17], v[34:35], v[2:3]
	v_fma_f64 v[4:5], -v[16:17], v[36:37], v[4:5]
	s_addk_i32 s17, 0x200
	s_waitcnt lgkmcnt(3)
	v_fma_f64 v[8:9], -v[18:19], v[38:39], v[8:9]
	v_fma_f64 v[6:7], -v[18:19], v[40:41], v[6:7]
	s_waitcnt lgkmcnt(2)
	v_fma_f64 v[2:3], -v[18:19], v[42:43], v[2:3]
	v_fma_f64 v[4:5], -v[18:19], v[44:45], v[4:5]
	v_add_u32_e32 v13, 0x200, v13
	s_cmp_ge_u32 s16, s12
	s_waitcnt lgkmcnt(1)
	v_fma_f64 v[8:9], -v[20:21], v[46:47], v[8:9]
	v_fma_f64 v[6:7], -v[20:21], v[48:49], v[6:7]
	s_waitcnt lgkmcnt(0)
	v_fma_f64 v[2:3], -v[20:21], v[50:51], v[2:3]
	v_fma_f64 v[4:5], -v[20:21], v[52:53], v[4:5]
	s_cbranch_scc0 .LBB86_23
.LBB86_24:                              ;   in Loop: Header=BB86_21 Depth=1
	s_mul_i32 s16, s12, 0x88
	v_add_u32_e32 v13, 0x800, v10
	v_add_u32_e32 v14, 0x900, v12
	;; [unrolled: 1-line block ×3, first 2 shown]
	v_mov_b32_e32 v12, s16
	ds_read_b128 v[16:19], v12
	ds_read_b128 v[20:23], v12 offset:16
	ds_read2_b64 v[24:27], v12 offset0:17 offset1:18
	ds_read_b128 v[28:31], v12 offset:272
	s_add_i32 s13, s13, s12
	s_lshl_b32 s13, s13, 3
	s_waitcnt lgkmcnt(3)
	v_div_scale_f64 v[32:33], s[16:17], v[16:17], v[16:17], v[8:9]
	v_rcp_f64_e32 v[34:35], v[32:33]
	v_div_scale_f64 v[36:37], vcc, v[8:9], v[16:17], v[8:9]
	v_mov_b32_e32 v15, s13
	v_fma_f64 v[38:39], -v[32:33], v[34:35], 1.0
	v_fmac_f64_e32 v[34:35], v[34:35], v[38:39]
	v_fma_f64 v[38:39], -v[32:33], v[34:35], 1.0
	v_fmac_f64_e32 v[34:35], v[34:35], v[38:39]
	v_mul_f64 v[38:39], v[36:37], v[34:35]
	v_fma_f64 v[32:33], -v[32:33], v[38:39], v[36:37]
	v_div_fmas_f64 v[32:33], v[32:33], v[34:35], v[38:39]
	v_div_fixup_f64 v[8:9], v[32:33], v[16:17], v[8:9]
	v_fma_f64 v[6:7], -v[8:9], v[18:19], v[6:7]
	s_waitcnt lgkmcnt(1)
	v_div_scale_f64 v[16:17], s[16:17], v[24:25], v[24:25], v[6:7]
	v_rcp_f64_e32 v[18:19], v[16:17]
	v_div_scale_f64 v[32:33], vcc, v[6:7], v[24:25], v[6:7]
	v_fma_f64 v[2:3], -v[8:9], v[20:21], v[2:3]
	v_fma_f64 v[34:35], -v[16:17], v[18:19], 1.0
	v_fmac_f64_e32 v[18:19], v[18:19], v[34:35]
	v_fma_f64 v[34:35], -v[16:17], v[18:19], 1.0
	v_fmac_f64_e32 v[18:19], v[18:19], v[34:35]
	v_mul_f64 v[34:35], v[32:33], v[18:19]
	v_fma_f64 v[16:17], -v[16:17], v[34:35], v[32:33]
	v_div_fmas_f64 v[16:17], v[16:17], v[18:19], v[34:35]
	v_div_fixup_f64 v[6:7], v[16:17], v[24:25], v[6:7]
	v_fma_f64 v[2:3], -v[6:7], v[26:27], v[2:3]
	s_waitcnt lgkmcnt(0)
	v_div_scale_f64 v[16:17], s[16:17], v[28:29], v[28:29], v[2:3]
	v_rcp_f64_e32 v[18:19], v[16:17]
	v_fma_f64 v[4:5], -v[8:9], v[22:23], v[4:5]
	v_add_u32_e32 v11, 0x800, v11
	s_add_i32 s13, s12, 4
	v_fma_f64 v[20:21], -v[16:17], v[18:19], 1.0
	v_fmac_f64_e32 v[18:19], v[18:19], v[20:21]
	v_fma_f64 v[20:21], -v[16:17], v[18:19], 1.0
	v_fmac_f64_e32 v[18:19], v[18:19], v[20:21]
	v_div_scale_f64 v[20:21], vcc, v[2:3], v[28:29], v[2:3]
	v_mul_f64 v[24:25], v[20:21], v[18:19]
	v_fma_f64 v[16:17], -v[16:17], v[24:25], v[20:21]
	ds_read_b64 v[20:21], v15 offset:24
	s_nop 0
	v_div_fmas_f64 v[16:17], v[16:17], v[18:19], v[24:25]
	v_div_fixup_f64 v[2:3], v[16:17], v[28:29], v[2:3]
	ds_read_b64 v[16:17], v12 offset:408
	ds_write_b64 v13, v[8:9]
	ds_write_b64 v11, v[6:7]
	ds_write_b64 v14, v[2:3]
	s_waitcnt lgkmcnt(4)
	v_fma_f64 v[4:5], -v[6:7], v[20:21], v[4:5]
	v_fma_f64 v[4:5], -v[2:3], v[30:31], v[4:5]
	s_add_i32 s12, s12, 7
	s_waitcnt lgkmcnt(3)
	v_div_scale_f64 v[18:19], s[16:17], v[16:17], v[16:17], v[4:5]
	v_rcp_f64_e32 v[20:21], v[18:19]
	s_add_i32 s1, s1, 32
	s_cmp_ge_i32 s12, s31
	v_fma_f64 v[2:3], -v[18:19], v[20:21], 1.0
	v_fmac_f64_e32 v[20:21], v[20:21], v[2:3]
	v_fma_f64 v[2:3], -v[18:19], v[20:21], 1.0
	v_fmac_f64_e32 v[20:21], v[20:21], v[2:3]
	v_div_scale_f64 v[2:3], vcc, v[4:5], v[16:17], v[4:5]
	v_mul_f64 v[6:7], v[2:3], v[20:21]
	v_fma_f64 v[2:3], -v[18:19], v[6:7], v[2:3]
	s_nop 1
	v_div_fmas_f64 v[2:3], v[2:3], v[20:21], v[6:7]
	v_div_fixup_f64 v[2:3], v[2:3], v[16:17], v[4:5]
	ds_write_b64 v10, v[2:3]
	s_cbranch_scc1 .LBB86_26
; %bb.25:                               ;   in Loop: Header=BB86_21 Depth=1
	s_mov_b32 s12, s13
	s_branch .LBB86_21
.LBB86_26:
	s_cmp_ge_i32 s13, s31
	s_cbranch_scc1 .LBB86_37
; %bb.27:
	v_mov_b32_e32 v1, 0x800
	s_add_i32 s1, s13, -1
	v_lshl_or_b32 v1, v0, 3, v1
	s_lshl_b32 s12, s13, 3
	s_mov_b32 s16, 0
	v_lshlrev_b32_e32 v4, 3, v0
	s_mov_b32 s17, s13
	s_branch .LBB86_29
.LBB86_28:                              ;   in Loop: Header=BB86_29 Depth=1
	s_mul_i32 s18, s13, 0x88
	v_mov_b32_e32 v6, s18
	ds_read_b64 v[6:7], v6
	v_add_u32_e32 v5, 0x800, v5
	s_add_i32 s13, s13, 1
	s_add_i32 s16, s16, 1
	;; [unrolled: 1-line block ×3, first 2 shown]
	s_waitcnt lgkmcnt(0)
	v_div_scale_f64 v[8:9], s[18:19], v[6:7], v[6:7], v[2:3]
	v_rcp_f64_e32 v[10:11], v[8:9]
	v_div_scale_f64 v[12:13], vcc, v[2:3], v[6:7], v[2:3]
	s_cmp_ge_i32 s13, s31
	v_fma_f64 v[14:15], -v[8:9], v[10:11], 1.0
	v_fmac_f64_e32 v[10:11], v[10:11], v[14:15]
	v_fma_f64 v[14:15], -v[8:9], v[10:11], 1.0
	v_fmac_f64_e32 v[10:11], v[10:11], v[14:15]
	v_mul_f64 v[14:15], v[12:13], v[10:11]
	v_fma_f64 v[8:9], -v[8:9], v[14:15], v[12:13]
	v_div_fmas_f64 v[8:9], v[8:9], v[10:11], v[14:15]
	v_div_fixup_f64 v[2:3], v[8:9], v[6:7], v[2:3]
	ds_write_b64 v5, v[2:3]
	v_add_u16_e64 v2, s17, 1
	v_readfirstlane_b32 s17, v2
	s_cbranch_scc1 .LBB86_37
.LBB86_29:                              ; =>This Loop Header: Depth=1
                                        ;     Child Loop BB86_32 Depth 2
                                        ;     Child Loop BB86_36 Depth 2
	v_lshl_or_b32 v5, s13, 7, v4
	ds_read_b64 v[2:3], v5 offset:2048
	s_cmp_eq_u32 s13, 0
	s_cbranch_scc1 .LBB86_28
; %bb.30:                               ;   in Loop: Header=BB86_29 Depth=1
	s_add_i32 s18, s1, s16
	s_cmp_lt_u32 s18, 7
	s_cbranch_scc1 .LBB86_34
; %bb.31:                               ;   in Loop: Header=BB86_29 Depth=1
	s_and_b32 s18, s13, -8
	s_mov_b32 s19, 0
	s_mov_b32 s20, s12
	v_mov_b32_e32 v6, v1
.LBB86_32:                              ;   Parent Loop BB86_29 Depth=1
                                        ; =>  This Inner Loop Header: Depth=2
	ds_read2_b64 v[8:11], v6 offset1:16
	v_mov_b32_e32 v7, s20
	ds_read2_b64 v[12:15], v6 offset0:32 offset1:48
	ds_read2_b64 v[16:19], v6 offset0:64 offset1:80
	;; [unrolled: 1-line block ×3, first 2 shown]
	ds_read2_b64 v[24:27], v7 offset1:16
	ds_read2_b64 v[28:31], v7 offset0:32 offset1:48
	ds_read2_b64 v[32:35], v7 offset0:64 offset1:80
	;; [unrolled: 1-line block ×3, first 2 shown]
	s_add_i32 s19, s19, 8
	s_waitcnt lgkmcnt(3)
	v_fma_f64 v[2:3], -v[8:9], v[24:25], v[2:3]
	v_fma_f64 v[2:3], -v[10:11], v[26:27], v[2:3]
	s_waitcnt lgkmcnt(2)
	v_fma_f64 v[2:3], -v[12:13], v[28:29], v[2:3]
	v_fma_f64 v[2:3], -v[14:15], v[30:31], v[2:3]
	;; [unrolled: 3-line block ×3, first 2 shown]
	s_addk_i32 s20, 0x400
	s_waitcnt lgkmcnt(0)
	v_fma_f64 v[2:3], -v[20:21], v[36:37], v[2:3]
	v_add_u32_e32 v6, 0x400, v6
	s_cmp_eq_u32 s18, s19
	v_fma_f64 v[2:3], -v[22:23], v[38:39], v[2:3]
	s_cbranch_scc0 .LBB86_32
; %bb.33:                               ;   in Loop: Header=BB86_29 Depth=1
	s_and_b32 s19, s13, 7
	s_cmp_eq_u32 s19, 0
	s_cbranch_scc0 .LBB86_35
	s_branch .LBB86_28
.LBB86_34:                              ;   in Loop: Header=BB86_29 Depth=1
	s_mov_b32 s18, 0
	s_and_b32 s19, s13, 7
	s_cmp_eq_u32 s19, 0
	s_cbranch_scc1 .LBB86_28
.LBB86_35:                              ;   in Loop: Header=BB86_29 Depth=1
	s_and_b32 s19, s17, 7
	s_lshl_b32 s18, s18, 7
.LBB86_36:                              ;   Parent Loop BB86_29 Depth=1
                                        ; =>  This Inner Loop Header: Depth=2
	s_add_i32 s20, s12, s18
	v_add_u32_e32 v6, s18, v1
	v_mov_b32_e32 v8, s20
	ds_read_b64 v[6:7], v6
	ds_read_b64 v[8:9], v8
	s_addk_i32 s18, 0x80
	s_add_i32 s19, s19, -1
	s_cmp_lg_u32 s19, 0
	s_waitcnt lgkmcnt(0)
	v_fma_f64 v[2:3], -v[6:7], v[8:9], v[2:3]
	s_cbranch_scc1 .LBB86_36
	s_branch .LBB86_28
.LBB86_37:
	s_mov_b64 s[12:13], 0
.LBB86_38:
	s_and_b64 vcc, exec, s[12:13]
	s_cbranch_vccz .LBB86_58
; %bb.39:
	s_andn2_b64 vcc, exec, s[8:9]
	s_mov_b32 s13, s33
	s_cbranch_vccnz .LBB86_45
; %bb.40:
	v_lshlrev_b32_e32 v1, 3, v0
	v_lshl_or_b32 v2, s31, 7, v1
	s_mul_i32 s1, s31, 0x88
	v_add_u32_e32 v10, 0x600, v2
	s_addk_i32 s1, 0xfde0
	s_mov_b32 s12, s33
.LBB86_41:                              ; =>This Loop Header: Depth=1
                                        ;     Child Loop BB86_42 Depth 2
	s_lshl_b32 s18, s12, 4
	s_add_i32 s19, s12, -1
	v_or_b32_e32 v2, s18, v0
	s_lshl_b32 s17, s19, 4
	v_lshlrev_b32_e32 v11, 3, v2
	v_or_b32_e32 v2, s17, v0
	s_sub_i32 s13, s18, 32
	v_lshlrev_b32_e32 v12, 3, v2
	v_or_b32_e32 v2, s13, v0
	s_add_i32 s16, s12, -3
	v_lshlrev_b32_e32 v13, 3, v2
	v_lshl_or_b32 v14, s16, 7, v1
	ds_read_b64 v[8:9], v11 offset:2048
	ds_read_b64 v[6:7], v12 offset:2048
	;; [unrolled: 1-line block ×4, first 2 shown]
	s_cmp_le_i32 s33, s12
	s_mov_b32 s20, s1
	v_mov_b32_e32 v15, v10
	s_mov_b32 s21, s33
	s_cbranch_scc1 .LBB86_43
.LBB86_42:                              ;   Parent Loop BB86_41 Depth=1
                                        ; =>  This Inner Loop Header: Depth=2
	ds_read2_b64 v[16:19], v15 offset0:32 offset1:48
	v_mov_b32_e32 v52, s20
	ds_read2_b64 v[20:23], v15 offset1:16
	ds_read2_b64 v[24:27], v52 offset0:50 offset1:51
	ds_read2_b64 v[28:31], v52 offset0:48 offset1:49
	;; [unrolled: 1-line block ×7, first 2 shown]
	ds_read2_b64 v[52:55], v52 offset1:1
	s_add_i32 s21, s21, -4
	s_waitcnt lgkmcnt(7)
	v_fma_f64 v[8:9], -v[18:19], v[26:27], v[8:9]
	v_fma_f64 v[6:7], -v[18:19], v[24:25], v[6:7]
	s_waitcnt lgkmcnt(6)
	v_fma_f64 v[4:5], -v[18:19], v[30:31], v[4:5]
	v_fma_f64 v[2:3], -v[18:19], v[28:29], v[2:3]
	;; [unrolled: 3-line block ×4, first 2 shown]
	s_addk_i32 s20, 0xfe00
	s_waitcnt lgkmcnt(3)
	v_fma_f64 v[8:9], -v[22:23], v[42:43], v[8:9]
	v_fma_f64 v[6:7], -v[22:23], v[40:41], v[6:7]
	s_waitcnt lgkmcnt(2)
	v_fma_f64 v[4:5], -v[22:23], v[46:47], v[4:5]
	v_fma_f64 v[2:3], -v[22:23], v[44:45], v[2:3]
	v_add_u32_e32 v15, 0xfffffe00, v15
	s_cmp_le_i32 s21, s12
	s_waitcnt lgkmcnt(1)
	v_fma_f64 v[8:9], -v[20:21], v[50:51], v[8:9]
	v_fma_f64 v[6:7], -v[20:21], v[48:49], v[6:7]
	s_waitcnt lgkmcnt(0)
	v_fma_f64 v[4:5], -v[20:21], v[54:55], v[4:5]
	v_fma_f64 v[2:3], -v[20:21], v[52:53], v[2:3]
	s_cbranch_scc0 .LBB86_42
.LBB86_43:                              ;   in Loop: Header=BB86_41 Depth=1
	s_add_i32 s19, s18, s19
	s_lshl_b32 s19, s19, 3
	v_add_u32_e32 v15, 0x800, v11
	v_add_u32_e32 v11, 0x800, v14
	v_mov_b32_e32 v14, s19
	ds_read2_b64 v[16:19], v14 offset1:1
	s_mul_i32 s22, s12, 0x88
	s_add_i32 s19, s22, 0xffffff78
	v_mov_b32_e32 v14, s19
	ds_read_b64 v[20:21], v14
	s_waitcnt lgkmcnt(1)
	v_div_scale_f64 v[22:23], s[20:21], v[18:19], v[18:19], v[8:9]
	v_rcp_f64_e32 v[24:25], v[22:23]
	v_div_scale_f64 v[26:27], vcc, v[8:9], v[18:19], v[8:9]
	s_add_i32 s18, s18, s16
	v_fma_f64 v[28:29], -v[22:23], v[24:25], 1.0
	v_fmac_f64_e32 v[24:25], v[24:25], v[28:29]
	v_fma_f64 v[28:29], -v[22:23], v[24:25], 1.0
	v_fmac_f64_e32 v[24:25], v[24:25], v[28:29]
	v_mul_f64 v[28:29], v[26:27], v[24:25]
	v_fma_f64 v[22:23], -v[22:23], v[28:29], v[26:27]
	v_div_fmas_f64 v[22:23], v[22:23], v[24:25], v[28:29]
	v_div_fixup_f64 v[22:23], v[22:23], v[18:19], v[8:9]
	v_fma_f64 v[24:25], -v[22:23], v[16:17], v[6:7]
	s_waitcnt lgkmcnt(0)
	v_div_scale_f64 v[6:7], s[20:21], v[20:21], v[20:21], v[24:25]
	v_rcp_f64_e32 v[26:27], v[6:7]
	s_lshl_b32 s18, s18, 3
	s_add_i32 s17, s17, s16
	s_lshl_b32 s17, s17, 3
	v_fma_f64 v[8:9], -v[6:7], v[26:27], 1.0
	v_fmac_f64_e32 v[26:27], v[26:27], v[8:9]
	v_fma_f64 v[8:9], -v[6:7], v[26:27], 1.0
	v_fmac_f64_e32 v[26:27], v[26:27], v[8:9]
	v_div_scale_f64 v[8:9], vcc, v[24:25], v[20:21], v[24:25]
	v_mul_f64 v[28:29], v[8:9], v[26:27]
	v_fma_f64 v[30:31], -v[6:7], v[28:29], v[8:9]
	v_mov_b32_e32 v6, s18
	v_mov_b32_e32 v14, s17
	ds_read2_b64 v[6:9], v6 offset1:1
	ds_read2_b64 v[16:19], v14 offset1:1
	s_add_i32 s13, s13, s16
	v_div_fmas_f64 v[26:27], v[30:31], v[26:27], v[28:29]
	s_lshl_b32 s13, s13, 3
	v_div_fixup_f64 v[24:25], v[26:27], v[20:21], v[24:25]
	s_waitcnt lgkmcnt(1)
	v_fma_f64 v[4:5], -v[22:23], v[8:9], v[4:5]
	v_mov_b32_e32 v8, s13
	s_waitcnt lgkmcnt(0)
	v_fma_f64 v[4:5], -v[24:25], v[18:19], v[4:5]
	ds_read2_b64 v[18:21], v8 offset1:1
	s_add_i32 s13, s22, 0xfffffe68
	v_mov_b32_e32 v8, s13
	ds_read_b64 v[8:9], v8
	v_fma_f64 v[2:3], -v[22:23], v[6:7], v[2:3]
	s_waitcnt lgkmcnt(1)
	v_div_scale_f64 v[26:27], s[16:17], v[20:21], v[20:21], v[4:5]
	v_rcp_f64_e32 v[28:29], v[26:27]
	v_fma_f64 v[2:3], -v[24:25], v[16:17], v[2:3]
	v_add_u32_e32 v12, 0x800, v12
	v_add_u32_e32 v13, 0x800, v13
	v_fma_f64 v[30:31], -v[26:27], v[28:29], 1.0
	v_fmac_f64_e32 v[28:29], v[28:29], v[30:31]
	v_fma_f64 v[30:31], -v[26:27], v[28:29], 1.0
	v_fmac_f64_e32 v[28:29], v[28:29], v[30:31]
	v_div_scale_f64 v[30:31], vcc, v[4:5], v[20:21], v[4:5]
	v_mul_f64 v[32:33], v[30:31], v[28:29]
	v_fma_f64 v[26:27], -v[26:27], v[32:33], v[30:31]
	s_add_i32 s13, s12, -4
	s_nop 0
	v_div_fmas_f64 v[26:27], v[26:27], v[28:29], v[32:33]
	v_div_fixup_f64 v[4:5], v[26:27], v[20:21], v[4:5]
	v_fma_f64 v[2:3], -v[4:5], v[18:19], v[2:3]
	s_waitcnt lgkmcnt(0)
	v_div_scale_f64 v[6:7], s[16:17], v[8:9], v[8:9], v[2:3]
	v_rcp_f64_e32 v[16:17], v[6:7]
	ds_write_b64 v15, v[22:23]
	ds_write_b64 v12, v[24:25]
	;; [unrolled: 1-line block ×3, first 2 shown]
	s_sub_i32 s1, s1, 32
	s_cmp_lt_i32 s12, 7
	v_fma_f64 v[4:5], -v[6:7], v[16:17], 1.0
	v_fmac_f64_e32 v[16:17], v[16:17], v[4:5]
	v_fma_f64 v[4:5], -v[6:7], v[16:17], 1.0
	v_fmac_f64_e32 v[16:17], v[16:17], v[4:5]
	v_div_scale_f64 v[4:5], vcc, v[2:3], v[8:9], v[2:3]
	v_mul_f64 v[12:13], v[4:5], v[16:17]
	v_fma_f64 v[4:5], -v[6:7], v[12:13], v[4:5]
	s_nop 1
	v_div_fmas_f64 v[4:5], v[4:5], v[16:17], v[12:13]
	v_div_fixup_f64 v[2:3], v[4:5], v[8:9], v[2:3]
	ds_write_b64 v11, v[2:3]
	s_cbranch_scc1 .LBB86_45
; %bb.44:                               ;   in Loop: Header=BB86_41 Depth=1
	s_mov_b32 s12, s13
	s_branch .LBB86_41
.LBB86_45:
	s_cmp_lt_i32 s13, 0
	s_cbranch_scc1 .LBB86_58
; %bb.46:
	s_bitcmp1_b32 s13, 0
	s_cselect_b64 s[16:17], -1, 0
	s_and_b64 vcc, exec, s[16:17]
	s_mov_b32 s1, s13
	s_cbranch_vccnz .LBB86_51
; %bb.47:
	v_lshlrev_b32_e32 v1, 3, v0
	v_lshl_or_b32 v1, s13, 7, v1
	ds_read_b64 v[2:3], v1 offset:2048
	s_cmp_le_i32 s33, s13
	s_cbranch_scc1 .LBB86_50
; %bb.48:
	s_lshl_b32 s12, s31, 7
	s_lshl_b32 s1, s13, 3
	s_add_i32 s1, s12, s1
	v_lshl_or_b32 v4, v0, 3, s12
	s_addk_i32 s1, 0xff80
	v_add_u32_e32 v4, 0x780, v4
	s_mov_b32 s12, s33
.LBB86_49:                              ; =>This Inner Loop Header: Depth=1
	v_mov_b32_e32 v5, s1
	ds_read_b64 v[6:7], v4
	ds_read_b64 v[8:9], v5
	s_add_i32 s12, s12, -1
	s_addk_i32 s1, 0xff80
	v_add_u32_e32 v4, 0xffffff80, v4
	s_cmp_gt_i32 s12, s13
	s_waitcnt lgkmcnt(0)
	v_fma_f64 v[2:3], -v[6:7], v[8:9], v[2:3]
	s_cbranch_scc1 .LBB86_49
.LBB86_50:
	s_mul_i32 s1, s13, 0x88
	v_mov_b32_e32 v4, s1
	ds_read_b64 v[4:5], v4
	v_add_u32_e32 v1, 0x800, v1
	s_add_i32 s1, s13, -1
	s_waitcnt lgkmcnt(0)
	v_div_scale_f64 v[6:7], s[16:17], v[4:5], v[4:5], v[2:3]
	v_rcp_f64_e32 v[8:9], v[6:7]
	v_div_scale_f64 v[10:11], vcc, v[2:3], v[4:5], v[2:3]
	v_fma_f64 v[12:13], -v[6:7], v[8:9], 1.0
	v_fmac_f64_e32 v[8:9], v[8:9], v[12:13]
	v_fma_f64 v[12:13], -v[6:7], v[8:9], 1.0
	v_fmac_f64_e32 v[8:9], v[8:9], v[12:13]
	v_mul_f64 v[12:13], v[10:11], v[8:9]
	v_fma_f64 v[6:7], -v[6:7], v[12:13], v[10:11]
	v_div_fmas_f64 v[6:7], v[6:7], v[8:9], v[12:13]
	v_div_fixup_f64 v[2:3], v[6:7], v[4:5], v[2:3]
	ds_write_b64 v1, v[2:3]
.LBB86_51:
	s_cmp_eq_u32 s13, 0
	s_cbranch_scc1 .LBB86_58
; %bb.52:
	s_lshl_b32 s12, s31, 7
	s_lshl_b32 s13, s1, 3
	v_lshl_or_b32 v1, v0, 3, s12
	s_add_i32 s13, s12, s13
	v_add_u32_e32 v1, 0x780, v1
	s_add_i32 s12, s13, 0xffffff80
	s_addk_i32 s13, 0xff78
	v_lshlrev_b32_e32 v6, 3, v0
	s_branch .LBB86_54
.LBB86_53:                              ;   in Loop: Header=BB86_54 Depth=1
	s_addk_i32 s16, 0xff78
	v_mov_b32_e32 v5, s16
	ds_read_b64 v[8:9], v5
	s_add_i32 s18, s1, -2
	s_add_i32 s12, s12, -16
	;; [unrolled: 1-line block ×3, first 2 shown]
	v_add_u32_e32 v4, 0x800, v7
	s_waitcnt lgkmcnt(0)
	v_div_scale_f64 v[10:11], s[16:17], v[8:9], v[8:9], v[2:3]
	v_rcp_f64_e32 v[12:13], v[10:11]
	v_div_scale_f64 v[14:15], vcc, v[2:3], v[8:9], v[2:3]
	s_cmp_lt_i32 s1, 2
	v_fma_f64 v[16:17], -v[10:11], v[12:13], 1.0
	v_fmac_f64_e32 v[12:13], v[12:13], v[16:17]
	v_fma_f64 v[16:17], -v[10:11], v[12:13], 1.0
	v_fmac_f64_e32 v[12:13], v[12:13], v[16:17]
	v_mul_f64 v[16:17], v[14:15], v[12:13]
	v_fma_f64 v[10:11], -v[10:11], v[16:17], v[14:15]
	v_div_fmas_f64 v[10:11], v[10:11], v[12:13], v[16:17]
	v_div_fixup_f64 v[2:3], v[10:11], v[8:9], v[2:3]
	s_mov_b32 s1, s18
	ds_write_b64 v4, v[2:3]
	s_cbranch_scc1 .LBB86_58
.LBB86_54:                              ; =>This Loop Header: Depth=1
                                        ;     Child Loop BB86_55 Depth 2
                                        ;     Child Loop BB86_57 Depth 2
	v_lshl_or_b32 v2, s1, 7, v6
	ds_read_b64 v[4:5], v2 offset:2048
	s_cmp_le_i32 s33, s1
	s_mov_b32 s16, s12
	v_mov_b32_e32 v3, v1
	s_mov_b32 s17, s33
	s_cbranch_scc1 .LBB86_56
.LBB86_55:                              ;   Parent Loop BB86_54 Depth=1
                                        ; =>  This Inner Loop Header: Depth=2
	v_mov_b32_e32 v7, s16
	ds_read_b64 v[8:9], v3
	ds_read_b64 v[10:11], v7
	s_add_i32 s17, s17, -1
	s_addk_i32 s16, 0xff80
	v_add_u32_e32 v3, 0xffffff80, v3
	s_cmp_le_i32 s17, s1
	s_waitcnt lgkmcnt(0)
	v_fma_f64 v[4:5], -v[8:9], v[10:11], v[4:5]
	s_cbranch_scc0 .LBB86_55
.LBB86_56:                              ;   in Loop: Header=BB86_54 Depth=1
	s_mul_i32 s16, s1, 0x88
	v_add_u32_e32 v8, 0x800, v2
	v_mov_b32_e32 v2, s16
	ds_read_b64 v[10:11], v2
	s_lshl_b32 s17, s1, 7
	s_addk_i32 s17, 0xff80
	v_lshl_or_b32 v7, v0, 3, s17
	ds_read_b64 v[2:3], v7 offset:2048
	s_waitcnt lgkmcnt(1)
	v_div_scale_f64 v[12:13], s[18:19], v[10:11], v[10:11], v[4:5]
	v_rcp_f64_e32 v[14:15], v[12:13]
	v_div_scale_f64 v[16:17], vcc, v[4:5], v[10:11], v[4:5]
	s_cmp_lt_i32 s33, s1
	v_fma_f64 v[18:19], -v[12:13], v[14:15], 1.0
	v_fmac_f64_e32 v[14:15], v[14:15], v[18:19]
	v_fma_f64 v[18:19], -v[12:13], v[14:15], 1.0
	v_fmac_f64_e32 v[14:15], v[14:15], v[18:19]
	v_mul_f64 v[18:19], v[16:17], v[14:15]
	v_fma_f64 v[12:13], -v[12:13], v[18:19], v[16:17]
	v_div_fmas_f64 v[12:13], v[12:13], v[14:15], v[18:19]
	v_div_fixup_f64 v[4:5], v[12:13], v[10:11], v[4:5]
	ds_write_b64 v8, v[4:5]
	v_mov_b32_e32 v4, v1
	s_mov_b32 s17, s13
	s_mov_b32 s18, s31
	s_cbranch_scc1 .LBB86_53
.LBB86_57:                              ;   Parent Loop BB86_54 Depth=1
                                        ; =>  This Inner Loop Header: Depth=2
	v_mov_b32_e32 v5, s17
	ds_read_b64 v[8:9], v4
	ds_read_b64 v[10:11], v5
	s_add_i32 s18, s18, -1
	s_addk_i32 s17, 0xff80
	v_add_u32_e32 v4, 0xffffff80, v4
	s_cmp_gt_i32 s18, s1
	s_waitcnt lgkmcnt(0)
	v_fma_f64 v[2:3], -v[8:9], v[10:11], v[2:3]
	s_cbranch_scc1 .LBB86_57
	s_branch .LBB86_53
.LBB86_58:
	s_mov_b64 s[18:19], 0
.LBB86_59:
	s_andn2_b64 vcc, exec, s[18:19]
	s_cbranch_vccnz .LBB86_79
; %bb.60:
	s_andn2_b64 vcc, exec, s[8:9]
	s_mov_b32 s9, s33
	s_cbranch_vccnz .LBB86_66
; %bb.61:
	v_lshlrev_b32_e32 v1, 3, v0
	s_mul_i32 s1, s31, 0x88
	v_lshl_or_b32 v2, s31, 7, v1
	s_addk_i32 s1, 0xfde0
	v_add_u32_e32 v10, 0x600, v2
	s_mov_b32 s8, s33
.LBB86_62:                              ; =>This Loop Header: Depth=1
                                        ;     Child Loop BB86_63 Depth 2
	s_lshl_b32 s12, s8, 4
	v_or_b32_e32 v2, s12, v0
	s_sub_i32 s13, s12, 32
	v_lshlrev_b32_e32 v11, 3, v2
	v_or_b32_e32 v2, s13, v0
	s_sub_i32 s12, s12, 48
	s_add_i32 s9, s8, -1
	v_lshlrev_b32_e32 v13, 3, v2
	v_or_b32_e32 v2, s12, v0
	v_lshl_or_b32 v12, s9, 7, v1
	v_lshlrev_b32_e32 v14, 3, v2
	ds_read_b64 v[8:9], v11 offset:2048
	ds_read_b64 v[6:7], v12 offset:2048
	;; [unrolled: 1-line block ×4, first 2 shown]
	s_cmp_le_i32 s33, s8
	v_mov_b32_e32 v15, v10
	s_mov_b32 s16, s1
	s_mov_b32 s17, s33
	s_cbranch_scc1 .LBB86_64
.LBB86_63:                              ;   Parent Loop BB86_62 Depth=1
                                        ; =>  This Inner Loop Header: Depth=2
	ds_read2_b64 v[16:19], v15 offset0:32 offset1:48
	v_mov_b32_e32 v52, s16
	ds_read2_b64 v[20:23], v15 offset1:16
	ds_read2_b64 v[24:27], v52 offset0:50 offset1:51
	ds_read2_b64 v[28:31], v52 offset0:48 offset1:49
	;; [unrolled: 1-line block ×7, first 2 shown]
	ds_read2_b64 v[52:55], v52 offset1:1
	s_add_i32 s17, s17, -4
	s_waitcnt lgkmcnt(7)
	v_fma_f64 v[8:9], -v[18:19], v[26:27], v[8:9]
	s_waitcnt lgkmcnt(5)
	v_fma_f64 v[6:7], -v[18:19], v[34:35], v[6:7]
	s_waitcnt lgkmcnt(3)
	v_fma_f64 v[4:5], -v[18:19], v[42:43], v[4:5]
	s_waitcnt lgkmcnt(1)
	v_fma_f64 v[2:3], -v[18:19], v[50:51], v[2:3]
	v_fma_f64 v[8:9], -v[16:17], v[24:25], v[8:9]
	v_fma_f64 v[6:7], -v[16:17], v[32:33], v[6:7]
	;; [unrolled: 1-line block ×4, first 2 shown]
	s_sub_i32 s16, s16, 32
	v_fma_f64 v[8:9], -v[22:23], v[30:31], v[8:9]
	v_fma_f64 v[6:7], -v[22:23], v[38:39], v[6:7]
	;; [unrolled: 1-line block ×3, first 2 shown]
	s_waitcnt lgkmcnt(0)
	v_fma_f64 v[2:3], -v[22:23], v[54:55], v[2:3]
	v_add_u32_e32 v15, 0xfffffe00, v15
	s_cmp_le_i32 s17, s8
	v_fma_f64 v[8:9], -v[20:21], v[28:29], v[8:9]
	v_fma_f64 v[6:7], -v[20:21], v[36:37], v[6:7]
	;; [unrolled: 1-line block ×4, first 2 shown]
	s_cbranch_scc0 .LBB86_63
.LBB86_64:                              ;   in Loop: Header=BB86_62 Depth=1
	s_mul_i32 s18, s8, 0x88
	v_add_u32_e32 v15, 0x800, v11
	v_add_u32_e32 v11, 0x800, v14
	v_mov_b32_e32 v14, s18
	ds_read_b64 v[20:21], v14
	s_add_i32 s16, s18, 0xffffff78
	v_mov_b32_e32 v14, s16
	ds_read2_b64 v[16:19], v14 offset1:1
	s_add_i32 s13, s13, s8
	s_waitcnt lgkmcnt(1)
	v_div_scale_f64 v[22:23], s[16:17], v[20:21], v[20:21], v[8:9]
	v_rcp_f64_e32 v[24:25], v[22:23]
	v_div_scale_f64 v[26:27], vcc, v[8:9], v[20:21], v[8:9]
	s_lshl_b32 s13, s13, 3
	v_fma_f64 v[28:29], -v[22:23], v[24:25], 1.0
	v_fmac_f64_e32 v[24:25], v[24:25], v[28:29]
	v_fma_f64 v[28:29], -v[22:23], v[24:25], 1.0
	v_fmac_f64_e32 v[24:25], v[24:25], v[28:29]
	v_mul_f64 v[28:29], v[26:27], v[24:25]
	v_fma_f64 v[22:23], -v[22:23], v[28:29], v[26:27]
	v_div_fmas_f64 v[22:23], v[22:23], v[24:25], v[28:29]
	v_div_fixup_f64 v[24:25], v[22:23], v[20:21], v[8:9]
	s_waitcnt lgkmcnt(0)
	v_fma_f64 v[18:19], -v[24:25], v[18:19], v[6:7]
	v_div_scale_f64 v[6:7], s[16:17], v[16:17], v[16:17], v[18:19]
	v_rcp_f64_e32 v[20:21], v[6:7]
	v_div_scale_f64 v[8:9], vcc, v[18:19], v[16:17], v[18:19]
	s_add_i32 s12, s12, s9
	v_fma_f64 v[22:23], -v[6:7], v[20:21], 1.0
	v_fmac_f64_e32 v[20:21], v[20:21], v[22:23]
	v_fma_f64 v[22:23], -v[6:7], v[20:21], 1.0
	v_fmac_f64_e32 v[20:21], v[20:21], v[22:23]
	v_mul_f64 v[22:23], v[8:9], v[20:21]
	v_fma_f64 v[26:27], -v[6:7], v[22:23], v[8:9]
	v_mov_b32_e32 v6, s13
	s_add_i32 s13, s18, 0xfffffef0
	v_mov_b32_e32 v7, s13
	ds_read_b64 v[28:29], v6
	ds_read2_b64 v[6:9], v7 offset1:1
	v_div_fmas_f64 v[20:21], v[26:27], v[20:21], v[22:23]
	v_div_fixup_f64 v[26:27], v[20:21], v[16:17], v[18:19]
	s_lshl_b32 s9, s12, 3
	s_waitcnt lgkmcnt(1)
	v_fma_f64 v[4:5], -v[24:25], v[28:29], v[4:5]
	s_waitcnt lgkmcnt(0)
	v_fma_f64 v[4:5], -v[26:27], v[8:9], v[4:5]
	v_div_scale_f64 v[8:9], s[16:17], v[6:7], v[6:7], v[4:5]
	v_rcp_f64_e32 v[28:29], v[8:9]
	v_mov_b32_e32 v14, s9
	s_add_i32 s9, s18, 0xfffffe68
	v_mov_b32_e32 v20, s9
	v_fma_f64 v[16:17], -v[8:9], v[28:29], 1.0
	v_fmac_f64_e32 v[28:29], v[28:29], v[16:17]
	v_fma_f64 v[16:17], -v[8:9], v[28:29], 1.0
	v_fmac_f64_e32 v[28:29], v[28:29], v[16:17]
	v_div_scale_f64 v[16:17], vcc, v[4:5], v[6:7], v[4:5]
	v_mul_f64 v[30:31], v[16:17], v[28:29]
	v_fma_f64 v[8:9], -v[8:9], v[30:31], v[16:17]
	ds_read2_b64 v[16:19], v14 offset1:1
	ds_read2_b64 v[20:23], v20 offset1:1
	v_div_fmas_f64 v[8:9], v[8:9], v[28:29], v[30:31]
	v_div_fixup_f64 v[4:5], v[8:9], v[6:7], v[4:5]
	v_add_u32_e32 v12, 0x800, v12
	s_waitcnt lgkmcnt(1)
	v_fma_f64 v[2:3], -v[24:25], v[18:19], v[2:3]
	v_fma_f64 v[2:3], -v[26:27], v[16:17], v[2:3]
	s_waitcnt lgkmcnt(0)
	v_fma_f64 v[2:3], -v[4:5], v[22:23], v[2:3]
	v_div_scale_f64 v[6:7], s[12:13], v[20:21], v[20:21], v[2:3]
	v_rcp_f64_e32 v[8:9], v[6:7]
	v_add_u32_e32 v13, 0x800, v13
	ds_write_b64 v15, v[24:25]
	ds_write_b64 v12, v[26:27]
	;; [unrolled: 1-line block ×3, first 2 shown]
	s_add_i32 s9, s8, -4
	v_fma_f64 v[4:5], -v[6:7], v[8:9], 1.0
	v_fmac_f64_e32 v[8:9], v[8:9], v[4:5]
	v_fma_f64 v[4:5], -v[6:7], v[8:9], 1.0
	v_fmac_f64_e32 v[8:9], v[8:9], v[4:5]
	v_div_scale_f64 v[4:5], vcc, v[2:3], v[20:21], v[2:3]
	v_mul_f64 v[12:13], v[4:5], v[8:9]
	v_fma_f64 v[4:5], -v[6:7], v[12:13], v[4:5]
	s_addk_i32 s1, 0xfe00
	s_nop 0
	v_div_fmas_f64 v[4:5], v[4:5], v[8:9], v[12:13]
	v_div_fixup_f64 v[2:3], v[4:5], v[20:21], v[2:3]
	s_cmp_lt_i32 s8, 7
	ds_write_b64 v11, v[2:3]
	s_cbranch_scc1 .LBB86_66
; %bb.65:                               ;   in Loop: Header=BB86_62 Depth=1
	s_mov_b32 s8, s9
	s_branch .LBB86_62
.LBB86_66:
	s_cmp_lt_i32 s9, 0
	s_cbranch_scc1 .LBB86_79
; %bb.67:
	s_bitcmp1_b32 s9, 0
	s_cselect_b64 s[12:13], -1, 0
	s_and_b64 vcc, exec, s[12:13]
	s_mov_b32 s1, s9
	s_cbranch_vccnz .LBB86_72
; %bb.68:
	v_lshlrev_b32_e32 v4, 3, v0
	v_lshl_or_b32 v1, s9, 7, v4
	ds_read_b64 v[2:3], v1 offset:2048
	s_cmp_le_i32 s33, s9
	s_cbranch_scc1 .LBB86_71
; %bb.69:
	s_lshl_b32 s1, s9, 7
	s_lshl_b32 s8, s31, 3
	s_add_i32 s1, s1, s8
	v_lshl_or_b32 v4, s31, 7, v4
	s_add_i32 s1, s1, -8
	v_add_u32_e32 v4, 0x780, v4
	s_mov_b32 s8, s33
.LBB86_70:                              ; =>This Inner Loop Header: Depth=1
	v_mov_b32_e32 v5, s1
	ds_read_b64 v[6:7], v4
	ds_read_b64 v[8:9], v5
	s_add_i32 s8, s8, -1
	s_add_i32 s1, s1, -8
	v_add_u32_e32 v4, 0xffffff80, v4
	s_cmp_gt_i32 s8, s9
	s_waitcnt lgkmcnt(0)
	v_fma_f64 v[2:3], -v[6:7], v[8:9], v[2:3]
	s_cbranch_scc1 .LBB86_70
.LBB86_71:
	s_mul_i32 s1, s9, 0x88
	v_mov_b32_e32 v4, s1
	ds_read_b64 v[4:5], v4
	v_add_u32_e32 v1, 0x800, v1
	s_add_i32 s1, s9, -1
	s_waitcnt lgkmcnt(0)
	v_div_scale_f64 v[6:7], s[12:13], v[4:5], v[4:5], v[2:3]
	v_rcp_f64_e32 v[8:9], v[6:7]
	v_div_scale_f64 v[10:11], vcc, v[2:3], v[4:5], v[2:3]
	v_fma_f64 v[12:13], -v[6:7], v[8:9], 1.0
	v_fmac_f64_e32 v[8:9], v[8:9], v[12:13]
	v_fma_f64 v[12:13], -v[6:7], v[8:9], 1.0
	v_fmac_f64_e32 v[8:9], v[8:9], v[12:13]
	v_mul_f64 v[12:13], v[10:11], v[8:9]
	v_fma_f64 v[6:7], -v[6:7], v[12:13], v[10:11]
	v_div_fmas_f64 v[6:7], v[6:7], v[8:9], v[12:13]
	v_div_fixup_f64 v[2:3], v[6:7], v[4:5], v[2:3]
	ds_write_b64 v1, v[2:3]
.LBB86_72:
	s_cmp_eq_u32 s9, 0
	s_cbranch_scc1 .LBB86_79
; %bb.73:
	v_lshlrev_b32_e32 v1, 3, v0
	s_lshl_b32 s8, s1, 7
	s_lshl_b32 s9, s31, 3
	v_lshl_or_b32 v2, s31, 7, v1
	s_add_i32 s9, s8, s9
	v_add_u32_e32 v6, 0x780, v2
	s_add_i32 s8, s9, -8
	s_addk_i32 s9, 0xff78
	s_branch .LBB86_75
.LBB86_74:                              ;   in Loop: Header=BB86_75 Depth=1
	s_addk_i32 s12, 0xff78
	v_mov_b32_e32 v5, s12
	ds_read_b64 v[8:9], v5
	s_add_i32 s16, s1, -2
	s_addk_i32 s8, 0xff00
	s_addk_i32 s9, 0xff00
	v_add_u32_e32 v4, 0x800, v7
	s_waitcnt lgkmcnt(0)
	v_div_scale_f64 v[10:11], s[12:13], v[8:9], v[8:9], v[2:3]
	v_rcp_f64_e32 v[12:13], v[10:11]
	v_div_scale_f64 v[14:15], vcc, v[2:3], v[8:9], v[2:3]
	s_cmp_lt_i32 s1, 2
	v_fma_f64 v[16:17], -v[10:11], v[12:13], 1.0
	v_fmac_f64_e32 v[12:13], v[12:13], v[16:17]
	v_fma_f64 v[16:17], -v[10:11], v[12:13], 1.0
	v_fmac_f64_e32 v[12:13], v[12:13], v[16:17]
	v_mul_f64 v[16:17], v[14:15], v[12:13]
	v_fma_f64 v[10:11], -v[10:11], v[16:17], v[14:15]
	v_div_fmas_f64 v[10:11], v[10:11], v[12:13], v[16:17]
	v_div_fixup_f64 v[2:3], v[10:11], v[8:9], v[2:3]
	s_mov_b32 s1, s16
	ds_write_b64 v4, v[2:3]
	s_cbranch_scc1 .LBB86_79
.LBB86_75:                              ; =>This Loop Header: Depth=1
                                        ;     Child Loop BB86_76 Depth 2
                                        ;     Child Loop BB86_78 Depth 2
	v_lshl_or_b32 v2, s1, 7, v1
	ds_read_b64 v[4:5], v2 offset:2048
	s_cmp_le_i32 s33, s1
	s_mov_b32 s12, s8
	v_mov_b32_e32 v3, v6
	s_mov_b32 s13, s33
	s_cbranch_scc1 .LBB86_77
.LBB86_76:                              ;   Parent Loop BB86_75 Depth=1
                                        ; =>  This Inner Loop Header: Depth=2
	v_mov_b32_e32 v7, s12
	ds_read_b64 v[8:9], v3
	ds_read_b64 v[10:11], v7
	s_add_i32 s13, s13, -1
	s_add_i32 s12, s12, -8
	v_add_u32_e32 v3, 0xffffff80, v3
	s_cmp_le_i32 s13, s1
	s_waitcnt lgkmcnt(0)
	v_fma_f64 v[4:5], -v[8:9], v[10:11], v[4:5]
	s_cbranch_scc0 .LBB86_76
.LBB86_77:                              ;   in Loop: Header=BB86_75 Depth=1
	s_mul_i32 s12, s1, 0x88
	v_add_u32_e32 v8, 0x800, v2
	v_mov_b32_e32 v2, s12
	ds_read_b64 v[10:11], v2
	s_lshl_b32 s13, s1, 7
	s_addk_i32 s13, 0xff80
	v_lshl_or_b32 v7, v0, 3, s13
	ds_read_b64 v[2:3], v7 offset:2048
	s_waitcnt lgkmcnt(1)
	v_div_scale_f64 v[12:13], s[16:17], v[10:11], v[10:11], v[4:5]
	v_rcp_f64_e32 v[14:15], v[12:13]
	v_div_scale_f64 v[16:17], vcc, v[4:5], v[10:11], v[4:5]
	s_cmp_lt_i32 s33, s1
	v_fma_f64 v[18:19], -v[12:13], v[14:15], 1.0
	v_fmac_f64_e32 v[14:15], v[14:15], v[18:19]
	v_fma_f64 v[18:19], -v[12:13], v[14:15], 1.0
	v_fmac_f64_e32 v[14:15], v[14:15], v[18:19]
	v_mul_f64 v[18:19], v[16:17], v[14:15]
	v_fma_f64 v[12:13], -v[12:13], v[18:19], v[16:17]
	v_div_fmas_f64 v[12:13], v[12:13], v[14:15], v[18:19]
	v_div_fixup_f64 v[4:5], v[12:13], v[10:11], v[4:5]
	ds_write_b64 v8, v[4:5]
	v_mov_b32_e32 v4, v6
	s_mov_b32 s13, s9
	s_mov_b32 s16, s31
	s_cbranch_scc1 .LBB86_74
.LBB86_78:                              ;   Parent Loop BB86_75 Depth=1
                                        ; =>  This Inner Loop Header: Depth=2
	v_mov_b32_e32 v5, s13
	ds_read_b64 v[8:9], v4
	ds_read_b64 v[10:11], v5
	s_add_i32 s16, s16, -1
	s_add_i32 s13, s13, -8
	v_add_u32_e32 v4, 0xffffff80, v4
	s_cmp_gt_i32 s16, s1
	s_waitcnt lgkmcnt(0)
	v_fma_f64 v[2:3], -v[8:9], v[10:11], v[2:3]
	s_cbranch_scc1 .LBB86_78
	s_branch .LBB86_74
.LBB86_79:
	s_mov_b64 s[18:19], 0
.LBB86_80:
	s_andn2_b64 vcc, exec, s[18:19]
	s_cbranch_vccnz .LBB86_99
; %bb.81:
	s_cmp_lt_i32 s30, 4
	s_mov_b32 s9, 0
	s_cbranch_scc1 .LBB86_88
; %bb.82:
	v_mov_b32_e32 v1, 0x800
	v_lshl_or_b32 v1, v0, 3, v1
	s_mov_b32 s1, 0
	s_mov_b32 s8, 0
.LBB86_83:                              ; =>This Loop Header: Depth=1
                                        ;     Child Loop BB86_85 Depth 2
	s_lshl_b32 s9, s8, 4
	v_or_b32_e32 v2, s9, v0
	s_or_b32 s13, s9, 16
	v_lshlrev_b32_e32 v10, 3, v2
	v_or_b32_e32 v2, s13, v0
	s_or_b32 s12, s9, 32
	v_lshlrev_b32_e32 v11, 3, v2
	;; [unrolled: 3-line block ×3, first 2 shown]
	v_or_b32_e32 v2, s9, v0
	v_lshlrev_b32_e32 v13, 3, v2
	ds_read_b64 v[8:9], v10 offset:2048
	ds_read_b64 v[6:7], v11 offset:2048
	;; [unrolled: 1-line block ×4, first 2 shown]
	s_cmp_eq_u32 s8, 0
	s_cbranch_scc1 .LBB86_86
; %bb.84:                               ;   in Loop: Header=BB86_83 Depth=1
	s_mov_b32 s16, 0
	s_mov_b32 s17, s1
	v_mov_b32_e32 v14, v1
.LBB86_85:                              ;   Parent Loop BB86_83 Depth=1
                                        ; =>  This Inner Loop Header: Depth=2
	ds_read2_b64 v[16:19], v14 offset1:16
	v_mov_b32_e32 v15, s17
	ds_read2_b64 v[20:23], v14 offset0:32 offset1:48
	ds_read_b128 v[24:27], v15
	ds_read_b128 v[28:31], v15 offset:16
	ds_read_b128 v[32:35], v15 offset:128
	;; [unrolled: 1-line block ×7, first 2 shown]
	s_add_i32 s16, s16, 4
	s_waitcnt lgkmcnt(7)
	v_fma_f64 v[8:9], -v[16:17], v[24:25], v[8:9]
	s_waitcnt lgkmcnt(5)
	v_fma_f64 v[6:7], -v[16:17], v[32:33], v[6:7]
	s_waitcnt lgkmcnt(3)
	v_fma_f64 v[4:5], -v[16:17], v[40:41], v[4:5]
	s_waitcnt lgkmcnt(1)
	v_fma_f64 v[2:3], -v[16:17], v[48:49], v[2:3]
	v_fma_f64 v[8:9], -v[18:19], v[26:27], v[8:9]
	v_fma_f64 v[6:7], -v[18:19], v[34:35], v[6:7]
	;; [unrolled: 1-line block ×4, first 2 shown]
	s_add_i32 s17, s17, 32
	v_fma_f64 v[8:9], -v[20:21], v[28:29], v[8:9]
	v_fma_f64 v[6:7], -v[20:21], v[36:37], v[6:7]
	;; [unrolled: 1-line block ×3, first 2 shown]
	s_waitcnt lgkmcnt(0)
	v_fma_f64 v[2:3], -v[20:21], v[52:53], v[2:3]
	v_add_u32_e32 v14, 0x200, v14
	s_cmp_ge_u32 s16, s8
	v_fma_f64 v[8:9], -v[22:23], v[30:31], v[8:9]
	v_fma_f64 v[6:7], -v[22:23], v[38:39], v[6:7]
	;; [unrolled: 1-line block ×4, first 2 shown]
	s_cbranch_scc0 .LBB86_85
.LBB86_86:                              ;   in Loop: Header=BB86_83 Depth=1
	s_mul_i32 s16, s8, 0x88
	v_add_u32_e32 v14, 0x800, v10
	v_add_u32_e32 v10, 0x800, v13
	v_mov_b32_e32 v13, s16
	ds_read2_b64 v[16:19], v13 offset1:34
	s_add_i32 s13, s13, s8
	s_lshl_b32 s13, s13, 3
	v_mov_b32_e32 v13, s13
	s_add_i32 s12, s12, s8
	s_waitcnt lgkmcnt(0)
	v_div_scale_f64 v[20:21], s[16:17], v[16:17], v[16:17], v[8:9]
	v_rcp_f64_e32 v[22:23], v[20:21]
	v_div_scale_f64 v[24:25], vcc, v[8:9], v[16:17], v[8:9]
	s_lshl_b32 s12, s12, 3
	v_fma_f64 v[26:27], -v[20:21], v[22:23], 1.0
	v_fmac_f64_e32 v[22:23], v[22:23], v[26:27]
	v_fma_f64 v[26:27], -v[20:21], v[22:23], 1.0
	v_fmac_f64_e32 v[22:23], v[22:23], v[26:27]
	v_mul_f64 v[26:27], v[24:25], v[22:23]
	v_fma_f64 v[20:21], -v[20:21], v[26:27], v[24:25]
	v_div_fmas_f64 v[20:21], v[20:21], v[22:23], v[26:27]
	v_div_fixup_f64 v[8:9], v[20:21], v[16:17], v[8:9]
	ds_read_b128 v[20:23], v13
	v_mov_b32_e32 v13, s12
	ds_read_b128 v[24:27], v13
	s_add_i32 s9, s9, s8
	s_lshl_b32 s9, s9, 3
	s_waitcnt lgkmcnt(1)
	v_fma_f64 v[6:7], -v[8:9], v[20:21], v[6:7]
	v_div_scale_f64 v[16:17], s[12:13], v[22:23], v[22:23], v[6:7]
	v_rcp_f64_e32 v[20:21], v[16:17]
	s_waitcnt lgkmcnt(0)
	v_fma_f64 v[4:5], -v[8:9], v[24:25], v[4:5]
	v_mov_b32_e32 v13, s9
	v_add_u32_e32 v11, 0x800, v11
	v_fma_f64 v[28:29], -v[16:17], v[20:21], 1.0
	v_fmac_f64_e32 v[20:21], v[20:21], v[28:29]
	v_fma_f64 v[28:29], -v[16:17], v[20:21], 1.0
	v_fmac_f64_e32 v[20:21], v[20:21], v[28:29]
	v_div_scale_f64 v[28:29], vcc, v[6:7], v[22:23], v[6:7]
	v_mul_f64 v[30:31], v[28:29], v[20:21]
	v_fma_f64 v[16:17], -v[16:17], v[30:31], v[28:29]
	v_add_u32_e32 v12, 0x800, v12
	s_nop 0
	v_div_fmas_f64 v[16:17], v[16:17], v[20:21], v[30:31]
	v_div_fixup_f64 v[16:17], v[16:17], v[22:23], v[6:7]
	v_fma_f64 v[24:25], -v[16:17], v[26:27], v[4:5]
	v_div_scale_f64 v[4:5], s[12:13], v[18:19], v[18:19], v[24:25]
	v_rcp_f64_e32 v[26:27], v[4:5]
	s_add_i32 s9, s8, 4
	s_add_i32 s8, s8, 7
	s_addk_i32 s1, 0x200
	v_fma_f64 v[6:7], -v[4:5], v[26:27], 1.0
	v_fmac_f64_e32 v[26:27], v[26:27], v[6:7]
	v_fma_f64 v[6:7], -v[4:5], v[26:27], 1.0
	v_fmac_f64_e32 v[26:27], v[26:27], v[6:7]
	v_div_scale_f64 v[6:7], vcc, v[24:25], v[18:19], v[24:25]
	v_mul_f64 v[28:29], v[6:7], v[26:27]
	v_fma_f64 v[30:31], -v[4:5], v[28:29], v[6:7]
	ds_read_b128 v[4:7], v13
	ds_read_b128 v[20:23], v13 offset:16
	v_div_fmas_f64 v[26:27], v[30:31], v[26:27], v[28:29]
	v_div_fixup_f64 v[18:19], v[26:27], v[18:19], v[24:25]
	ds_write_b64 v14, v[8:9]
	ds_write_b64 v11, v[16:17]
	;; [unrolled: 1-line block ×3, first 2 shown]
	s_waitcnt lgkmcnt(4)
	v_fma_f64 v[2:3], -v[8:9], v[4:5], v[2:3]
	v_fma_f64 v[2:3], -v[16:17], v[6:7], v[2:3]
	s_waitcnt lgkmcnt(3)
	v_fma_f64 v[2:3], -v[18:19], v[20:21], v[2:3]
	v_div_scale_f64 v[4:5], s[12:13], v[22:23], v[22:23], v[2:3]
	v_rcp_f64_e32 v[6:7], v[4:5]
	s_cmp_ge_i32 s8, s31
	v_fma_f64 v[8:9], -v[4:5], v[6:7], 1.0
	v_fmac_f64_e32 v[6:7], v[6:7], v[8:9]
	v_fma_f64 v[8:9], -v[4:5], v[6:7], 1.0
	v_fmac_f64_e32 v[6:7], v[6:7], v[8:9]
	v_div_scale_f64 v[8:9], vcc, v[2:3], v[22:23], v[2:3]
	v_mul_f64 v[12:13], v[8:9], v[6:7]
	v_fma_f64 v[4:5], -v[4:5], v[12:13], v[8:9]
	s_nop 1
	v_div_fmas_f64 v[4:5], v[4:5], v[6:7], v[12:13]
	v_div_fixup_f64 v[2:3], v[4:5], v[22:23], v[2:3]
	ds_write_b64 v10, v[2:3]
	s_cbranch_scc1 .LBB86_88
; %bb.87:                               ;   in Loop: Header=BB86_83 Depth=1
	s_mov_b32 s8, s9
	s_branch .LBB86_83
.LBB86_88:
	s_cmp_ge_i32 s9, s31
	s_cbranch_scc1 .LBB86_99
; %bb.89:
	v_mov_b32_e32 v1, 0x800
	s_add_i32 s1, s9, -1
	v_lshl_or_b32 v1, v0, 3, v1
	s_lshl_b32 s8, s9, 7
	s_mov_b32 s12, 0
	v_lshlrev_b32_e32 v4, 3, v0
	s_mov_b32 s13, s9
	s_branch .LBB86_91
.LBB86_90:                              ;   in Loop: Header=BB86_91 Depth=1
	s_mul_i32 s16, s9, 0x88
	v_mov_b32_e32 v6, s16
	ds_read_b64 v[6:7], v6
	v_add_u32_e32 v5, 0x800, v5
	s_add_i32 s9, s9, 1
	s_add_i32 s12, s12, 1
	s_addk_i32 s8, 0x80
	s_waitcnt lgkmcnt(0)
	v_div_scale_f64 v[8:9], s[16:17], v[6:7], v[6:7], v[2:3]
	v_rcp_f64_e32 v[10:11], v[8:9]
	v_div_scale_f64 v[12:13], vcc, v[2:3], v[6:7], v[2:3]
	s_cmp_ge_i32 s9, s31
	v_fma_f64 v[14:15], -v[8:9], v[10:11], 1.0
	v_fmac_f64_e32 v[10:11], v[10:11], v[14:15]
	v_fma_f64 v[14:15], -v[8:9], v[10:11], 1.0
	v_fmac_f64_e32 v[10:11], v[10:11], v[14:15]
	v_mul_f64 v[14:15], v[12:13], v[10:11]
	v_fma_f64 v[8:9], -v[8:9], v[14:15], v[12:13]
	v_div_fmas_f64 v[8:9], v[8:9], v[10:11], v[14:15]
	v_div_fixup_f64 v[2:3], v[8:9], v[6:7], v[2:3]
	ds_write_b64 v5, v[2:3]
	v_add_u16_e64 v2, s13, 1
	v_readfirstlane_b32 s13, v2
	s_cbranch_scc1 .LBB86_99
.LBB86_91:                              ; =>This Loop Header: Depth=1
                                        ;     Child Loop BB86_94 Depth 2
                                        ;     Child Loop BB86_98 Depth 2
	v_lshl_or_b32 v5, s9, 7, v4
	ds_read_b64 v[2:3], v5 offset:2048
	s_cmp_eq_u32 s9, 0
	s_cbranch_scc1 .LBB86_90
; %bb.92:                               ;   in Loop: Header=BB86_91 Depth=1
	s_add_i32 s16, s1, s12
	s_cmp_lt_u32 s16, 7
	s_cbranch_scc1 .LBB86_96
; %bb.93:                               ;   in Loop: Header=BB86_91 Depth=1
	s_and_b32 s16, s9, -8
	s_mov_b32 s17, 0
	s_mov_b32 s18, s8
	v_mov_b32_e32 v6, v1
.LBB86_94:                              ;   Parent Loop BB86_91 Depth=1
                                        ; =>  This Inner Loop Header: Depth=2
	ds_read2_b64 v[8:11], v6 offset1:16
	v_mov_b32_e32 v7, s18
	ds_read2_b64 v[12:15], v6 offset0:32 offset1:48
	ds_read2_b64 v[16:19], v6 offset0:64 offset1:80
	;; [unrolled: 1-line block ×3, first 2 shown]
	ds_read_b128 v[24:27], v7
	ds_read_b128 v[28:31], v7 offset:16
	ds_read_b128 v[32:35], v7 offset:32
	;; [unrolled: 1-line block ×3, first 2 shown]
	s_add_i32 s17, s17, 8
	s_waitcnt lgkmcnt(3)
	v_fma_f64 v[2:3], -v[8:9], v[24:25], v[2:3]
	v_fma_f64 v[2:3], -v[10:11], v[26:27], v[2:3]
	s_waitcnt lgkmcnt(2)
	v_fma_f64 v[2:3], -v[12:13], v[28:29], v[2:3]
	v_fma_f64 v[2:3], -v[14:15], v[30:31], v[2:3]
	;; [unrolled: 3-line block ×3, first 2 shown]
	s_add_i32 s18, s18, 64
	s_waitcnt lgkmcnt(0)
	v_fma_f64 v[2:3], -v[20:21], v[36:37], v[2:3]
	v_add_u32_e32 v6, 0x400, v6
	s_cmp_eq_u32 s16, s17
	v_fma_f64 v[2:3], -v[22:23], v[38:39], v[2:3]
	s_cbranch_scc0 .LBB86_94
; %bb.95:                               ;   in Loop: Header=BB86_91 Depth=1
	s_and_b32 s17, s9, 7
	s_cmp_eq_u32 s17, 0
	s_cbranch_scc0 .LBB86_97
	s_branch .LBB86_90
.LBB86_96:                              ;   in Loop: Header=BB86_91 Depth=1
	s_mov_b32 s16, 0
	s_and_b32 s17, s9, 7
	s_cmp_eq_u32 s17, 0
	s_cbranch_scc1 .LBB86_90
.LBB86_97:                              ;   in Loop: Header=BB86_91 Depth=1
	s_and_b32 s17, s13, 7
	s_lshl_b32 s18, s16, 3
	v_lshl_add_u32 v6, s16, 7, v1
.LBB86_98:                              ;   Parent Loop BB86_91 Depth=1
                                        ; =>  This Inner Loop Header: Depth=2
	s_add_i32 s16, s8, s18
	v_mov_b32_e32 v7, s16
	ds_read_b64 v[8:9], v6
	ds_read_b64 v[10:11], v7
	s_add_i32 s18, s18, 8
	s_add_i32 s17, s17, -1
	v_add_u32_e32 v6, 0x80, v6
	s_cmp_lg_u32 s17, 0
	s_waitcnt lgkmcnt(0)
	v_fma_f64 v[2:3], -v[8:9], v[10:11], v[2:3]
	s_cbranch_scc1 .LBB86_98
	s_branch .LBB86_90
.LBB86_99:
	s_and_saveexec_b64 s[8:9], s[10:11]
	s_cbranch_execz .LBB86_106
; %bb.100:
	s_ashr_i32 s1, s0, 31
	s_mov_b32 s16, 0
	s_cmp_lt_u32 s30, 4
	v_lshlrev_b32_e32 v4, 3, v0
	s_cbranch_scc1 .LBB86_103
; %bb.101:
	v_mov_b32_e32 v1, s25
	v_add_co_u32_e32 v2, vcc, s24, v4
	v_addc_co_u32_e32 v3, vcc, 0, v1, vcc
	v_mov_b32_e32 v1, 0x800
	s_mul_hi_i32 s19, s0, 24
	s_lshl_b64 s[8:9], s[0:1], 5
	s_lshl_b64 s[10:11], s[0:1], 4
	;; [unrolled: 1-line block ×3, first 2 shown]
	s_and_b32 s16, s30, 0x7ffffffc
	v_lshl_or_b32 v0, v0, 3, v1
	s_mul_i32 s17, s0, 24
	s_mov_b32 s18, 0
	v_mov_b32_e32 v1, s13
	v_mov_b32_e32 v5, s11
	;; [unrolled: 1-line block ×4, first 2 shown]
.LBB86_102:                             ; =>This Inner Loop Header: Depth=1
	v_add_co_u32_e32 v16, vcc, s12, v2
	ds_read2_b64 v[8:11], v0 offset1:16
	v_addc_co_u32_e32 v17, vcc, v3, v1, vcc
	v_add_co_u32_e32 v18, vcc, s10, v2
	ds_read2_b64 v[12:15], v0 offset0:32 offset1:48
	v_addc_co_u32_e32 v19, vcc, v3, v5, vcc
	v_add_co_u32_e32 v20, vcc, s17, v2
	v_addc_co_u32_e32 v21, vcc, v3, v6, vcc
	s_add_i32 s18, s18, 4
	s_waitcnt lgkmcnt(1)
	global_store_dwordx2 v[2:3], v[8:9], off
	global_store_dwordx2 v[16:17], v[10:11], off
	s_waitcnt lgkmcnt(0)
	global_store_dwordx2 v[18:19], v[12:13], off
	global_store_dwordx2 v[20:21], v[14:15], off
	v_add_co_u32_e32 v2, vcc, s8, v2
	v_add_u32_e32 v0, 0x200, v0
	s_cmp_lg_u32 s16, s18
	v_addc_co_u32_e32 v3, vcc, v3, v7, vcc
	s_cbranch_scc1 .LBB86_102
.LBB86_103:
	s_and_b32 s8, s30, 3
	s_cmp_eq_u32 s8, 0
	s_cbranch_scc1 .LBB86_106
; %bb.104:
	s_mul_hi_i32 s11, s0, s16
	s_mul_i32 s10, s0, s16
	s_lshl_b64 s[10:11], s[10:11], 3
	s_add_u32 s9, s14, s10
	s_addc_u32 s10, s15, s11
	s_add_u32 s6, s9, s6
	s_addc_u32 s7, s10, s7
	;; [unrolled: 2-line block ×4, first 2 shown]
	v_mov_b32_e32 v1, s3
	v_add_co_u32_e32 v0, vcc, s2, v4
	s_lshl_b64 s[0:1], s[0:1], 3
	v_lshl_or_b32 v2, s16, 7, v4
	v_addc_co_u32_e32 v1, vcc, 0, v1, vcc
	v_add_u32_e32 v2, 0x800, v2
	v_mov_b32_e32 v3, s1
.LBB86_105:                             ; =>This Inner Loop Header: Depth=1
	ds_read_b64 v[4:5], v2
	s_add_i32 s8, s8, -1
	v_add_u32_e32 v2, 0x80, v2
	s_cmp_lg_u32 s8, 0
	s_waitcnt lgkmcnt(0)
	global_store_dwordx2 v[0:1], v[4:5], off
	v_add_co_u32_e32 v0, vcc, s0, v0
	v_addc_co_u32_e32 v1, vcc, v1, v3, vcc
	s_cbranch_scc1 .LBB86_105
.LBB86_106:
	s_endpgm
	.section	.rodata,"a",@progbits
	.p2align	6, 0x0
	.amdhsa_kernel _ZL31rocblas_trsm_small_right_deviceIddPKdPdLi16EEv13rocblas_fill_18rocblas_operation_17rocblas_diagonal_iiT0_T1_lilT2_lili
		.amdhsa_group_segment_fixed_size 4096
		.amdhsa_private_segment_fixed_size 0
		.amdhsa_kernarg_size 360
		.amdhsa_user_sgpr_count 6
		.amdhsa_user_sgpr_private_segment_buffer 1
		.amdhsa_user_sgpr_dispatch_ptr 0
		.amdhsa_user_sgpr_queue_ptr 0
		.amdhsa_user_sgpr_kernarg_segment_ptr 1
		.amdhsa_user_sgpr_dispatch_id 0
		.amdhsa_user_sgpr_flat_scratch_init 0
		.amdhsa_user_sgpr_kernarg_preload_length 0
		.amdhsa_user_sgpr_kernarg_preload_offset 0
		.amdhsa_user_sgpr_private_segment_size 0
		.amdhsa_uses_dynamic_stack 0
		.amdhsa_system_sgpr_private_segment_wavefront_offset 0
		.amdhsa_system_sgpr_workgroup_id_x 1
		.amdhsa_system_sgpr_workgroup_id_y 0
		.amdhsa_system_sgpr_workgroup_id_z 1
		.amdhsa_system_sgpr_workgroup_info 0
		.amdhsa_system_vgpr_workitem_id 0
		.amdhsa_next_free_vgpr 56
		.amdhsa_next_free_sgpr 38
		.amdhsa_accum_offset 56
		.amdhsa_reserve_vcc 1
		.amdhsa_reserve_flat_scratch 0
		.amdhsa_float_round_mode_32 0
		.amdhsa_float_round_mode_16_64 0
		.amdhsa_float_denorm_mode_32 3
		.amdhsa_float_denorm_mode_16_64 3
		.amdhsa_dx10_clamp 1
		.amdhsa_ieee_mode 1
		.amdhsa_fp16_overflow 0
		.amdhsa_tg_split 0
		.amdhsa_exception_fp_ieee_invalid_op 0
		.amdhsa_exception_fp_denorm_src 0
		.amdhsa_exception_fp_ieee_div_zero 0
		.amdhsa_exception_fp_ieee_overflow 0
		.amdhsa_exception_fp_ieee_underflow 0
		.amdhsa_exception_fp_ieee_inexact 0
		.amdhsa_exception_int_div_zero 0
	.end_amdhsa_kernel
	.section	.text._ZL31rocblas_trsm_small_right_deviceIddPKdPdLi16EEv13rocblas_fill_18rocblas_operation_17rocblas_diagonal_iiT0_T1_lilT2_lili,"axG",@progbits,_ZL31rocblas_trsm_small_right_deviceIddPKdPdLi16EEv13rocblas_fill_18rocblas_operation_17rocblas_diagonal_iiT0_T1_lilT2_lili,comdat
.Lfunc_end86:
	.size	_ZL31rocblas_trsm_small_right_deviceIddPKdPdLi16EEv13rocblas_fill_18rocblas_operation_17rocblas_diagonal_iiT0_T1_lilT2_lili, .Lfunc_end86-_ZL31rocblas_trsm_small_right_deviceIddPKdPdLi16EEv13rocblas_fill_18rocblas_operation_17rocblas_diagonal_iiT0_T1_lilT2_lili
                                        ; -- End function
	.section	.AMDGPU.csdata,"",@progbits
; Kernel info:
; codeLenInByte = 7996
; NumSgprs: 42
; NumVgprs: 56
; NumAgprs: 0
; TotalNumVgprs: 56
; ScratchSize: 0
; MemoryBound: 0
; FloatMode: 240
; IeeeMode: 1
; LDSByteSize: 4096 bytes/workgroup (compile time only)
; SGPRBlocks: 5
; VGPRBlocks: 6
; NumSGPRsForWavesPerEU: 42
; NumVGPRsForWavesPerEU: 56
; AccumOffset: 56
; Occupancy: 4
; WaveLimiterHint : 0
; COMPUTE_PGM_RSRC2:SCRATCH_EN: 0
; COMPUTE_PGM_RSRC2:USER_SGPR: 6
; COMPUTE_PGM_RSRC2:TRAP_HANDLER: 0
; COMPUTE_PGM_RSRC2:TGID_X_EN: 1
; COMPUTE_PGM_RSRC2:TGID_Y_EN: 0
; COMPUTE_PGM_RSRC2:TGID_Z_EN: 1
; COMPUTE_PGM_RSRC2:TIDIG_COMP_CNT: 0
; COMPUTE_PGM_RSRC3_GFX90A:ACCUM_OFFSET: 13
; COMPUTE_PGM_RSRC3_GFX90A:TG_SPLIT: 0
	.section	.text._ZL38rocblas_trsm_small_left_device_sharedBILi20ELi20ELb0EddPKdPdEv13rocblas_fill_18rocblas_operation_17rocblas_diagonal_iiT3_T4_lilT5_lili,"axG",@progbits,_ZL38rocblas_trsm_small_left_device_sharedBILi20ELi20ELb0EddPKdPdEv13rocblas_fill_18rocblas_operation_17rocblas_diagonal_iiT3_T4_lilT5_lili,comdat
	.globl	_ZL38rocblas_trsm_small_left_device_sharedBILi20ELi20ELb0EddPKdPdEv13rocblas_fill_18rocblas_operation_17rocblas_diagonal_iiT3_T4_lilT5_lili ; -- Begin function _ZL38rocblas_trsm_small_left_device_sharedBILi20ELi20ELb0EddPKdPdEv13rocblas_fill_18rocblas_operation_17rocblas_diagonal_iiT3_T4_lilT5_lili
	.p2align	8
	.type	_ZL38rocblas_trsm_small_left_device_sharedBILi20ELi20ELb0EddPKdPdEv13rocblas_fill_18rocblas_operation_17rocblas_diagonal_iiT3_T4_lilT5_lili,@function
_ZL38rocblas_trsm_small_left_device_sharedBILi20ELi20ELb0EddPKdPdEv13rocblas_fill_18rocblas_operation_17rocblas_diagonal_iiT3_T4_lilT5_lili: ; @_ZL38rocblas_trsm_small_left_device_sharedBILi20ELi20ELb0EddPKdPdEv13rocblas_fill_18rocblas_operation_17rocblas_diagonal_iiT3_T4_lilT5_lili
; %bb.0:
	s_load_dwordx4 s[8:11], s[4:5], 0x4
	s_load_dwordx4 s[12:15], s[4:5], 0x18
	s_load_dwordx2 s[20:21], s[4:5], 0x28
	s_load_dwordx4 s[0:3], s[4:5], 0x38
	s_load_dwordx2 s[16:17], s[4:5], 0x48
	s_waitcnt lgkmcnt(0)
	s_min_i32 s30, s10, 20
	s_mov_b32 s33, 0
	s_add_i32 s31, s30, -1
	v_cmp_gt_i32_e32 vcc, s30, v0
	s_and_saveexec_b64 s[18:19], vcc
	s_cbranch_execz .LBB87_10
; %bb.1:
	s_load_dword s22, s[4:5], 0x30
	s_mul_i32 s1, s7, s1
	s_mul_hi_u32 s24, s7, s0
	s_add_i32 s1, s24, s1
	s_mul_i32 s0, s7, s0
	s_waitcnt lgkmcnt(0)
	s_ashr_i32 s23, s22, 31
	s_cmp_lt_u32 s31, 3
	s_cbranch_scc1 .LBB87_4
; %bb.2:
	s_lshl_b64 s[24:25], s[0:1], 3
	s_add_u32 s26, s14, s24
	s_addc_u32 s27, s15, s25
	s_lshl_b64 s[24:25], s[20:21], 3
	s_add_u32 s24, s26, s24
	s_addc_u32 s25, s27, s25
	v_lshlrev_b32_e32 v1, 3, v0
	v_mov_b32_e32 v3, s25
	v_add_co_u32_e32 v2, vcc, s24, v1
	s_mul_hi_i32 s36, s22, 24
	s_lshl_b64 s[24:25], s[22:23], 5
	s_lshl_b64 s[26:27], s[22:23], 4
	;; [unrolled: 1-line block ×3, first 2 shown]
	v_addc_co_u32_e32 v3, vcc, 0, v3, vcc
	s_and_b32 s33, s30, -4
	s_mul_i32 s34, s22, 24
	s_mov_b32 s35, 0
	v_mov_b32_e32 v4, s29
	v_mov_b32_e32 v5, s27
	;; [unrolled: 1-line block ×4, first 2 shown]
.LBB87_3:                               ; =>This Inner Loop Header: Depth=1
	v_add_co_u32_e32 v10, vcc, s28, v2
	v_addc_co_u32_e32 v11, vcc, v3, v4, vcc
	v_add_co_u32_e32 v12, vcc, s26, v2
	v_addc_co_u32_e32 v13, vcc, v3, v5, vcc
	v_add_co_u32_e32 v14, vcc, s34, v2
	global_load_dwordx2 v[8:9], v[2:3], off
	v_addc_co_u32_e32 v15, vcc, v3, v6, vcc
	global_load_dwordx2 v[16:17], v[10:11], off
	global_load_dwordx2 v[18:19], v[12:13], off
	;; [unrolled: 1-line block ×3, first 2 shown]
	s_add_i32 s35, s35, 4
	v_add_co_u32_e32 v2, vcc, s24, v2
	v_addc_co_u32_e32 v3, vcc, v3, v7, vcc
	s_cmp_eq_u32 s33, s35
	s_waitcnt vmcnt(2)
	ds_write2_b64 v1, v[8:9], v[16:17] offset1:20
	s_waitcnt vmcnt(0)
	ds_write2_b64 v1, v[18:19], v[20:21] offset0:40 offset1:60
	v_add_u32_e32 v1, 0x280, v1
	s_cbranch_scc0 .LBB87_3
.LBB87_4:
	s_and_b32 s24, s30, 3
	s_cmp_eq_u32 s24, 0
	s_cbranch_scc1 .LBB87_7
; %bb.5:
	s_mul_i32 s25, s33, 0xa0
	v_lshl_add_u32 v1, v0, 3, s25
	s_mul_i32 s25, s23, s33
	s_mul_hi_u32 s26, s22, s33
	s_add_i32 s27, s26, s25
	s_mul_i32 s26, s22, s33
	s_lshl_b64 s[0:1], s[0:1], 3
	s_lshl_b64 s[26:27], s[26:27], 3
	s_add_u32 s25, s0, s26
	s_addc_u32 s26, s1, s27
	s_lshl_b64 s[0:1], s[20:21], 3
	s_add_u32 s0, s25, s0
	s_addc_u32 s1, s26, s1
	s_add_u32 s0, s14, s0
	v_lshlrev_b32_e32 v2, 3, v0
	s_addc_u32 s1, s15, s1
	v_mov_b32_e32 v3, s1
	v_add_co_u32_e32 v2, vcc, s0, v2
	s_lshl_b64 s[0:1], s[22:23], 3
	v_addc_co_u32_e32 v3, vcc, 0, v3, vcc
	v_mov_b32_e32 v4, s1
.LBB87_6:                               ; =>This Inner Loop Header: Depth=1
	global_load_dwordx2 v[6:7], v[2:3], off
	v_add_co_u32_e32 v2, vcc, s0, v2
	s_add_i32 s24, s24, -1
	v_addc_co_u32_e32 v3, vcc, v3, v4, vcc
	s_cmp_lg_u32 s24, 0
	s_waitcnt vmcnt(0)
	ds_write_b64 v1, v[6:7]
	v_add_u32_e32 v1, 0xa0, v1
	s_cbranch_scc1 .LBB87_6
.LBB87_7:
	v_mul_u32_u24_e32 v1, 21, v0
	v_mov_b32_e32 v2, 0
	s_cmpk_lg_i32 s9, 0x84
	v_lshlrev_b32_e32 v1, 3, v1
	v_mov_b32_e32 v3, 0x3ff00000
	s_cbranch_scc0 .LBB87_9
; %bb.8:
	ds_read_b64 v[2:3], v1
	s_waitcnt lgkmcnt(0)
	v_div_scale_f64 v[4:5], s[0:1], v[2:3], v[2:3], 1.0
	v_rcp_f64_e32 v[6:7], v[4:5]
	v_div_scale_f64 v[8:9], vcc, 1.0, v[2:3], 1.0
	v_fma_f64 v[10:11], -v[4:5], v[6:7], 1.0
	v_fmac_f64_e32 v[6:7], v[6:7], v[10:11]
	v_fma_f64 v[10:11], -v[4:5], v[6:7], 1.0
	v_fmac_f64_e32 v[6:7], v[6:7], v[10:11]
	v_mul_f64 v[10:11], v[8:9], v[6:7]
	v_fma_f64 v[4:5], -v[4:5], v[10:11], v[8:9]
	v_div_fmas_f64 v[4:5], v[4:5], v[6:7], v[10:11]
	v_div_fixup_f64 v[2:3], v[4:5], v[2:3], 1.0
.LBB87_9:
	ds_write_b64 v1, v[2:3]
.LBB87_10:
	s_or_b64 exec, exec, s[18:19]
	s_load_dword s9, s[4:5], 0x68
	s_load_dword s22, s[4:5], 0x50
	s_load_dwordx2 s[0:1], s[4:5], 0x58
	s_mov_b32 s18, 0
	s_waitcnt lgkmcnt(0)
	s_ashr_i32 s23, s22, 31
	s_mul_i32 s1, s7, s1
	s_mul_hi_u32 s4, s7, s0
	s_mul_i32 s0, s7, s0
	s_add_i32 s1, s4, s1
	s_lshl_b64 s[0:1], s[0:1], 3
	s_add_u32 s7, s2, s0
	s_addc_u32 s14, s3, s1
	s_lshl_b64 s[4:5], s[16:17], 3
	s_add_u32 s16, s7, s4
	s_mul_i32 s7, s6, 0xffffffec
	s_addc_u32 s17, s14, s5
	s_add_i32 s9, s9, -1
	s_add_i32 s7, s7, s11
	s_cmp_ge_u32 s6, s9
	s_mul_i32 s6, s6, 20
	s_mul_hi_i32 s15, s22, s6
	s_mul_i32 s14, s22, s6
	s_cselect_b32 s9, s7, 20
	s_ashr_i32 s7, s6, 31
	s_lshl_b64 s[14:15], s[14:15], 3
	s_add_u32 s11, s16, s14
	s_addc_u32 s24, s17, s15
	s_cmp_gt_i32 s10, 0
	v_cmp_gt_i32_e32 vcc, s9, v0
	s_cselect_b64 s[14:15], -1, 0
	s_and_b64 s[14:15], vcc, s[14:15]
	s_and_saveexec_b64 s[16:17], s[14:15]
	s_cbranch_execz .LBB87_17
; %bb.11:
	s_cmp_lt_i32 s10, 8
	s_cbranch_scc1 .LBB87_14
; %bb.12:
	v_mad_i64_i32 v[2:3], s[18:19], s22, v0, 0
	v_lshlrev_b64 v[2:3], 3, v[2:3]
	v_mov_b32_e32 v4, s24
	v_add_co_u32_e32 v1, vcc, s11, v2
	v_addc_co_u32_e32 v2, vcc, v4, v3, vcc
	v_mov_b32_e32 v3, 0xc80
	s_lshl_b32 s9, s30, 3
	v_lshl_add_u32 v3, v0, 3, v3
	s_and_b32 s9, s9, 0xc0
	s_mov_b32 s18, 0
	s_mov_b64 s[20:21], 0
.LBB87_13:                              ; =>This Inner Loop Header: Depth=1
	v_mov_b32_e32 v4, s21
	v_add_co_u32_e32 v20, vcc, s20, v1
	v_addc_co_u32_e32 v21, vcc, v2, v4, vcc
	global_load_dwordx4 v[4:7], v[20:21], off
	global_load_dwordx4 v[8:11], v[20:21], off offset:16
	global_load_dwordx4 v[12:15], v[20:21], off offset:32
	;; [unrolled: 1-line block ×3, first 2 shown]
	s_add_i32 s18, s18, 8
	s_add_u32 s20, s20, 64
	s_addc_u32 s21, s21, 0
	s_cmp_lg_u32 s9, s20
	s_waitcnt vmcnt(3)
	v_mul_f64 v[4:5], v[4:5], s[12:13]
	v_mul_f64 v[6:7], v[6:7], s[12:13]
	s_waitcnt vmcnt(2)
	v_mul_f64 v[8:9], v[8:9], s[12:13]
	v_mul_f64 v[10:11], v[10:11], s[12:13]
	;; [unrolled: 3-line block ×4, first 2 shown]
	ds_write2_b64 v3, v[4:5], v[6:7] offset1:20
	ds_write2_b64 v3, v[8:9], v[10:11] offset0:40 offset1:60
	ds_write2_b64 v3, v[12:13], v[14:15] offset0:80 offset1:100
	;; [unrolled: 1-line block ×3, first 2 shown]
	v_add_u32_e32 v3, 0x500, v3
	s_cbranch_scc1 .LBB87_13
.LBB87_14:
	s_and_b32 s9, s30, 7
	s_cmp_eq_u32 s9, 0
	s_mov_b32 s19, 0
	s_cbranch_scc1 .LBB87_17
; %bb.15:
	s_mul_i32 s20, s18, 0xa0
	v_lshl_add_u32 v1, v0, 3, s20
	s_lshl_b64 s[20:21], s[6:7], 3
	s_lshl_b64 s[18:19], s[18:19], 3
	s_add_u32 s18, s2, s18
	s_addc_u32 s19, s3, s19
	s_add_u32 s18, s18, s4
	s_addc_u32 s19, s19, s5
	v_lshlrev_b32_e32 v2, 3, v0
	s_add_u32 s18, s18, s0
	v_mov_b32_e32 v3, s21
	v_add_co_u32_e32 v4, vcc, s20, v2
	s_addc_u32 s19, s19, s1
	v_addc_co_u32_e32 v5, vcc, 0, v3, vcc
	v_pk_mov_b32 v[2:3], s[18:19], s[18:19] op_sel:[0,1]
	v_mad_u64_u32 v[2:3], s[18:19], v4, s22, v[2:3]
	v_mul_lo_u32 v4, v4, s23
	v_mul_lo_u32 v5, v5, s22
	v_add_u32_e32 v1, 0xc80, v1
	v_add3_u32 v3, v5, v3, v4
.LBB87_16:                              ; =>This Inner Loop Header: Depth=1
	global_load_dwordx2 v[4:5], v[2:3], off
	v_add_co_u32_e32 v2, vcc, 8, v2
	s_add_i32 s9, s9, -1
	v_addc_co_u32_e32 v3, vcc, 0, v3, vcc
	s_cmp_lg_u32 s9, 0
	s_waitcnt vmcnt(0)
	v_mul_f64 v[4:5], v[4:5], s[12:13]
	ds_write_b64 v1, v[4:5]
	v_add_u32_e32 v1, 0xa0, v1
	s_cbranch_scc1 .LBB87_16
.LBB87_17:
	s_or_b64 exec, exec, s[16:17]
	s_cmpk_eq_i32 s8, 0x6f
	s_mov_b64 s[8:9], -1
	s_waitcnt lgkmcnt(0)
	; wave barrier
	s_waitcnt lgkmcnt(0)
	s_cbranch_scc1 .LBB87_42
; %bb.18:
	s_cmp_gt_i32 s10, 19
	s_cselect_b64 s[8:9], -1, 0
	s_mov_b32 s12, 0
	s_and_b64 vcc, exec, s[8:9]
	s_cbranch_vccz .LBB87_20
; %bb.19:
	v_lshlrev_b32_e32 v1, 3, v0
	v_add_u32_e32 v60, 0x800, v1
	v_add_u32_e32 v43, 0x1000, v1
	v_mov_b32_e32 v42, 0
	ds_read2_b64 v[26:29], v60 offset0:144 offset1:164
	ds_read2_b64 v[30:33], v60 offset0:184 offset1:204
	;; [unrolled: 1-line block ×8, first 2 shown]
	ds_read2_b64 v[44:47], v42 offset1:42
	ds_read2_b64 v[6:9], v43 offset0:208 offset1:228
	ds_read_b128 v[48:51], v42 offset:160
	ds_read_b128 v[52:55], v42 offset:320
	v_add_u32_e32 v1, 0x1400, v1
	s_waitcnt lgkmcnt(3)
	v_mul_f64 v[26:27], v[44:45], v[26:27]
	ds_read2_b64 v[2:5], v1 offset0:120 offset1:140
	s_waitcnt lgkmcnt(2)
	v_fma_f64 v[28:29], -v[26:27], v[48:49], v[28:29]
	v_mul_f64 v[28:29], v[50:51], v[28:29]
	ds_read_b128 v[48:51], v42 offset:480
	s_waitcnt lgkmcnt(2)
	v_fma_f64 v[30:31], -v[26:27], v[52:53], v[30:31]
	v_fma_f64 v[30:31], -v[28:29], v[54:55], v[30:31]
	ds_read_b128 v[52:55], v42 offset:496
	v_mul_f64 v[30:31], v[46:47], v[30:31]
	ds_read_b128 v[44:47], v42 offset:640
	s_waitcnt lgkmcnt(2)
	v_fma_f64 v[32:33], -v[26:27], v[48:49], v[32:33]
	v_fma_f64 v[32:33], -v[28:29], v[50:51], v[32:33]
	ds_read_b128 v[48:51], v42 offset:656
	s_waitcnt lgkmcnt(2)
	v_fma_f64 v[32:33], -v[30:31], v[52:53], v[32:33]
	v_mul_f64 v[32:33], v[54:55], v[32:33]
	ds_write2_b64 v60, v[26:27], v[28:29] offset0:144 offset1:164
	ds_write2_b64 v60, v[30:31], v[32:33] offset0:184 offset1:204
	s_waitcnt lgkmcnt(3)
	v_fma_f64 v[34:35], -v[26:27], v[44:45], v[34:35]
	v_fma_f64 v[34:35], -v[28:29], v[46:47], v[34:35]
	ds_read2_b64 v[44:47], v42 offset0:84 offset1:126
	ds_read_b128 v[52:55], v42 offset:800
	s_waitcnt lgkmcnt(4)
	v_fma_f64 v[34:35], -v[30:31], v[48:49], v[34:35]
	v_fma_f64 v[34:35], -v[32:33], v[50:51], v[34:35]
	ds_read_b128 v[48:51], v42 offset:816
	ds_read_b128 v[56:59], v42 offset:832
	s_waitcnt lgkmcnt(2)
	v_fma_f64 v[36:37], -v[26:27], v[52:53], v[36:37]
	v_fma_f64 v[36:37], -v[28:29], v[54:55], v[36:37]
	v_mul_f64 v[34:35], v[44:45], v[34:35]
	s_waitcnt lgkmcnt(1)
	v_fma_f64 v[36:37], -v[30:31], v[48:49], v[36:37]
	v_fma_f64 v[36:37], -v[32:33], v[50:51], v[36:37]
	ds_read_b128 v[48:51], v42 offset:960
	ds_read_b128 v[52:55], v42 offset:976
	s_waitcnt lgkmcnt(2)
	v_fma_f64 v[36:37], -v[34:35], v[56:57], v[36:37]
	v_mul_f64 v[36:37], v[58:59], v[36:37]
	ds_read_b128 v[56:59], v42 offset:992
	s_waitcnt lgkmcnt(2)
	v_fma_f64 v[38:39], -v[26:27], v[48:49], v[38:39]
	v_fma_f64 v[38:39], -v[28:29], v[50:51], v[38:39]
	ds_read_b128 v[48:51], v42 offset:1120
	s_waitcnt lgkmcnt(2)
	v_fma_f64 v[38:39], -v[30:31], v[52:53], v[38:39]
	v_fma_f64 v[38:39], -v[32:33], v[54:55], v[38:39]
	s_waitcnt lgkmcnt(1)
	v_fma_f64 v[38:39], -v[34:35], v[56:57], v[38:39]
	ds_read_b128 v[52:55], v42 offset:1136
	v_fma_f64 v[38:39], -v[36:37], v[58:59], v[38:39]
	v_mul_f64 v[38:39], v[46:47], v[38:39]
	ds_read_b128 v[44:47], v42 offset:1152
	s_waitcnt lgkmcnt(2)
	v_fma_f64 v[40:41], -v[26:27], v[48:49], v[40:41]
	v_fma_f64 v[40:41], -v[28:29], v[50:51], v[40:41]
	ds_read_b128 v[48:51], v42 offset:1168
	s_waitcnt lgkmcnt(2)
	v_fma_f64 v[40:41], -v[30:31], v[52:53], v[40:41]
	v_fma_f64 v[40:41], -v[32:33], v[54:55], v[40:41]
	s_waitcnt lgkmcnt(1)
	v_fma_f64 v[40:41], -v[34:35], v[44:45], v[40:41]
	v_fma_f64 v[40:41], -v[36:37], v[46:47], v[40:41]
	ds_read_b128 v[44:47], v42 offset:1280
	s_waitcnt lgkmcnt(1)
	v_fma_f64 v[40:41], -v[38:39], v[48:49], v[40:41]
	v_mul_f64 v[40:41], v[50:51], v[40:41]
	ds_read_b128 v[48:51], v42 offset:1296
	ds_read_b128 v[52:55], v42 offset:1312
	s_waitcnt lgkmcnt(2)
	v_fma_f64 v[22:23], -v[26:27], v[44:45], v[22:23]
	v_fma_f64 v[22:23], -v[28:29], v[46:47], v[22:23]
	ds_read_b128 v[44:47], v42 offset:1328
	s_waitcnt lgkmcnt(2)
	v_fma_f64 v[22:23], -v[30:31], v[48:49], v[22:23]
	v_fma_f64 v[22:23], -v[32:33], v[50:51], v[22:23]
	ds_write2_b64 v60, v[34:35], v[36:37] offset0:224 offset1:244
	ds_write2_b64 v43, v[38:39], v[40:41] offset0:8 offset1:28
	s_waitcnt lgkmcnt(3)
	v_fma_f64 v[22:23], -v[34:35], v[52:53], v[22:23]
	v_fma_f64 v[22:23], -v[36:37], v[54:55], v[22:23]
	ds_read2_b64 v[48:51], v42 offset0:168 offset1:210
	ds_read_b128 v[52:55], v42 offset:1440
	s_waitcnt lgkmcnt(4)
	v_fma_f64 v[22:23], -v[38:39], v[44:45], v[22:23]
	v_fma_f64 v[22:23], -v[40:41], v[46:47], v[22:23]
	ds_read_b128 v[44:47], v42 offset:1456
	ds_read_b128 v[56:59], v42 offset:1472
	s_waitcnt lgkmcnt(2)
	v_fma_f64 v[24:25], -v[26:27], v[52:53], v[24:25]
	v_fma_f64 v[24:25], -v[28:29], v[54:55], v[24:25]
	ds_read_b128 v[52:55], v42 offset:1488
	s_waitcnt lgkmcnt(2)
	v_fma_f64 v[24:25], -v[30:31], v[44:45], v[24:25]
	v_fma_f64 v[24:25], -v[32:33], v[46:47], v[24:25]
	;; [unrolled: 4-line block ×3, first 2 shown]
	s_waitcnt lgkmcnt(1)
	v_fma_f64 v[24:25], -v[38:39], v[52:53], v[24:25]
	v_mul_f64 v[22:23], v[48:49], v[22:23]
	v_fma_f64 v[24:25], -v[40:41], v[54:55], v[24:25]
	ds_read_b128 v[52:55], v42 offset:1600
	s_waitcnt lgkmcnt(1)
	v_fma_f64 v[24:25], -v[22:23], v[44:45], v[24:25]
	v_mul_f64 v[24:25], v[46:47], v[24:25]
	ds_read_b128 v[44:47], v42 offset:1616
	ds_read_b128 v[56:59], v42 offset:1632
	s_waitcnt lgkmcnt(2)
	v_fma_f64 v[18:19], -v[26:27], v[52:53], v[18:19]
	v_fma_f64 v[18:19], -v[28:29], v[54:55], v[18:19]
	ds_read_b128 v[52:55], v42 offset:1648
	s_waitcnt lgkmcnt(2)
	v_fma_f64 v[18:19], -v[30:31], v[44:45], v[18:19]
	v_fma_f64 v[18:19], -v[32:33], v[46:47], v[18:19]
	;; [unrolled: 4-line block ×3, first 2 shown]
	s_waitcnt lgkmcnt(1)
	v_fma_f64 v[18:19], -v[38:39], v[52:53], v[18:19]
	v_fma_f64 v[18:19], -v[40:41], v[54:55], v[18:19]
	ds_read_b128 v[52:55], v42 offset:1760
	s_waitcnt lgkmcnt(1)
	v_fma_f64 v[18:19], -v[22:23], v[44:45], v[18:19]
	v_fma_f64 v[18:19], -v[24:25], v[46:47], v[18:19]
	ds_read_b128 v[44:47], v42 offset:1776
	v_mul_f64 v[18:19], v[50:51], v[18:19]
	ds_read_b128 v[48:51], v42 offset:1792
	s_waitcnt lgkmcnt(2)
	v_fma_f64 v[20:21], -v[26:27], v[52:53], v[20:21]
	v_fma_f64 v[20:21], -v[28:29], v[54:55], v[20:21]
	ds_read_b128 v[52:55], v42 offset:1808
	s_waitcnt lgkmcnt(2)
	v_fma_f64 v[20:21], -v[30:31], v[44:45], v[20:21]
	v_fma_f64 v[20:21], -v[32:33], v[46:47], v[20:21]
	;; [unrolled: 4-line block ×4, first 2 shown]
	s_waitcnt lgkmcnt(1)
	v_fma_f64 v[20:21], -v[22:23], v[44:45], v[20:21]
	v_fma_f64 v[20:21], -v[24:25], v[46:47], v[20:21]
	ds_read_b128 v[44:47], v42 offset:1920
	s_waitcnt lgkmcnt(1)
	v_fma_f64 v[20:21], -v[18:19], v[48:49], v[20:21]
	v_mul_f64 v[20:21], v[50:51], v[20:21]
	ds_read_b128 v[48:51], v42 offset:1936
	ds_read_b128 v[52:55], v42 offset:1952
	s_waitcnt lgkmcnt(2)
	v_fma_f64 v[14:15], -v[26:27], v[44:45], v[14:15]
	v_fma_f64 v[14:15], -v[28:29], v[46:47], v[14:15]
	ds_read_b128 v[44:47], v42 offset:1968
	s_waitcnt lgkmcnt(2)
	v_fma_f64 v[14:15], -v[30:31], v[48:49], v[14:15]
	v_fma_f64 v[14:15], -v[32:33], v[50:51], v[14:15]
	;; [unrolled: 4-line block ×3, first 2 shown]
	s_waitcnt lgkmcnt(1)
	v_fma_f64 v[14:15], -v[38:39], v[44:45], v[14:15]
	v_fma_f64 v[14:15], -v[40:41], v[46:47], v[14:15]
	ds_read_b128 v[44:47], v42 offset:2000
	s_waitcnt lgkmcnt(1)
	v_fma_f64 v[14:15], -v[22:23], v[48:49], v[14:15]
	v_fma_f64 v[14:15], -v[24:25], v[50:51], v[14:15]
	s_movk_i32 s13, 0x400
	ds_write2_b64 v43, v[22:23], v[24:25] offset0:48 offset1:68
	s_waitcnt lgkmcnt(1)
	v_fma_f64 v[14:15], -v[18:19], v[44:45], v[14:15]
	v_fma_f64 v[14:15], -v[20:21], v[46:47], v[14:15]
	ds_read_b128 v[44:47], v42 offset:2080
	ds_write2_b64 v43, v[18:19], v[20:21] offset0:88 offset1:108
	v_add_u32_e64 v48, s13, 0
	ds_read2_b64 v[52:55], v48 offset0:124 offset1:166
	ds_read_b128 v[48:51], v42 offset:2096
	ds_read_b128 v[56:59], v42 offset:2112
	;; [unrolled: 1-line block ×3, first 2 shown]
	s_waitcnt lgkmcnt(5)
	v_fma_f64 v[16:17], -v[26:27], v[44:45], v[16:17]
	v_fma_f64 v[16:17], -v[28:29], v[46:47], v[16:17]
	s_waitcnt lgkmcnt(2)
	v_fma_f64 v[16:17], -v[30:31], v[48:49], v[16:17]
	v_fma_f64 v[16:17], -v[32:33], v[50:51], v[16:17]
	ds_read_b128 v[44:47], v42 offset:2144
	ds_read_b128 v[48:51], v42 offset:2160
	s_waitcnt lgkmcnt(3)
	v_fma_f64 v[16:17], -v[34:35], v[56:57], v[16:17]
	v_fma_f64 v[16:17], -v[36:37], v[58:59], v[16:17]
	s_waitcnt lgkmcnt(2)
	v_fma_f64 v[16:17], -v[38:39], v[60:61], v[16:17]
	v_fma_f64 v[16:17], -v[40:41], v[62:63], v[16:17]
	ds_read_b128 v[56:59], v42 offset:2176
	s_waitcnt lgkmcnt(2)
	v_fma_f64 v[16:17], -v[22:23], v[44:45], v[16:17]
	v_fma_f64 v[16:17], -v[24:25], v[46:47], v[16:17]
	ds_read_b128 v[44:47], v42 offset:2240
	s_waitcnt lgkmcnt(2)
	v_fma_f64 v[16:17], -v[18:19], v[48:49], v[16:17]
	v_mul_f64 v[14:15], v[52:53], v[14:15]
	v_fma_f64 v[16:17], -v[20:21], v[50:51], v[16:17]
	ds_read_b128 v[48:51], v42 offset:2256
	s_waitcnt lgkmcnt(2)
	v_fma_f64 v[16:17], -v[14:15], v[56:57], v[16:17]
	v_mul_f64 v[16:17], v[58:59], v[16:17]
	ds_read_b128 v[56:59], v42 offset:2272
	s_waitcnt lgkmcnt(2)
	v_fma_f64 v[10:11], -v[26:27], v[44:45], v[10:11]
	v_fma_f64 v[10:11], -v[28:29], v[46:47], v[10:11]
	ds_read_b128 v[44:47], v42 offset:2288
	s_waitcnt lgkmcnt(2)
	v_fma_f64 v[10:11], -v[30:31], v[48:49], v[10:11]
	v_fma_f64 v[10:11], -v[32:33], v[50:51], v[10:11]
	;; [unrolled: 4-line block ×5, first 2 shown]
	s_waitcnt lgkmcnt(1)
	v_fma_f64 v[10:11], -v[18:19], v[56:57], v[10:11]
	v_fma_f64 v[10:11], -v[20:21], v[58:59], v[10:11]
	s_waitcnt lgkmcnt(0)
	v_fma_f64 v[10:11], -v[14:15], v[44:45], v[10:11]
	v_fma_f64 v[10:11], -v[16:17], v[46:47], v[10:11]
	ds_read_b128 v[44:47], v42 offset:2400
	ds_write2_b64 v43, v[14:15], v[16:17] offset0:128 offset1:148
	v_mul_f64 v[10:11], v[54:55], v[10:11]
	ds_read_b128 v[48:51], v42 offset:2416
	ds_read_b128 v[52:55], v42 offset:2432
	;; [unrolled: 1-line block ×3, first 2 shown]
	s_movk_i32 s12, 0x800
	s_waitcnt lgkmcnt(4)
	v_fma_f64 v[12:13], -v[26:27], v[44:45], v[12:13]
	v_fma_f64 v[12:13], -v[28:29], v[46:47], v[12:13]
	s_waitcnt lgkmcnt(2)
	v_fma_f64 v[12:13], -v[30:31], v[48:49], v[12:13]
	v_fma_f64 v[12:13], -v[32:33], v[50:51], v[12:13]
	ds_read_b128 v[44:47], v42 offset:2464
	ds_read_b128 v[48:51], v42 offset:2480
	s_waitcnt lgkmcnt(3)
	v_fma_f64 v[12:13], -v[34:35], v[52:53], v[12:13]
	v_fma_f64 v[12:13], -v[36:37], v[54:55], v[12:13]
	s_waitcnt lgkmcnt(2)
	v_fma_f64 v[12:13], -v[38:39], v[56:57], v[12:13]
	v_fma_f64 v[12:13], -v[40:41], v[58:59], v[12:13]
	ds_read_b128 v[52:55], v42 offset:2496
	s_waitcnt lgkmcnt(2)
	v_fma_f64 v[12:13], -v[22:23], v[44:45], v[12:13]
	v_fma_f64 v[12:13], -v[24:25], v[46:47], v[12:13]
	ds_read_b128 v[44:47], v42 offset:2512
	s_waitcnt lgkmcnt(2)
	v_fma_f64 v[12:13], -v[18:19], v[48:49], v[12:13]
	v_fma_f64 v[12:13], -v[20:21], v[50:51], v[12:13]
	s_waitcnt lgkmcnt(1)
	v_fma_f64 v[12:13], -v[14:15], v[52:53], v[12:13]
	v_fma_f64 v[12:13], -v[16:17], v[54:55], v[12:13]
	ds_read_b128 v[48:51], v42 offset:2560
	s_waitcnt lgkmcnt(1)
	v_fma_f64 v[12:13], -v[10:11], v[44:45], v[12:13]
	v_mul_f64 v[12:13], v[46:47], v[12:13]
	ds_read_b128 v[44:47], v42 offset:2576
	ds_read_b128 v[52:55], v42 offset:2592
	s_waitcnt lgkmcnt(2)
	v_fma_f64 v[6:7], -v[26:27], v[48:49], v[6:7]
	v_fma_f64 v[6:7], -v[28:29], v[50:51], v[6:7]
	ds_read_b128 v[48:51], v42 offset:2608
	s_waitcnt lgkmcnt(2)
	v_fma_f64 v[6:7], -v[30:31], v[44:45], v[6:7]
	v_fma_f64 v[6:7], -v[32:33], v[46:47], v[6:7]
	;; [unrolled: 4-line block ×6, first 2 shown]
	s_waitcnt lgkmcnt(1)
	v_fma_f64 v[6:7], -v[14:15], v[48:49], v[6:7]
	v_fma_f64 v[6:7], -v[16:17], v[50:51], v[6:7]
	s_waitcnt lgkmcnt(0)
	v_fma_f64 v[6:7], -v[10:11], v[44:45], v[6:7]
	v_fma_f64 v[6:7], -v[12:13], v[46:47], v[6:7]
	ds_read_b128 v[44:47], v42 offset:2720
	ds_write2_b64 v43, v[10:11], v[12:13] offset0:168 offset1:188
	v_add_u32_e64 v48, s12, 0
	ds_read2_b64 v[52:55], v48 offset0:80 offset1:122
	ds_read_b128 v[48:51], v42 offset:2736
	ds_read_b128 v[56:59], v42 offset:2752
	;; [unrolled: 1-line block ×3, first 2 shown]
	s_waitcnt lgkmcnt(5)
	v_fma_f64 v[8:9], -v[26:27], v[44:45], v[8:9]
	v_fma_f64 v[8:9], -v[28:29], v[46:47], v[8:9]
	s_waitcnt lgkmcnt(2)
	v_fma_f64 v[8:9], -v[30:31], v[48:49], v[8:9]
	v_fma_f64 v[8:9], -v[32:33], v[50:51], v[8:9]
	ds_read_b128 v[44:47], v42 offset:2784
	ds_read_b128 v[48:51], v42 offset:2800
	s_waitcnt lgkmcnt(3)
	v_fma_f64 v[8:9], -v[34:35], v[56:57], v[8:9]
	v_fma_f64 v[8:9], -v[36:37], v[58:59], v[8:9]
	s_waitcnt lgkmcnt(2)
	v_fma_f64 v[8:9], -v[38:39], v[60:61], v[8:9]
	v_fma_f64 v[8:9], -v[40:41], v[62:63], v[8:9]
	ds_read_b128 v[56:59], v42 offset:2816
	s_waitcnt lgkmcnt(2)
	v_fma_f64 v[8:9], -v[22:23], v[44:45], v[8:9]
	v_fma_f64 v[8:9], -v[24:25], v[46:47], v[8:9]
	ds_read_b128 v[44:47], v42 offset:2832
	;; [unrolled: 4-line block ×3, first 2 shown]
	s_waitcnt lgkmcnt(2)
	v_fma_f64 v[8:9], -v[14:15], v[56:57], v[8:9]
	v_fma_f64 v[8:9], -v[16:17], v[58:59], v[8:9]
	s_waitcnt lgkmcnt(1)
	v_fma_f64 v[8:9], -v[10:11], v[44:45], v[8:9]
	v_mul_f64 v[6:7], v[52:53], v[6:7]
	v_fma_f64 v[8:9], -v[12:13], v[46:47], v[8:9]
	ds_read_b128 v[44:47], v42 offset:2880
	s_waitcnt lgkmcnt(1)
	v_fma_f64 v[8:9], -v[6:7], v[48:49], v[8:9]
	v_mul_f64 v[8:9], v[50:51], v[8:9]
	ds_read_b128 v[48:51], v42 offset:2896
	ds_read_b128 v[56:59], v42 offset:2912
	s_waitcnt lgkmcnt(2)
	v_fma_f64 v[2:3], -v[26:27], v[44:45], v[2:3]
	v_fma_f64 v[2:3], -v[28:29], v[46:47], v[2:3]
	ds_read_b128 v[44:47], v42 offset:2928
	s_waitcnt lgkmcnt(2)
	v_fma_f64 v[2:3], -v[30:31], v[48:49], v[2:3]
	v_fma_f64 v[2:3], -v[32:33], v[50:51], v[2:3]
	;; [unrolled: 4-line block ×7, first 2 shown]
	s_waitcnt lgkmcnt(1)
	v_fma_f64 v[2:3], -v[10:11], v[48:49], v[2:3]
	ds_read_b128 v[44:47], v42 offset:3040
	v_fma_f64 v[2:3], -v[12:13], v[50:51], v[2:3]
	s_waitcnt lgkmcnt(1)
	v_fma_f64 v[2:3], -v[6:7], v[56:57], v[2:3]
	ds_write2_b64 v43, v[6:7], v[8:9] offset0:208 offset1:228
	v_fma_f64 v[2:3], -v[8:9], v[58:59], v[2:3]
	v_mul_f64 v[60:61], v[54:55], v[2:3]
	ds_read_b128 v[48:51], v42 offset:3056
	ds_read_b128 v[52:55], v42 offset:3072
	ds_read_b128 v[56:59], v42 offset:3088
	s_waitcnt lgkmcnt(4)
	v_fma_f64 v[2:3], -v[26:27], v[44:45], v[4:5]
	v_fma_f64 v[2:3], -v[28:29], v[46:47], v[2:3]
	s_waitcnt lgkmcnt(2)
	v_fma_f64 v[2:3], -v[30:31], v[48:49], v[2:3]
	v_fma_f64 v[2:3], -v[32:33], v[50:51], v[2:3]
	s_waitcnt lgkmcnt(1)
	v_fma_f64 v[26:27], -v[34:35], v[52:53], v[2:3]
	ds_read_b128 v[2:5], v42 offset:3104
	v_fma_f64 v[26:27], -v[36:37], v[54:55], v[26:27]
	s_waitcnt lgkmcnt(1)
	v_fma_f64 v[30:31], -v[38:39], v[56:57], v[26:27]
	ds_read_b128 v[26:29], v42 offset:3120
	;; [unrolled: 4-line block ×3, first 2 shown]
	v_fma_f64 v[2:3], -v[24:25], v[4:5], v[2:3]
	s_waitcnt lgkmcnt(1)
	v_fma_f64 v[2:3], -v[18:19], v[26:27], v[2:3]
	v_fma_f64 v[18:19], -v[20:21], v[28:29], v[2:3]
	ds_read_b128 v[2:5], v42 offset:3152
	s_waitcnt lgkmcnt(1)
	v_fma_f64 v[14:15], -v[14:15], v[30:31], v[18:19]
	ds_read_b128 v[18:21], v42 offset:3168
	v_fma_f64 v[22:23], -v[16:17], v[32:33], v[14:15]
	ds_read_b128 v[14:17], v42 offset:3184
	s_waitcnt lgkmcnt(2)
	v_fma_f64 v[2:3], -v[10:11], v[2:3], v[22:23]
	v_fma_f64 v[2:3], -v[12:13], v[4:5], v[2:3]
	s_waitcnt lgkmcnt(1)
	v_fma_f64 v[2:3], -v[6:7], v[18:19], v[2:3]
	v_fma_f64 v[2:3], -v[8:9], v[20:21], v[2:3]
	s_waitcnt lgkmcnt(0)
	v_fma_f64 v[2:3], -v[60:61], v[14:15], v[2:3]
	v_mul_f64 v[2:3], v[16:17], v[2:3]
	s_mov_b32 s12, 20
	ds_write2_b64 v1, v[60:61], v[2:3] offset0:120 offset1:140
.LBB87_20:
	s_cmp_lt_i32 s12, s30
	s_cbranch_scc0 .LBB87_41
; %bb.21:
	s_add_i32 s13, s12, 15
	s_cmp_ge_u32 s13, s30
	s_cbranch_scc1 .LBB87_30
; %bb.22:
	s_mul_i32 s16, s12, 20
	v_add_lshl_u32 v1, s16, v0, 3
	v_add_u32_e32 v2, 0x800, v1
	ds_read2_b64 v[26:29], v2 offset0:144 offset1:164
	ds_read2_b64 v[22:25], v2 offset0:184 offset1:204
	;; [unrolled: 1-line block ×3, first 2 shown]
	v_add_u32_e32 v2, 0x1000, v1
	ds_read2_b64 v[14:17], v2 offset0:8 offset1:28
	ds_read2_b64 v[10:13], v2 offset0:48 offset1:68
	;; [unrolled: 1-line block ×4, first 2 shown]
	s_add_i32 s17, s16, 0x12c
	v_add_lshl_u32 v30, s17, v0, 3
	ds_read_b64 v[40:41], v1 offset:5440
	ds_read_b64 v[38:39], v30 offset:3200
	s_andn2_b64 vcc, exec, s[8:9]
	s_cbranch_vccnz .LBB87_29
; %bb.23:
	s_max_u32 s9, s12, 1
	s_cmp_eq_u32 s9, 1
	s_cbranch_scc1 .LBB87_26
; %bb.24:
	v_mov_b32_e32 v30, 0xc80
	s_and_b32 s8, s9, 20
	s_mul_i32 s18, s12, 0xa0
	v_lshl_add_u32 v30, v0, 3, v30
	s_mov_b32 s19, 0
.LBB87_25:                              ; =>This Inner Loop Header: Depth=1
	v_mov_b32_e32 v31, s18
	ds_read2_b64 v[32:35], v30 offset1:20
	ds_read_b128 v[42:45], v31
	ds_read_b128 v[46:49], v31 offset:160
	ds_read_b128 v[50:53], v31 offset:320
	;; [unrolled: 1-line block ×15, first 2 shown]
	s_add_i32 s19, s19, 2
	s_add_i32 s18, s18, 16
	v_add_u32_e32 v30, 0x140, v30
	s_waitcnt lgkmcnt(14)
	v_fma_f64 v[26:27], -v[32:33], v[42:43], v[26:27]
	v_fma_f64 v[28:29], -v[32:33], v[46:47], v[28:29]
	s_waitcnt lgkmcnt(13)
	v_fma_f64 v[22:23], -v[32:33], v[50:51], v[22:23]
	s_waitcnt lgkmcnt(12)
	;; [unrolled: 2-line block ×14, first 2 shown]
	v_fma_f64 v[32:33], -v[32:33], v[102:103], v[38:39]
	s_cmp_lg_u32 s8, s19
	v_fma_f64 v[26:27], -v[34:35], v[44:45], v[26:27]
	v_fma_f64 v[28:29], -v[34:35], v[48:49], v[28:29]
	;; [unrolled: 1-line block ×16, first 2 shown]
	s_cbranch_scc1 .LBB87_25
	s_branch .LBB87_27
.LBB87_26:
	s_mov_b32 s8, 0
.LBB87_27:
	s_bitcmp0_b32 s9, 0
	s_cbranch_scc1 .LBB87_29
; %bb.28:
	s_mul_i32 s9, s8, 20
	v_add_lshl_u32 v42, s9, v0, 3
	s_add_i32 s9, s16, s8
	s_lshl_b32 s9, s9, 3
	v_mov_b32_e32 v52, s9
	ds_read2_b64 v[30:33], v52 offset1:20
	ds_read2_b64 v[34:37], v52 offset0:40 offset1:60
	ds_read_b64 v[46:47], v42 offset:3200
	s_add_i32 s17, s17, s8
	s_lshl_b32 s8, s17, 3
	v_mov_b32_e32 v42, s8
	ds_read_b64 v[48:49], v52 offset:2240
	ds_read_b64 v[50:51], v42
	ds_read2_b64 v[42:45], v52 offset0:80 offset1:100
	s_waitcnt lgkmcnt(3)
	v_fma_f64 v[26:27], -v[46:47], v[30:31], v[26:27]
	v_fma_f64 v[28:29], -v[46:47], v[32:33], v[28:29]
	ds_read2_b64 v[30:33], v52 offset0:120 offset1:140
	v_fma_f64 v[22:23], -v[46:47], v[34:35], v[22:23]
	s_waitcnt lgkmcnt(1)
	v_fma_f64 v[18:19], -v[46:47], v[42:43], v[18:19]
	v_add_u32_e32 v42, 0x400, v52
	v_fma_f64 v[24:25], -v[46:47], v[36:37], v[24:25]
	v_fma_f64 v[20:21], -v[46:47], v[44:45], v[20:21]
	s_waitcnt lgkmcnt(0)
	v_fma_f64 v[14:15], -v[46:47], v[30:31], v[14:15]
	ds_read2_b64 v[34:37], v52 offset0:160 offset1:180
	v_fma_f64 v[16:17], -v[46:47], v[32:33], v[16:17]
	ds_read2_b64 v[30:33], v52 offset0:200 offset1:220
	ds_read2_b64 v[42:45], v42 offset0:112 offset1:132
	v_fma_f64 v[40:41], -v[46:47], v[48:49], v[40:41]
	s_waitcnt lgkmcnt(2)
	v_fma_f64 v[10:11], -v[46:47], v[34:35], v[10:11]
	v_fma_f64 v[12:13], -v[46:47], v[36:37], v[12:13]
	s_waitcnt lgkmcnt(1)
	v_fma_f64 v[6:7], -v[46:47], v[30:31], v[6:7]
	;; [unrolled: 3-line block ×3, first 2 shown]
	v_fma_f64 v[4:5], -v[46:47], v[44:45], v[4:5]
	v_fma_f64 v[38:39], -v[46:47], v[50:51], v[38:39]
.LBB87_29:
	s_mul_i32 s8, s12, 0xa8
	s_add_i32 s9, s16, 20
	v_add_u32_e32 v42, 0xc80, v1
	v_mov_b32_e32 v1, s8
	s_add_i32 s8, s9, s12
	s_lshl_b32 s8, s8, 3
	ds_read2_b64 v[30:33], v1 offset1:42
	v_mov_b32_e32 v34, s8
	ds_read_b128 v[34:37], v34
	s_mul_i32 s13, s13, 20
	s_add_i32 s8, s12, 16
	s_waitcnt lgkmcnt(1)
	v_mul_f64 v[26:27], v[30:31], v[26:27]
	ds_write_b64 v42, v[26:27]
	s_waitcnt lgkmcnt(1)
	v_fma_f64 v[28:29], -v[26:27], v[34:35], v[28:29]
	v_add_lshl_u32 v34, s9, v0, 3
	s_add_i32 s9, s16, 40
	s_add_i32 s17, s9, s12
	v_mul_f64 v[28:29], v[36:37], v[28:29]
	s_lshl_b32 s17, s17, 3
	ds_write_b64 v34, v[28:29] offset:3200
	v_mov_b32_e32 v34, s17
	ds_read_b128 v[34:37], v34
	s_add_i32 s17, s16, 60
	s_add_i32 s18, s17, s12
	s_lshl_b32 s18, s18, 3
	v_mov_b32_e32 v46, s18
	ds_read_b128 v[42:45], v46
	s_waitcnt lgkmcnt(1)
	v_fma_f64 v[22:23], -v[26:27], v[34:35], v[22:23]
	v_fma_f64 v[22:23], -v[28:29], v[36:37], v[22:23]
	v_mul_f64 v[22:23], v[32:33], v[22:23]
	v_add_lshl_u32 v32, s9, v0, 3
	s_add_i32 s9, s16, 0x50
	s_add_i32 s18, s9, s12
	s_lshl_b32 s18, s18, 3
	s_waitcnt lgkmcnt(0)
	v_fma_f64 v[24:25], -v[26:27], v[42:43], v[24:25]
	v_mov_b32_e32 v36, s18
	ds_write_b64 v32, v[22:23] offset:3200
	v_fma_f64 v[24:25], -v[28:29], v[44:45], v[24:25]
	ds_read_b128 v[32:35], v46 offset:16
	ds_read_b128 v[42:45], v36
	ds_read_b64 v[30:31], v1 offset:2352
	s_waitcnt lgkmcnt(2)
	v_fma_f64 v[24:25], -v[22:23], v[32:33], v[24:25]
	s_waitcnt lgkmcnt(1)
	v_fma_f64 v[18:19], -v[26:27], v[42:43], v[18:19]
	v_add_lshl_u32 v32, s17, v0, 3
	v_fma_f64 v[18:19], -v[28:29], v[44:45], v[18:19]
	s_add_i32 s17, s16, 0x64
	ds_read_b128 v[42:45], v36 offset:16
	s_add_i32 s18, s17, s12
	v_mul_f64 v[24:25], v[34:35], v[24:25]
	s_lshl_b32 s18, s18, 3
	ds_write_b64 v32, v[24:25] offset:3200
	ds_read2_b64 v[32:35], v1 offset0:84 offset1:126
	v_mov_b32_e32 v36, s18
	ds_read_b128 v[46:49], v36
	s_waitcnt lgkmcnt(3)
	v_fma_f64 v[18:19], -v[22:23], v[42:43], v[18:19]
	v_fma_f64 v[18:19], -v[24:25], v[44:45], v[18:19]
	ds_read_b128 v[42:45], v36 offset:16
	s_waitcnt lgkmcnt(2)
	v_mul_f64 v[18:19], v[32:33], v[18:19]
	v_add_lshl_u32 v32, s9, v0, 3
	s_add_i32 s9, s16, 0x78
	s_waitcnt lgkmcnt(1)
	v_fma_f64 v[20:21], -v[26:27], v[46:47], v[20:21]
	s_add_i32 s18, s9, s12
	v_fma_f64 v[20:21], -v[28:29], v[48:49], v[20:21]
	s_lshl_b32 s18, s18, 3
	ds_write_b64 v32, v[18:19] offset:3200
	s_waitcnt lgkmcnt(1)
	v_fma_f64 v[20:21], -v[22:23], v[42:43], v[20:21]
	v_mov_b32_e32 v32, s18
	v_fma_f64 v[20:21], -v[24:25], v[44:45], v[20:21]
	ds_read_b128 v[42:45], v32
	ds_read_b128 v[46:49], v32 offset:16
	ds_read_b128 v[50:53], v36 offset:32
	v_add_lshl_u32 v33, s17, v0, 3
	s_add_i32 s17, s16, 0x8c
	s_waitcnt lgkmcnt(2)
	v_fma_f64 v[14:15], -v[26:27], v[42:43], v[14:15]
	v_fma_f64 v[14:15], -v[28:29], v[44:45], v[14:15]
	ds_read_b128 v[42:45], v32 offset:32
	s_add_i32 s18, s17, s12
	s_waitcnt lgkmcnt(2)
	v_fma_f64 v[14:15], -v[22:23], v[46:47], v[14:15]
	s_lshl_b32 s18, s18, 3
	s_waitcnt lgkmcnt(1)
	v_fma_f64 v[20:21], -v[18:19], v[50:51], v[20:21]
	v_fma_f64 v[14:15], -v[24:25], v[48:49], v[14:15]
	v_mov_b32_e32 v50, s18
	v_mul_f64 v[20:21], v[52:53], v[20:21]
	ds_read_b128 v[46:49], v50
	s_waitcnt lgkmcnt(1)
	v_fma_f64 v[14:15], -v[18:19], v[42:43], v[14:15]
	v_fma_f64 v[14:15], -v[20:21], v[44:45], v[14:15]
	ds_write_b64 v33, v[20:21] offset:3200
	v_mul_f64 v[36:37], v[34:35], v[14:15]
	ds_read_b128 v[32:35], v50 offset:16
	v_add_lshl_u32 v14, s9, v0, 3
	ds_read_b128 v[42:45], v50 offset:32
	ds_write_b64 v14, v[36:37] offset:3200
	s_waitcnt lgkmcnt(4)
	v_fma_f64 v[14:15], -v[26:27], v[46:47], v[16:17]
	s_add_i32 s9, s16, 0xa0
	v_fma_f64 v[14:15], -v[28:29], v[48:49], v[14:15]
	s_add_i32 s18, s9, s12
	s_waitcnt lgkmcnt(2)
	v_fma_f64 v[14:15], -v[22:23], v[32:33], v[14:15]
	s_lshl_b32 s18, s18, 3
	v_fma_f64 v[14:15], -v[24:25], v[34:35], v[14:15]
	v_mov_b32_e32 v52, s18
	ds_read_b128 v[32:35], v52
	s_waitcnt lgkmcnt(2)
	v_fma_f64 v[14:15], -v[18:19], v[42:43], v[14:15]
	v_fma_f64 v[42:43], -v[20:21], v[44:45], v[14:15]
	ds_read_b64 v[44:45], v50 offset:48
	ds_read_b128 v[46:49], v52 offset:32
	ds_read2_b64 v[14:17], v1 offset0:147 offset1:168
	s_waitcnt lgkmcnt(3)
	v_fma_f64 v[10:11], -v[26:27], v[32:33], v[10:11]
	v_fma_f64 v[10:11], -v[28:29], v[34:35], v[10:11]
	s_waitcnt lgkmcnt(2)
	v_fma_f64 v[42:43], -v[36:37], v[44:45], v[42:43]
	ds_read_b128 v[32:35], v52 offset:48
	s_waitcnt lgkmcnt(1)
	v_mul_f64 v[50:51], v[14:15], v[42:43]
	ds_read_b128 v[42:45], v52 offset:16
	v_add_lshl_u32 v14, s17, v0, 3
	s_add_i32 s17, s16, 0xb4
	s_add_i32 s18, s17, s12
	s_lshl_b32 s18, s18, 3
	s_waitcnt lgkmcnt(0)
	v_fma_f64 v[10:11], -v[22:23], v[42:43], v[10:11]
	v_fma_f64 v[10:11], -v[24:25], v[44:45], v[10:11]
	;; [unrolled: 1-line block ×4, first 2 shown]
	v_mov_b32_e32 v46, s18
	ds_read_b128 v[42:45], v46
	v_fma_f64 v[10:11], -v[36:37], v[32:33], v[10:11]
	v_fma_f64 v[10:11], -v[50:51], v[34:35], v[10:11]
	ds_write_b64 v14, v[50:51] offset:3200
	v_mul_f64 v[52:53], v[16:17], v[10:11]
	ds_read_b128 v[14:17], v46 offset:16
	v_add_lshl_u32 v10, s9, v0, 3
	ds_write_b64 v10, v[52:53] offset:3200
	s_waitcnt lgkmcnt(3)
	v_fma_f64 v[10:11], -v[26:27], v[42:43], v[12:13]
	ds_read_b128 v[32:35], v46 offset:32
	v_fma_f64 v[10:11], -v[28:29], v[44:45], v[10:11]
	s_waitcnt lgkmcnt(2)
	v_fma_f64 v[10:11], -v[22:23], v[14:15], v[10:11]
	v_fma_f64 v[14:15], -v[24:25], v[16:17], v[10:11]
	ds_read_b128 v[10:13], v46 offset:48
	s_waitcnt lgkmcnt(1)
	v_fma_f64 v[32:33], -v[18:19], v[32:33], v[14:15]
	ds_read_b64 v[42:43], v46 offset:64
	ds_read2_b64 v[14:17], v1 offset0:189 offset1:210
	v_fma_f64 v[32:33], -v[20:21], v[34:35], v[32:33]
	s_add_i32 s9, s16, 0xc8
	s_waitcnt lgkmcnt(2)
	v_fma_f64 v[10:11], -v[36:37], v[10:11], v[32:33]
	v_fma_f64 v[10:11], -v[50:51], v[12:13], v[10:11]
	s_waitcnt lgkmcnt(1)
	v_fma_f64 v[10:11], -v[52:53], v[42:43], v[10:11]
	s_waitcnt lgkmcnt(0)
	v_mul_f64 v[54:55], v[14:15], v[10:11]
	v_add_lshl_u32 v14, s17, v0, 3
	s_add_i32 s17, s9, s12
	s_lshl_b32 s17, s17, 3
	v_mov_b32_e32 v15, s17
	ds_read_b128 v[10:13], v15
	ds_write_b64 v14, v[54:55] offset:3200
	ds_read_b128 v[32:35], v15 offset:16
	ds_read_b128 v[42:45], v15 offset:32
	;; [unrolled: 1-line block ×3, first 2 shown]
	s_add_i32 s17, s16, 0xdc
	s_add_i32 s18, s17, s12
	s_waitcnt lgkmcnt(4)
	v_fma_f64 v[6:7], -v[26:27], v[10:11], v[6:7]
	v_fma_f64 v[6:7], -v[28:29], v[12:13], v[6:7]
	s_waitcnt lgkmcnt(2)
	v_fma_f64 v[6:7], -v[22:23], v[32:33], v[6:7]
	v_fma_f64 v[6:7], -v[24:25], v[34:35], v[6:7]
	ds_read_b128 v[10:13], v15 offset:64
	s_waitcnt lgkmcnt(2)
	v_fma_f64 v[6:7], -v[18:19], v[42:43], v[6:7]
	v_fma_f64 v[6:7], -v[20:21], v[44:45], v[6:7]
	s_lshl_b32 s18, s18, 3
	s_waitcnt lgkmcnt(1)
	v_fma_f64 v[6:7], -v[36:37], v[46:47], v[6:7]
	v_mov_b32_e32 v44, s18
	ds_read_b128 v[32:35], v44
	v_fma_f64 v[6:7], -v[50:51], v[48:49], v[6:7]
	s_waitcnt lgkmcnt(1)
	v_fma_f64 v[6:7], -v[52:53], v[10:11], v[6:7]
	v_fma_f64 v[6:7], -v[54:55], v[12:13], v[6:7]
	ds_read_b128 v[10:13], v44 offset:16
	v_mul_f64 v[42:43], v[16:17], v[6:7]
	ds_read_b128 v[14:17], v44 offset:32
	v_add_lshl_u32 v6, s9, v0, 3
	ds_write_b64 v6, v[42:43] offset:3200
	s_waitcnt lgkmcnt(3)
	v_fma_f64 v[6:7], -v[26:27], v[32:33], v[8:9]
	v_fma_f64 v[6:7], -v[28:29], v[34:35], v[6:7]
	s_waitcnt lgkmcnt(2)
	v_fma_f64 v[10:11], -v[22:23], v[10:11], v[6:7]
	ds_read_b128 v[6:9], v44 offset:48
	v_fma_f64 v[32:33], -v[24:25], v[12:13], v[10:11]
	ds_read_b128 v[10:13], v44 offset:64
	s_waitcnt lgkmcnt(3)
	v_fma_f64 v[14:15], -v[18:19], v[14:15], v[32:33]
	v_fma_f64 v[14:15], -v[20:21], v[16:17], v[14:15]
	s_waitcnt lgkmcnt(1)
	v_fma_f64 v[6:7], -v[36:37], v[6:7], v[14:15]
	v_fma_f64 v[6:7], -v[50:51], v[8:9], v[6:7]
	s_waitcnt lgkmcnt(0)
	v_fma_f64 v[6:7], -v[52:53], v[10:11], v[6:7]
	s_add_i32 s9, s16, 0xf0
	ds_read_b64 v[16:17], v44 offset:80
	v_fma_f64 v[14:15], -v[54:55], v[12:13], v[6:7]
	ds_read2_b64 v[6:9], v1 offset0:231 offset1:252
	s_add_i32 s18, s9, s12
	s_lshl_b32 s18, s18, 3
	v_mov_b32_e32 v1, s18
	ds_read_b128 v[10:13], v1
	s_waitcnt lgkmcnt(2)
	v_fma_f64 v[14:15], -v[42:43], v[16:17], v[14:15]
	s_waitcnt lgkmcnt(1)
	v_mul_f64 v[44:45], v[6:7], v[14:15]
	ds_read_b128 v[14:17], v1 offset:16
	ds_read_b128 v[32:35], v1 offset:32
	s_waitcnt lgkmcnt(2)
	v_fma_f64 v[2:3], -v[26:27], v[10:11], v[2:3]
	v_fma_f64 v[2:3], -v[28:29], v[12:13], v[2:3]
	ds_read_b128 v[10:13], v1 offset:48
	s_waitcnt lgkmcnt(2)
	v_fma_f64 v[2:3], -v[22:23], v[14:15], v[2:3]
	v_fma_f64 v[2:3], -v[24:25], v[16:17], v[2:3]
	s_waitcnt lgkmcnt(1)
	v_fma_f64 v[2:3], -v[18:19], v[32:33], v[2:3]
	ds_read_b128 v[14:17], v1 offset:64
	v_fma_f64 v[2:3], -v[20:21], v[34:35], v[2:3]
	s_waitcnt lgkmcnt(1)
	v_fma_f64 v[2:3], -v[36:37], v[10:11], v[2:3]
	v_fma_f64 v[2:3], -v[50:51], v[12:13], v[2:3]
	ds_read_b128 v[10:13], v1 offset:80
	s_addk_i32 s16, 0x104
	v_add_lshl_u32 v6, s17, v0, 3
	s_add_i32 s17, s16, s12
	s_waitcnt lgkmcnt(1)
	v_fma_f64 v[2:3], -v[52:53], v[14:15], v[2:3]
	s_lshl_b32 s17, s17, 3
	v_fma_f64 v[2:3], -v[54:55], v[16:17], v[2:3]
	v_mov_b32_e32 v1, s17
	ds_read_b128 v[14:17], v1
	s_waitcnt lgkmcnt(1)
	v_fma_f64 v[2:3], -v[42:43], v[10:11], v[2:3]
	v_fma_f64 v[2:3], -v[44:45], v[12:13], v[2:3]
	ds_write_b64 v6, v[44:45] offset:3200
	v_mul_f64 v[32:33], v[8:9], v[2:3]
	ds_read_b128 v[6:9], v1 offset:16
	v_add_lshl_u32 v2, s9, v0, 3
	ds_read_b128 v[10:13], v1 offset:32
	ds_write_b64 v2, v[32:33] offset:3200
	s_waitcnt lgkmcnt(4)
	v_fma_f64 v[2:3], -v[26:27], v[14:15], v[4:5]
	v_fma_f64 v[2:3], -v[28:29], v[16:17], v[2:3]
	s_waitcnt lgkmcnt(2)
	v_fma_f64 v[6:7], -v[22:23], v[6:7], v[2:3]
	ds_read_b128 v[2:5], v1 offset:48
	v_fma_f64 v[6:7], -v[24:25], v[8:9], v[6:7]
	s_waitcnt lgkmcnt(2)
	v_fma_f64 v[6:7], -v[18:19], v[10:11], v[6:7]
	v_fma_f64 v[10:11], -v[20:21], v[12:13], v[6:7]
	ds_read_b128 v[6:9], v1 offset:64
	s_waitcnt lgkmcnt(1)
	v_fma_f64 v[2:3], -v[36:37], v[2:3], v[10:11]
	ds_read_b128 v[10:13], v1 offset:80
	v_fma_f64 v[14:15], -v[50:51], v[4:5], v[2:3]
	ds_read_b128 v[2:5], v1 offset:96
	s_waitcnt lgkmcnt(2)
	v_fma_f64 v[6:7], -v[52:53], v[6:7], v[14:15]
	s_add_i32 s9, s12, 14
	v_fma_f64 v[6:7], -v[54:55], v[8:9], v[6:7]
	s_mul_i32 s9, s9, 20
	s_waitcnt lgkmcnt(1)
	v_fma_f64 v[6:7], -v[42:43], v[10:11], v[6:7]
	v_add_lshl_u32 v1, s16, v0, 3
	s_add_i32 s16, s9, s12
	v_fma_f64 v[6:7], -v[44:45], v[12:13], v[6:7]
	s_lshl_b32 s16, s16, 3
	s_waitcnt lgkmcnt(0)
	v_fma_f64 v[2:3], -v[32:33], v[2:3], v[6:7]
	v_mov_b32_e32 v46, s16
	v_mul_f64 v[34:35], v[4:5], v[2:3]
	ds_read_b128 v[2:5], v46
	ds_write_b64 v1, v[34:35] offset:3200
	ds_read_b128 v[6:9], v46 offset:16
	ds_read_b128 v[10:13], v46 offset:32
	;; [unrolled: 1-line block ×3, first 2 shown]
	s_add_i32 s12, s13, s12
	s_lshl_b32 s12, s12, 3
	s_waitcnt lgkmcnt(4)
	v_fma_f64 v[2:3], -v[26:27], v[2:3], v[40:41]
	v_fma_f64 v[2:3], -v[28:29], v[4:5], v[2:3]
	s_waitcnt lgkmcnt(2)
	v_fma_f64 v[2:3], -v[22:23], v[6:7], v[2:3]
	v_fma_f64 v[2:3], -v[24:25], v[8:9], v[2:3]
	s_waitcnt lgkmcnt(1)
	v_fma_f64 v[6:7], -v[18:19], v[10:11], v[2:3]
	ds_read_b128 v[2:5], v46 offset:64
	v_fma_f64 v[10:11], -v[20:21], v[12:13], v[6:7]
	ds_read_b128 v[6:9], v46 offset:80
	s_waitcnt lgkmcnt(2)
	v_fma_f64 v[10:11], -v[36:37], v[14:15], v[10:11]
	v_fma_f64 v[10:11], -v[50:51], v[16:17], v[10:11]
	s_waitcnt lgkmcnt(1)
	v_fma_f64 v[2:3], -v[52:53], v[2:3], v[10:11]
	v_fma_f64 v[2:3], -v[54:55], v[4:5], v[2:3]
	s_waitcnt lgkmcnt(0)
	v_fma_f64 v[2:3], -v[42:43], v[6:7], v[2:3]
	v_fma_f64 v[10:11], -v[44:45], v[8:9], v[2:3]
	ds_read_b128 v[2:5], v46 offset:96
	v_mov_b32_e32 v1, s12
	ds_read_b128 v[6:9], v1
	s_mov_b32 s12, s8
	s_waitcnt lgkmcnt(1)
	v_fma_f64 v[2:3], -v[32:33], v[2:3], v[10:11]
	v_fma_f64 v[2:3], -v[34:35], v[4:5], v[2:3]
	v_mul_f64 v[14:15], v[30:31], v[2:3]
	ds_read_b128 v[2:5], v1 offset:16
	v_add_lshl_u32 v10, s9, v0, 3
	ds_write_b64 v10, v[14:15] offset:3200
	ds_read_b128 v[10:13], v1 offset:32
	s_waitcnt lgkmcnt(3)
	v_fma_f64 v[6:7], -v[26:27], v[6:7], v[38:39]
	v_fma_f64 v[6:7], -v[28:29], v[8:9], v[6:7]
	s_waitcnt lgkmcnt(2)
	v_fma_f64 v[2:3], -v[22:23], v[2:3], v[6:7]
	ds_read_b128 v[6:9], v1 offset:48
	v_fma_f64 v[2:3], -v[24:25], v[4:5], v[2:3]
	s_waitcnt lgkmcnt(1)
	v_fma_f64 v[10:11], -v[18:19], v[10:11], v[2:3]
	ds_read_b128 v[2:5], v1 offset:64
	v_fma_f64 v[10:11], -v[20:21], v[12:13], v[10:11]
	s_waitcnt lgkmcnt(1)
	v_fma_f64 v[6:7], -v[36:37], v[6:7], v[10:11]
	v_fma_f64 v[10:11], -v[50:51], v[8:9], v[6:7]
	ds_read_b128 v[6:9], v1 offset:80
	s_waitcnt lgkmcnt(1)
	v_fma_f64 v[2:3], -v[52:53], v[2:3], v[10:11]
	ds_read_b128 v[10:13], v1 offset:96
	v_fma_f64 v[16:17], -v[54:55], v[4:5], v[2:3]
	ds_read_b128 v[2:5], v1 offset:112
	s_waitcnt lgkmcnt(2)
	v_fma_f64 v[6:7], -v[42:43], v[6:7], v[16:17]
	v_fma_f64 v[6:7], -v[44:45], v[8:9], v[6:7]
	s_waitcnt lgkmcnt(1)
	v_fma_f64 v[6:7], -v[32:33], v[10:11], v[6:7]
	v_fma_f64 v[6:7], -v[34:35], v[12:13], v[6:7]
	s_waitcnt lgkmcnt(0)
	v_fma_f64 v[2:3], -v[14:15], v[2:3], v[6:7]
	v_mul_f64 v[2:3], v[4:5], v[2:3]
	v_add_lshl_u32 v1, s13, v0, 3
	ds_write_b64 v1, v[2:3] offset:3200
.LBB87_30:
	s_cmp_ge_i32 s12, s30
	s_cbranch_scc1 .LBB87_41
; %bb.31:
	v_mov_b32_e32 v1, 0xc80
	s_add_i32 s8, s12, -1
	s_mul_i32 s9, s12, 0xa0
	v_lshl_add_u32 v1, v0, 3, v1
	s_mov_b32 s13, 0
	s_mov_b32 s16, s12
	s_branch .LBB87_33
.LBB87_32:                              ;   in Loop: Header=BB87_33 Depth=1
	s_mul_i32 s17, s12, 0xa8
	v_mov_b32_e32 v5, s17
	ds_read_b64 v[6:7], v5
	s_add_i32 s12, s12, 1
	s_add_i32 s13, s13, 1
	s_addk_i32 s9, 0xa0
	v_add_u16_e64 v5, s16, 1
	v_add_u32_e32 v4, 0xc80, v4
	s_waitcnt lgkmcnt(0)
	v_mul_f64 v[2:3], v[6:7], v[2:3]
	s_cmp_ge_i32 s12, s30
	v_readfirstlane_b32 s16, v5
	ds_write_b64 v4, v[2:3]
	s_cbranch_scc1 .LBB87_41
.LBB87_33:                              ; =>This Loop Header: Depth=1
                                        ;     Child Loop BB87_36 Depth 2
                                        ;     Child Loop BB87_40 Depth 2
	s_mul_i32 s17, s12, 20
	v_add_lshl_u32 v4, s17, v0, 3
	ds_read_b64 v[2:3], v4 offset:3200
	s_cmp_eq_u32 s12, 0
	s_cbranch_scc1 .LBB87_32
; %bb.34:                               ;   in Loop: Header=BB87_33 Depth=1
	s_add_i32 s17, s8, s13
	s_cmp_lt_u32 s17, 7
	s_cbranch_scc1 .LBB87_38
; %bb.35:                               ;   in Loop: Header=BB87_33 Depth=1
	s_and_b32 s17, s12, -8
	s_mov_b32 s18, 0
	v_mov_b32_e32 v5, v1
	s_mov_b32 s19, s9
.LBB87_36:                              ;   Parent Loop BB87_33 Depth=1
                                        ; =>  This Inner Loop Header: Depth=2
	ds_read2_b64 v[6:9], v5 offset1:20
	v_mov_b32_e32 v34, s19
	ds_read2_b64 v[10:13], v5 offset0:40 offset1:60
	ds_read2_b64 v[14:17], v5 offset0:80 offset1:100
	;; [unrolled: 1-line block ×3, first 2 shown]
	ds_read_b128 v[22:25], v34
	ds_read_b128 v[26:29], v34 offset:16
	ds_read_b128 v[30:33], v34 offset:32
	;; [unrolled: 1-line block ×3, first 2 shown]
	s_add_i32 s18, s18, 8
	s_waitcnt lgkmcnt(3)
	v_fma_f64 v[2:3], -v[6:7], v[22:23], v[2:3]
	v_fma_f64 v[2:3], -v[8:9], v[24:25], v[2:3]
	s_waitcnt lgkmcnt(2)
	v_fma_f64 v[2:3], -v[10:11], v[26:27], v[2:3]
	v_fma_f64 v[2:3], -v[12:13], v[28:29], v[2:3]
	;; [unrolled: 3-line block ×3, first 2 shown]
	s_add_i32 s19, s19, 64
	s_waitcnt lgkmcnt(0)
	v_fma_f64 v[2:3], -v[18:19], v[34:35], v[2:3]
	v_add_u32_e32 v5, 0x500, v5
	s_cmp_lg_u32 s17, s18
	v_fma_f64 v[2:3], -v[20:21], v[36:37], v[2:3]
	s_cbranch_scc1 .LBB87_36
; %bb.37:                               ;   in Loop: Header=BB87_33 Depth=1
	s_and_b32 s18, s12, 7
	s_cmp_eq_u32 s18, 0
	s_cbranch_scc0 .LBB87_39
	s_branch .LBB87_32
.LBB87_38:                              ;   in Loop: Header=BB87_33 Depth=1
	s_mov_b32 s17, 0
	s_and_b32 s18, s12, 7
	s_cmp_eq_u32 s18, 0
	s_cbranch_scc1 .LBB87_32
.LBB87_39:                              ;   in Loop: Header=BB87_33 Depth=1
	s_lshl_b32 s19, s17, 3
	s_mulk_i32 s17, 0xa0
	s_and_b32 s18, s16, 7
	v_add_u32_e32 v5, s17, v1
.LBB87_40:                              ;   Parent Loop BB87_33 Depth=1
                                        ; =>  This Inner Loop Header: Depth=2
	s_add_i32 s17, s9, s19
	v_mov_b32_e32 v8, s17
	ds_read_b64 v[6:7], v5
	ds_read_b64 v[8:9], v8
	s_add_i32 s19, s19, 8
	s_add_i32 s18, s18, -1
	v_add_u32_e32 v5, 0xa0, v5
	s_cmp_lg_u32 s18, 0
	s_waitcnt lgkmcnt(0)
	v_fma_f64 v[2:3], -v[6:7], v[8:9], v[2:3]
	s_cbranch_scc1 .LBB87_40
	s_branch .LBB87_32
.LBB87_41:
	s_mov_b64 s[8:9], 0
.LBB87_42:
	s_and_b64 vcc, exec, s[8:9]
	s_cbranch_vccz .LBB87_64
; %bb.43:
	s_cmp_gt_i32 s10, 19
	s_mov_b32 s8, s31
	s_cbranch_scc0 .LBB87_45
; %bb.44:
	s_mul_i32 s8, s31, 20
	s_mul_i32 s36, s30, 20
	v_add_lshl_u32 v1, s8, v0, 3
	s_sub_i32 s35, s36, 40
	s_sub_i32 s34, s36, 60
	s_add_i32 s33, s36, 0xffffffb0
	s_add_i32 s29, s36, 0xffffff9c
	;; [unrolled: 1-line block ×17, first 2 shown]
	s_sub_i32 s36, s36, 20
	v_add_lshl_u32 v52, s35, v0, 3
	v_add_lshl_u32 v56, s34, v0, 3
	;; [unrolled: 1-line block ×3, first 2 shown]
	ds_read_b64 v[12:13], v1 offset:3200
	ds_read_b64 v[18:19], v52 offset:3200
	;; [unrolled: 1-line block ×4, first 2 shown]
	v_add_lshl_u32 v1, s37, v0, 3
	s_add_i32 s37, s30, s36
	s_lshl_b32 s37, s37, 3
	s_add_i32 s37, s37, -16
	v_add_lshl_u32 v74, s29, v0, 3
	v_add_lshl_u32 v82, s25, v0, 3
	;; [unrolled: 1-line block ×4, first 2 shown]
	v_mov_b32_e32 v14, s37
	s_mul_i32 s37, s31, 0xa8
	v_add_lshl_u32 v75, s28, v0, 3
	v_add_lshl_u32 v76, s27, v0, 3
	v_add_lshl_u32 v77, s26, v0, 3
	ds_read_b64 v[60:61], v74 offset:3200
	ds_read_b64 v[70:71], v75 offset:3200
	ds_read_b64 v[72:73], v76 offset:3200
	ds_read_b64 v[28:29], v77 offset:3200
	v_add_lshl_u32 v49, s21, v0, 3
	v_add_lshl_u32 v47, s20, v0, 3
	v_add_lshl_u32 v45, s19, v0, 3
	ds_read_b64 v[30:31], v82 offset:3200
	ds_read_b64 v[32:33], v49 offset:3200
	ds_read_b64 v[34:35], v47 offset:3200
	ds_read_b64 v[36:37], v45 offset:3200
	;; [unrolled: 7-line block ×3, first 2 shown]
	v_add_lshl_u32 v51, s9, v0, 3
	v_add_lshl_u32 v50, s8, v0, 3
	ds_read_b64 v[4:5], v48 offset:3200
	ds_read_b64 v[2:3], v51 offset:3200
	;; [unrolled: 1-line block ×4, first 2 shown]
	ds_read2_b64 v[14:17], v14 offset1:1
	s_add_i32 s38, s37, 0xffffff58
	v_mov_b32_e32 v20, s38
	ds_read_b64 v[20:21], v20
	s_add_i32 s38, s30, -4
	s_add_i32 s39, s38, s36
	s_waitcnt lgkmcnt(1)
	v_mul_f64 v[12:13], v[16:17], v[12:13]
	v_add_lshl_u32 v16, s36, v0, 3
	s_lshl_b32 s39, s39, 3
	ds_write_b64 v16, v[12:13] offset:3200
	v_fma_f64 v[14:15], -v[12:13], v[14:15], v[18:19]
	v_mov_b32_e32 v16, s39
	s_waitcnt lgkmcnt(1)
	v_mul_f64 v[14:15], v[20:21], v[14:15]
	ds_read2_b64 v[18:21], v16 offset1:1
	s_add_i32 s39, s38, s35
	s_lshl_b32 s39, s39, 3
	v_mov_b32_e32 v16, s39
	ds_write_b64 v52, v[14:15] offset:3200
	ds_read2_b64 v[52:55], v16 offset1:1
	s_add_i32 s38, s38, s34
	s_lshl_b32 s38, s38, 3
	s_waitcnt lgkmcnt(2)
	v_fma_f64 v[16:17], -v[12:13], v[20:21], v[22:23]
	v_mov_b32_e32 v20, s38
	ds_read2_b64 v[20:23], v20 offset1:1
	s_add_i32 s38, s37, 0xfffffe08
	s_waitcnt lgkmcnt(1)
	v_fma_f64 v[16:17], -v[14:15], v[54:55], v[16:17]
	v_mov_b32_e32 v54, s38
	ds_read_b64 v[62:63], v54
	s_add_i32 s38, s30, -6
	s_add_i32 s39, s38, s36
	s_lshl_b32 s39, s39, 3
	s_waitcnt lgkmcnt(1)
	v_mul_f64 v[16:17], v[22:23], v[16:17]
	v_mov_b32_e32 v22, s39
	s_add_i32 s39, s38, s35
	ds_write_b64 v56, v[16:17] offset:3200
	v_fma_f64 v[18:19], -v[12:13], v[18:19], v[26:27]
	s_lshl_b32 s39, s39, 3
	v_fma_f64 v[18:19], -v[14:15], v[52:53], v[18:19]
	v_mov_b32_e32 v23, s39
	ds_read2_b64 v[52:55], v22 offset1:1
	ds_read2_b64 v[56:59], v23 offset1:1
	s_add_i32 s39, s38, s34
	s_lshl_b32 s39, s39, 3
	v_mov_b32_e32 v22, s39
	s_add_i32 s39, s38, s33
	v_fma_f64 v[18:19], -v[16:17], v[20:21], v[18:19]
	s_waitcnt lgkmcnt(1)
	v_fma_f64 v[20:21], -v[12:13], v[54:55], v[60:61]
	s_lshl_b32 s39, s39, 3
	s_add_i32 s38, s38, s29
	v_mul_f64 v[18:19], v[62:63], v[18:19]
	s_waitcnt lgkmcnt(0)
	v_fma_f64 v[20:21], -v[14:15], v[58:59], v[20:21]
	ds_read2_b64 v[58:61], v22 offset1:1
	v_mov_b32_e32 v22, s39
	s_lshl_b32 s38, s38, 3
	ds_write_b64 v64, v[18:19] offset:3200
	ds_read2_b64 v[62:65], v22 offset1:1
	v_mov_b32_e32 v22, s38
	ds_read2_b64 v[66:69], v22 offset1:1
	s_add_i32 s38, s37, 0xfffffcb8
	v_mov_b32_e32 v22, s38
	s_add_i32 s38, s30, -8
	s_add_i32 s39, s38, s36
	s_waitcnt lgkmcnt(3)
	v_fma_f64 v[20:21], -v[16:17], v[60:61], v[20:21]
	s_lshl_b32 s39, s39, 3
	s_waitcnt lgkmcnt(1)
	v_fma_f64 v[20:21], -v[18:19], v[64:65], v[20:21]
	v_fma_f64 v[26:27], -v[12:13], v[52:53], v[70:71]
	v_mov_b32_e32 v52, s39
	s_add_i32 s39, s38, s35
	s_waitcnt lgkmcnt(0)
	v_mul_f64 v[20:21], v[68:69], v[20:21]
	s_lshl_b32 s39, s39, 3
	ds_read_b64 v[22:23], v22
	ds_write_b64 v74, v[20:21] offset:3200
	v_fma_f64 v[26:27], -v[14:15], v[56:57], v[26:27]
	v_mov_b32_e32 v56, s39
	v_fma_f64 v[26:27], -v[16:17], v[58:59], v[26:27]
	ds_read2_b64 v[52:55], v52 offset1:1
	ds_read2_b64 v[56:59], v56 offset1:1
	v_fma_f64 v[26:27], -v[18:19], v[62:63], v[26:27]
	s_add_i32 s39, s38, s34
	v_fma_f64 v[26:27], -v[20:21], v[66:67], v[26:27]
	s_lshl_b32 s39, s39, 3
	s_waitcnt lgkmcnt(3)
	v_mul_f64 v[22:23], v[22:23], v[26:27]
	s_waitcnt lgkmcnt(1)
	v_fma_f64 v[26:27], -v[12:13], v[54:55], v[72:73]
	v_mov_b32_e32 v54, s39
	s_add_i32 s39, s38, s33
	s_lshl_b32 s39, s39, 3
	v_mov_b32_e32 v55, s39
	s_add_i32 s39, s38, s29
	ds_write_b64 v75, v[22:23] offset:3200
	s_lshl_b32 s39, s39, 3
	s_waitcnt lgkmcnt(1)
	v_fma_f64 v[26:27], -v[14:15], v[58:59], v[26:27]
	ds_read2_b64 v[58:61], v54 offset1:1
	ds_read2_b64 v[62:65], v55 offset1:1
	v_mov_b32_e32 v54, s39
	s_add_i32 s39, s38, s28
	s_lshl_b32 s39, s39, 3
	v_mov_b32_e32 v55, s39
	s_add_i32 s39, s37, 0xfffffc10
	ds_read2_b64 v[66:69], v54 offset1:1
	ds_read2_b64 v[70:73], v55 offset1:1
	v_mov_b32_e32 v54, s39
	ds_read_b64 v[54:55], v54
	s_add_i32 s38, s38, s27
	s_waitcnt lgkmcnt(4)
	v_fma_f64 v[26:27], -v[16:17], v[60:61], v[26:27]
	s_lshl_b32 s38, s38, 3
	s_waitcnt lgkmcnt(3)
	v_fma_f64 v[26:27], -v[18:19], v[64:65], v[26:27]
	v_fma_f64 v[28:29], -v[12:13], v[52:53], v[28:29]
	v_mov_b32_e32 v52, s38
	s_waitcnt lgkmcnt(2)
	v_fma_f64 v[26:27], -v[20:21], v[68:69], v[26:27]
	v_fma_f64 v[28:29], -v[14:15], v[56:57], v[28:29]
	ds_read_b64 v[52:53], v52
	s_waitcnt lgkmcnt(2)
	v_fma_f64 v[26:27], -v[22:23], v[72:73], v[26:27]
	v_fma_f64 v[28:29], -v[16:17], v[58:59], v[28:29]
	s_add_i32 s38, s37, 0xfffffb68
	s_waitcnt lgkmcnt(1)
	v_mul_f64 v[26:27], v[54:55], v[26:27]
	v_mov_b32_e32 v54, s38
	v_fma_f64 v[28:29], -v[18:19], v[62:63], v[28:29]
	s_add_i32 s38, s30, -10
	v_fma_f64 v[28:29], -v[20:21], v[66:67], v[28:29]
	s_add_i32 s39, s38, s36
	ds_read_b64 v[54:55], v54
	v_fma_f64 v[28:29], -v[22:23], v[70:71], v[28:29]
	s_lshl_b32 s39, s39, 3
	s_waitcnt lgkmcnt(1)
	v_fma_f64 v[28:29], -v[26:27], v[52:53], v[28:29]
	v_mov_b32_e32 v52, s39
	s_add_i32 s39, s38, s35
	s_lshl_b32 s39, s39, 3
	v_mov_b32_e32 v56, s39
	s_add_i32 s39, s38, s34
	ds_write_b64 v76, v[26:27] offset:3200
	s_lshl_b32 s39, s39, 3
	s_waitcnt lgkmcnt(1)
	v_mul_f64 v[28:29], v[54:55], v[28:29]
	ds_read2_b64 v[52:55], v52 offset1:1
	ds_read2_b64 v[56:59], v56 offset1:1
	v_mov_b32_e32 v60, s39
	s_add_i32 s39, s38, s33
	s_lshl_b32 s39, s39, 3
	v_mov_b32_e32 v64, s39
	s_add_i32 s39, s38, s29
	ds_read2_b64 v[60:63], v60 offset1:1
	ds_read2_b64 v[64:67], v64 offset1:1
	s_lshl_b32 s39, s39, 3
	s_waitcnt lgkmcnt(3)
	v_fma_f64 v[30:31], -v[12:13], v[54:55], v[30:31]
	v_mov_b32_e32 v54, s39
	s_add_i32 s39, s38, s28
	s_lshl_b32 s39, s39, 3
	s_waitcnt lgkmcnt(2)
	v_fma_f64 v[30:31], -v[14:15], v[58:59], v[30:31]
	v_mov_b32_e32 v55, s39
	s_add_i32 s39, s38, s27
	ds_write_b64 v77, v[28:29] offset:3200
	s_waitcnt lgkmcnt(2)
	v_fma_f64 v[30:31], -v[16:17], v[62:63], v[30:31]
	s_lshl_b32 s39, s39, 3
	s_waitcnt lgkmcnt(1)
	v_fma_f64 v[30:31], -v[18:19], v[66:67], v[30:31]
	ds_read2_b64 v[66:69], v54 offset1:1
	ds_read2_b64 v[70:73], v55 offset1:1
	v_mov_b32_e32 v54, s39
	s_add_i32 s39, s38, s26
	s_lshl_b32 s39, s39, 3
	v_mov_b32_e32 v55, s39
	s_add_i32 s39, s37, 0xfffffac0
	ds_read2_b64 v[74:77], v54 offset1:1
	ds_read2_b64 v[78:81], v55 offset1:1
	v_mov_b32_e32 v54, s39
	ds_read_b64 v[54:55], v54
	v_fma_f64 v[32:33], -v[12:13], v[52:53], v[32:33]
	s_add_i32 s38, s38, s25
	s_waitcnt lgkmcnt(4)
	v_fma_f64 v[30:31], -v[20:21], v[68:69], v[30:31]
	v_fma_f64 v[32:33], -v[14:15], v[56:57], v[32:33]
	s_lshl_b32 s38, s38, 3
	s_waitcnt lgkmcnt(3)
	v_fma_f64 v[30:31], -v[22:23], v[72:73], v[30:31]
	v_fma_f64 v[32:33], -v[16:17], v[60:61], v[32:33]
	v_mov_b32_e32 v52, s38
	s_waitcnt lgkmcnt(2)
	v_fma_f64 v[30:31], -v[26:27], v[76:77], v[30:31]
	v_fma_f64 v[32:33], -v[18:19], v[64:65], v[32:33]
	ds_read_b64 v[52:53], v52
	s_waitcnt lgkmcnt(2)
	v_fma_f64 v[30:31], -v[28:29], v[80:81], v[30:31]
	v_fma_f64 v[32:33], -v[20:21], v[66:67], v[32:33]
	s_addk_i32 s37, 0xfa18
	s_waitcnt lgkmcnt(1)
	v_mul_f64 v[30:31], v[54:55], v[30:31]
	v_mov_b32_e32 v54, s37
	v_fma_f64 v[32:33], -v[22:23], v[70:71], v[32:33]
	s_add_i32 s37, s30, -12
	v_fma_f64 v[32:33], -v[26:27], v[74:75], v[32:33]
	s_add_i32 s38, s37, s36
	v_fma_f64 v[32:33], -v[28:29], v[78:79], v[32:33]
	s_lshl_b32 s38, s38, 3
	ds_read_b64 v[54:55], v54
	s_waitcnt lgkmcnt(1)
	v_fma_f64 v[32:33], -v[30:31], v[52:53], v[32:33]
	v_mov_b32_e32 v52, s38
	s_add_i32 s38, s37, s35
	s_lshl_b32 s38, s38, 3
	v_mov_b32_e32 v56, s38
	s_add_i32 s38, s37, s34
	s_lshl_b32 s38, s38, 3
	ds_write_b64 v82, v[30:31] offset:3200
	v_mov_b32_e32 v60, s38
	s_add_i32 s38, s37, s33
	s_waitcnt lgkmcnt(1)
	v_mul_f64 v[32:33], v[54:55], v[32:33]
	ds_read2_b64 v[52:55], v52 offset1:1
	ds_read2_b64 v[56:59], v56 offset1:1
	s_lshl_b32 s38, s38, 3
	v_mov_b32_e32 v64, s38
	ds_read2_b64 v[60:63], v60 offset1:1
	ds_read2_b64 v[64:67], v64 offset1:1
	s_add_i32 s38, s37, s29
	s_waitcnt lgkmcnt(3)
	v_fma_f64 v[34:35], -v[12:13], v[54:55], v[34:35]
	s_lshl_b32 s38, s38, 3
	ds_write_b64 v49, v[32:33] offset:3200
	s_waitcnt lgkmcnt(3)
	v_fma_f64 v[34:35], -v[14:15], v[58:59], v[34:35]
	v_mov_b32_e32 v49, s38
	s_add_i32 s38, s37, s28
	s_waitcnt lgkmcnt(2)
	v_fma_f64 v[34:35], -v[16:17], v[62:63], v[34:35]
	s_lshl_b32 s38, s38, 3
	s_waitcnt lgkmcnt(1)
	v_fma_f64 v[34:35], -v[18:19], v[66:67], v[34:35]
	ds_read2_b64 v[66:69], v49 offset1:1
	v_mov_b32_e32 v49, s38
	s_add_i32 s38, s37, s27
	s_lshl_b32 s38, s38, 3
	ds_read2_b64 v[70:73], v49 offset1:1
	v_mov_b32_e32 v49, s38
	s_add_i32 s38, s37, s26
	s_lshl_b32 s38, s38, 3
	v_mov_b32_e32 v54, s38
	s_add_i32 s38, s37, s25
	s_lshl_b32 s38, s38, 3
	ds_read2_b64 v[74:77], v49 offset1:1
	ds_read2_b64 v[78:81], v54 offset1:1
	v_mov_b32_e32 v49, s38
	s_add_i32 s38, s37, s21
	s_lshl_b32 s38, s38, 3
	s_waitcnt lgkmcnt(3)
	v_fma_f64 v[34:35], -v[20:21], v[68:69], v[34:35]
	v_mov_b32_e32 v54, s38
	ds_read2_b64 v[82:85], v49 offset1:1
	ds_read2_b64 v[86:89], v54 offset1:1
	s_waitcnt lgkmcnt(4)
	v_fma_f64 v[34:35], -v[22:23], v[72:73], v[34:35]
	s_waitcnt lgkmcnt(3)
	v_fma_f64 v[34:35], -v[26:27], v[76:77], v[34:35]
	s_add_i32 s37, s37, s20
	s_waitcnt lgkmcnt(2)
	v_fma_f64 v[34:35], -v[28:29], v[80:81], v[34:35]
	s_lshl_b32 s37, s37, 3
	s_waitcnt lgkmcnt(1)
	v_fma_f64 v[34:35], -v[30:31], v[84:85], v[34:35]
	v_mov_b32_e32 v49, s37
	v_fma_f64 v[36:37], -v[12:13], v[52:53], v[36:37]
	s_waitcnt lgkmcnt(0)
	v_fma_f64 v[34:35], -v[32:33], v[88:89], v[34:35]
	ds_read2_b64 v[88:91], v49 offset1:1
	v_fma_f64 v[36:37], -v[14:15], v[56:57], v[36:37]
	s_mul_i32 s37, s30, 0xa8
	v_fma_f64 v[36:37], -v[16:17], v[60:61], v[36:37]
	s_add_i32 s38, s37, 0xfffff820
	v_fma_f64 v[36:37], -v[18:19], v[64:65], v[36:37]
	v_mov_b32_e32 v49, s38
	v_fma_f64 v[36:37], -v[20:21], v[66:67], v[36:37]
	s_add_i32 s38, s30, -14
	v_fma_f64 v[36:37], -v[22:23], v[70:71], v[36:37]
	s_add_i32 s39, s38, s36
	ds_read_b64 v[54:55], v49
	s_waitcnt lgkmcnt(1)
	v_mul_f64 v[34:35], v[90:91], v[34:35]
	v_fma_f64 v[36:37], -v[26:27], v[74:75], v[36:37]
	s_lshl_b32 s39, s39, 3
	ds_write_b64 v47, v[34:35] offset:3200
	v_fma_f64 v[36:37], -v[28:29], v[78:79], v[36:37]
	v_mov_b32_e32 v47, s39
	s_add_i32 s39, s38, s35
	v_fma_f64 v[36:37], -v[30:31], v[82:83], v[36:37]
	s_lshl_b32 s39, s39, 3
	v_fma_f64 v[36:37], -v[32:33], v[86:87], v[36:37]
	v_mov_b32_e32 v49, s39
	s_add_i32 s39, s38, s34
	v_fma_f64 v[36:37], -v[34:35], v[88:89], v[36:37]
	s_lshl_b32 s39, s39, 3
	s_waitcnt lgkmcnt(1)
	v_mul_f64 v[36:37], v[54:55], v[36:37]
	ds_read2_b64 v[52:55], v47 offset1:1
	ds_read2_b64 v[56:59], v49 offset1:1
	v_mov_b32_e32 v47, s39
	s_add_i32 s39, s38, s33
	s_lshl_b32 s39, s39, 3
	v_mov_b32_e32 v49, s39
	ds_read2_b64 v[60:63], v47 offset1:1
	ds_read2_b64 v[64:67], v49 offset1:1
	s_add_i32 s39, s38, s29
	s_waitcnt lgkmcnt(3)
	v_fma_f64 v[38:39], -v[12:13], v[54:55], v[38:39]
	s_lshl_b32 s39, s39, 3
	ds_write_b64 v45, v[36:37] offset:3200
	s_waitcnt lgkmcnt(3)
	v_fma_f64 v[38:39], -v[14:15], v[58:59], v[38:39]
	v_mov_b32_e32 v45, s39
	s_add_i32 s39, s38, s28
	s_waitcnt lgkmcnt(2)
	v_fma_f64 v[38:39], -v[16:17], v[62:63], v[38:39]
	s_lshl_b32 s39, s39, 3
	s_waitcnt lgkmcnt(1)
	v_fma_f64 v[38:39], -v[18:19], v[66:67], v[38:39]
	ds_read2_b64 v[66:69], v45 offset1:1
	v_mov_b32_e32 v45, s39
	s_add_i32 s39, s38, s27
	s_lshl_b32 s39, s39, 3
	ds_read2_b64 v[70:73], v45 offset1:1
	v_mov_b32_e32 v45, s39
	s_add_i32 s39, s38, s26
	s_lshl_b32 s39, s39, 3
	v_mov_b32_e32 v47, s39
	s_add_i32 s39, s38, s25
	s_lshl_b32 s39, s39, 3
	ds_read2_b64 v[74:77], v45 offset1:1
	ds_read2_b64 v[78:81], v47 offset1:1
	v_mov_b32_e32 v45, s39
	s_add_i32 s39, s38, s21
	s_lshl_b32 s39, s39, 3
	s_waitcnt lgkmcnt(3)
	v_fma_f64 v[38:39], -v[20:21], v[68:69], v[38:39]
	v_mov_b32_e32 v47, s39
	ds_read2_b64 v[82:85], v45 offset1:1
	ds_read2_b64 v[86:89], v47 offset1:1
	s_waitcnt lgkmcnt(4)
	v_fma_f64 v[38:39], -v[22:23], v[72:73], v[38:39]
	s_add_i32 s39, s38, s20
	v_fma_f64 v[40:41], -v[12:13], v[52:53], v[40:41]
	s_waitcnt lgkmcnt(3)
	v_fma_f64 v[38:39], -v[26:27], v[76:77], v[38:39]
	s_lshl_b32 s39, s39, 3
	v_fma_f64 v[40:41], -v[14:15], v[56:57], v[40:41]
	s_waitcnt lgkmcnt(2)
	v_fma_f64 v[38:39], -v[28:29], v[80:81], v[38:39]
	v_mov_b32_e32 v45, s39
	s_add_i32 s39, s38, s19
	v_fma_f64 v[40:41], -v[16:17], v[60:61], v[40:41]
	s_waitcnt lgkmcnt(1)
	v_fma_f64 v[38:39], -v[30:31], v[84:85], v[38:39]
	s_lshl_b32 s39, s39, 3
	s_add_i32 s38, s38, s18
	v_fma_f64 v[40:41], -v[18:19], v[64:65], v[40:41]
	s_waitcnt lgkmcnt(0)
	v_fma_f64 v[38:39], -v[32:33], v[88:89], v[38:39]
	ds_read2_b64 v[88:91], v45 offset1:1
	v_mov_b32_e32 v45, s39
	s_lshl_b32 s38, s38, 3
	v_fma_f64 v[40:41], -v[20:21], v[66:67], v[40:41]
	ds_read2_b64 v[92:95], v45 offset1:1
	v_mov_b32_e32 v45, s38
	v_fma_f64 v[40:41], -v[22:23], v[70:71], v[40:41]
	ds_read2_b64 v[96:99], v45 offset1:1
	s_add_i32 s38, s37, 0xfffff6d0
	v_fma_f64 v[40:41], -v[26:27], v[74:75], v[40:41]
	v_mov_b32_e32 v45, s38
	v_fma_f64 v[40:41], -v[28:29], v[78:79], v[40:41]
	ds_read_b64 v[54:55], v45
	v_fma_f64 v[40:41], -v[30:31], v[82:83], v[40:41]
	s_waitcnt lgkmcnt(3)
	v_fma_f64 v[38:39], -v[34:35], v[90:91], v[38:39]
	v_fma_f64 v[40:41], -v[32:33], v[86:87], v[40:41]
	s_waitcnt lgkmcnt(2)
	v_fma_f64 v[38:39], -v[36:37], v[94:95], v[38:39]
	v_fma_f64 v[40:41], -v[34:35], v[88:89], v[40:41]
	s_waitcnt lgkmcnt(1)
	v_mul_f64 v[38:39], v[98:99], v[38:39]
	v_fma_f64 v[40:41], -v[36:37], v[92:93], v[40:41]
	s_add_i32 s38, s30, -16
	v_fma_f64 v[40:41], -v[38:39], v[96:97], v[40:41]
	s_add_i32 s39, s38, s36
	s_waitcnt lgkmcnt(0)
	v_mul_f64 v[40:41], v[54:55], v[40:41]
	s_lshl_b32 s39, s39, 3
	ds_write_b64 v42, v[40:41] offset:3200
	v_mov_b32_e32 v42, s39
	s_add_i32 s39, s38, s35
	s_lshl_b32 s39, s39, 3
	ds_read2_b64 v[52:55], v42 offset1:1
	v_mov_b32_e32 v42, s39
	s_add_i32 s39, s38, s34
	s_lshl_b32 s39, s39, 3
	ds_read2_b64 v[56:59], v42 offset1:1
	v_mov_b32_e32 v42, s39
	s_add_i32 s39, s38, s33
	s_lshl_b32 s39, s39, 3
	ds_write_b64 v43, v[38:39] offset:3200
	v_mov_b32_e32 v43, s39
	s_add_i32 s39, s38, s29
	s_lshl_b32 s39, s39, 3
	ds_read2_b64 v[60:63], v42 offset1:1
	ds_read2_b64 v[64:67], v43 offset1:1
	v_mov_b32_e32 v42, s39
	s_add_i32 s39, s38, s28
	s_lshl_b32 s39, s39, 3
	s_waitcnt lgkmcnt(4)
	v_fma_f64 v[8:9], -v[12:13], v[54:55], v[8:9]
	v_mov_b32_e32 v43, s39
	ds_read2_b64 v[68:71], v42 offset1:1
	ds_read2_b64 v[72:75], v43 offset1:1
	s_waitcnt lgkmcnt(5)
	v_fma_f64 v[8:9], -v[14:15], v[58:59], v[8:9]
	s_add_i32 s39, s38, s27
	s_waitcnt lgkmcnt(3)
	v_fma_f64 v[8:9], -v[16:17], v[62:63], v[8:9]
	s_lshl_b32 s39, s39, 3
	s_waitcnt lgkmcnt(2)
	v_fma_f64 v[8:9], -v[18:19], v[66:67], v[8:9]
	v_mov_b32_e32 v42, s39
	s_add_i32 s39, s38, s26
	s_waitcnt lgkmcnt(1)
	v_fma_f64 v[8:9], -v[20:21], v[70:71], v[8:9]
	s_lshl_b32 s39, s39, 3
	s_waitcnt lgkmcnt(0)
	v_fma_f64 v[8:9], -v[22:23], v[74:75], v[8:9]
	ds_read2_b64 v[74:77], v42 offset1:1
	v_mov_b32_e32 v42, s39
	s_add_i32 s39, s38, s25
	s_lshl_b32 s39, s39, 3
	ds_read2_b64 v[78:81], v42 offset1:1
	v_mov_b32_e32 v42, s39
	s_add_i32 s39, s38, s21
	s_lshl_b32 s39, s39, 3
	v_mov_b32_e32 v43, s39
	s_add_i32 s39, s38, s20
	s_lshl_b32 s39, s39, 3
	ds_read2_b64 v[82:85], v42 offset1:1
	ds_read2_b64 v[86:89], v43 offset1:1
	v_mov_b32_e32 v42, s39
	s_add_i32 s39, s38, s19
	s_lshl_b32 s39, s39, 3
	s_waitcnt lgkmcnt(3)
	v_fma_f64 v[8:9], -v[26:27], v[76:77], v[8:9]
	v_mov_b32_e32 v43, s39
	ds_read2_b64 v[90:93], v42 offset1:1
	ds_read2_b64 v[94:97], v43 offset1:1
	v_fma_f64 v[6:7], -v[12:13], v[52:53], v[6:7]
	s_waitcnt lgkmcnt(4)
	v_fma_f64 v[8:9], -v[28:29], v[80:81], v[8:9]
	s_add_i32 s39, s38, s18
	v_fma_f64 v[6:7], -v[14:15], v[56:57], v[6:7]
	s_waitcnt lgkmcnt(3)
	v_fma_f64 v[8:9], -v[30:31], v[84:85], v[8:9]
	s_lshl_b32 s39, s39, 3
	v_fma_f64 v[6:7], -v[16:17], v[60:61], v[6:7]
	s_waitcnt lgkmcnt(2)
	v_fma_f64 v[8:9], -v[32:33], v[88:89], v[8:9]
	v_mov_b32_e32 v42, s39
	s_add_i32 s39, s38, s17
	v_fma_f64 v[6:7], -v[18:19], v[64:65], v[6:7]
	s_waitcnt lgkmcnt(1)
	v_fma_f64 v[8:9], -v[34:35], v[92:93], v[8:9]
	s_lshl_b32 s39, s39, 3
	s_add_i32 s38, s38, s16
	v_fma_f64 v[6:7], -v[20:21], v[68:69], v[6:7]
	s_waitcnt lgkmcnt(0)
	v_fma_f64 v[8:9], -v[36:37], v[96:97], v[8:9]
	ds_read2_b64 v[96:99], v42 offset1:1
	v_mov_b32_e32 v42, s39
	s_lshl_b32 s38, s38, 3
	v_fma_f64 v[6:7], -v[22:23], v[72:73], v[6:7]
	ds_read2_b64 v[100:103], v42 offset1:1
	v_mov_b32_e32 v42, s38
	v_fma_f64 v[6:7], -v[26:27], v[74:75], v[6:7]
	ds_read2_b64 v[104:107], v42 offset1:1
	v_fma_f64 v[6:7], -v[28:29], v[78:79], v[6:7]
	v_fma_f64 v[6:7], -v[30:31], v[82:83], v[6:7]
	s_add_i32 s38, s37, 0xfffff580
	v_fma_f64 v[6:7], -v[32:33], v[86:87], v[6:7]
	s_waitcnt lgkmcnt(2)
	v_fma_f64 v[8:9], -v[38:39], v[98:99], v[8:9]
	v_mov_b32_e32 v42, s38
	v_fma_f64 v[6:7], -v[34:35], v[90:91], v[6:7]
	s_sub_i32 s38, s30, 18
	s_waitcnt lgkmcnt(1)
	v_fma_f64 v[8:9], -v[40:41], v[102:103], v[8:9]
	v_fma_f64 v[6:7], -v[36:37], v[94:95], v[6:7]
	s_add_i32 s39, s38, s36
	ds_read_b64 v[58:59], v42
	s_waitcnt lgkmcnt(1)
	v_mul_f64 v[42:43], v[106:107], v[8:9]
	v_fma_f64 v[6:7], -v[38:39], v[96:97], v[6:7]
	s_lshl_b32 s39, s39, 3
	ds_write_b64 v44, v[42:43] offset:3200
	v_fma_f64 v[44:45], -v[40:41], v[100:101], v[6:7]
	v_mov_b32_e32 v6, s39
	s_add_i32 s39, s38, s35
	s_lshl_b32 s39, s39, 3
	v_mov_b32_e32 v47, s39
	ds_read2_b64 v[6:9], v6 offset1:1
	ds_read2_b64 v[52:55], v47 offset1:1
	s_add_i32 s39, s38, s34
	s_lshl_b32 s39, s39, 3
	v_fma_f64 v[44:45], -v[42:43], v[104:105], v[44:45]
	s_waitcnt lgkmcnt(1)
	v_fma_f64 v[4:5], -v[12:13], v[8:9], v[4:5]
	v_mov_b32_e32 v8, s39
	s_add_i32 s39, s38, s33
	s_lshl_b32 s39, s39, 3
	s_waitcnt lgkmcnt(0)
	v_fma_f64 v[4:5], -v[14:15], v[54:55], v[4:5]
	ds_read2_b64 v[54:57], v8 offset1:1
	v_mov_b32_e32 v8, s39
	s_add_i32 s39, s38, s29
	s_lshl_b32 s39, s39, 3
	v_mul_f64 v[44:45], v[58:59], v[44:45]
	ds_read2_b64 v[58:61], v8 offset1:1
	v_mov_b32_e32 v8, s39
	s_add_i32 s39, s38, s28
	s_lshl_b32 s39, s39, 3
	v_mov_b32_e32 v9, s39
	s_add_i32 s39, s38, s27
	ds_write_b64 v46, v[44:45] offset:3200
	s_lshl_b32 s39, s39, 3
	ds_read2_b64 v[62:65], v8 offset1:1
	ds_read2_b64 v[66:69], v9 offset1:1
	v_mov_b32_e32 v8, s39
	s_add_i32 s39, s38, s26
	s_lshl_b32 s39, s39, 3
	s_waitcnt lgkmcnt(4)
	v_fma_f64 v[4:5], -v[16:17], v[56:57], v[4:5]
	v_mov_b32_e32 v9, s39
	ds_read2_b64 v[70:73], v8 offset1:1
	ds_read2_b64 v[74:77], v9 offset1:1
	s_waitcnt lgkmcnt(5)
	v_fma_f64 v[4:5], -v[18:19], v[60:61], v[4:5]
	s_add_i32 s39, s38, s25
	s_waitcnt lgkmcnt(3)
	v_fma_f64 v[4:5], -v[20:21], v[64:65], v[4:5]
	s_lshl_b32 s39, s39, 3
	s_waitcnt lgkmcnt(2)
	v_fma_f64 v[4:5], -v[22:23], v[68:69], v[4:5]
	v_mov_b32_e32 v8, s39
	s_add_i32 s39, s38, s21
	s_waitcnt lgkmcnt(1)
	v_fma_f64 v[4:5], -v[26:27], v[72:73], v[4:5]
	s_lshl_b32 s39, s39, 3
	s_waitcnt lgkmcnt(0)
	v_fma_f64 v[4:5], -v[28:29], v[76:77], v[4:5]
	ds_read2_b64 v[76:79], v8 offset1:1
	v_mov_b32_e32 v8, s39
	s_add_i32 s39, s38, s20
	s_lshl_b32 s39, s39, 3
	ds_read2_b64 v[80:83], v8 offset1:1
	v_mov_b32_e32 v8, s39
	s_add_i32 s39, s38, s19
	s_lshl_b32 s39, s39, 3
	v_mov_b32_e32 v9, s39
	s_add_i32 s39, s38, s18
	s_lshl_b32 s39, s39, 3
	v_fma_f64 v[2:3], -v[12:13], v[6:7], v[2:3]
	ds_read2_b64 v[84:87], v8 offset1:1
	ds_read2_b64 v[88:91], v9 offset1:1
	v_mov_b32_e32 v8, s39
	s_add_i32 s39, s38, s17
	v_fma_f64 v[2:3], -v[14:15], v[52:53], v[2:3]
	s_lshl_b32 s39, s39, 3
	v_fma_f64 v[2:3], -v[16:17], v[54:55], v[2:3]
	s_waitcnt lgkmcnt(3)
	v_fma_f64 v[4:5], -v[30:31], v[78:79], v[4:5]
	v_mov_b32_e32 v9, s39
	ds_read2_b64 v[92:95], v8 offset1:1
	ds_read2_b64 v[96:99], v9 offset1:1
	v_fma_f64 v[2:3], -v[18:19], v[58:59], v[2:3]
	s_waitcnt lgkmcnt(4)
	v_fma_f64 v[4:5], -v[32:33], v[82:83], v[4:5]
	s_add_i32 s39, s38, s16
	v_fma_f64 v[2:3], -v[20:21], v[62:63], v[2:3]
	s_waitcnt lgkmcnt(3)
	v_fma_f64 v[4:5], -v[34:35], v[86:87], v[4:5]
	s_lshl_b32 s39, s39, 3
	v_fma_f64 v[2:3], -v[22:23], v[66:67], v[2:3]
	s_waitcnt lgkmcnt(2)
	v_fma_f64 v[4:5], -v[36:37], v[90:91], v[4:5]
	v_mov_b32_e32 v8, s39
	s_add_i32 s39, s38, s13
	v_fma_f64 v[2:3], -v[26:27], v[70:71], v[2:3]
	s_waitcnt lgkmcnt(1)
	v_fma_f64 v[4:5], -v[38:39], v[94:95], v[4:5]
	s_lshl_b32 s39, s39, 3
	s_add_i32 s38, s38, s12
	v_fma_f64 v[2:3], -v[28:29], v[74:75], v[2:3]
	s_waitcnt lgkmcnt(0)
	v_fma_f64 v[4:5], -v[40:41], v[98:99], v[4:5]
	ds_read2_b64 v[98:101], v8 offset1:1
	v_mov_b32_e32 v8, s39
	s_lshl_b32 s38, s38, 3
	v_fma_f64 v[2:3], -v[30:31], v[76:77], v[2:3]
	ds_read2_b64 v[102:105], v8 offset1:1
	v_mov_b32_e32 v8, s38
	v_fma_f64 v[2:3], -v[32:33], v[80:81], v[2:3]
	ds_read2_b64 v[106:109], v8 offset1:1
	s_add_i32 s38, s37, 0xfffff430
	v_fma_f64 v[2:3], -v[34:35], v[84:85], v[2:3]
	v_mov_b32_e32 v8, s38
	v_fma_f64 v[2:3], -v[36:37], v[88:89], v[2:3]
	ds_read_b64 v[8:9], v8
	v_fma_f64 v[2:3], -v[38:39], v[92:93], v[2:3]
	s_waitcnt lgkmcnt(3)
	v_fma_f64 v[4:5], -v[42:43], v[100:101], v[4:5]
	v_fma_f64 v[2:3], -v[40:41], v[96:97], v[2:3]
	s_waitcnt lgkmcnt(2)
	v_fma_f64 v[4:5], -v[44:45], v[104:105], v[4:5]
	v_fma_f64 v[2:3], -v[42:43], v[98:99], v[2:3]
	s_sub_i32 s38, s30, 20
	s_waitcnt lgkmcnt(1)
	v_mul_f64 v[46:47], v[108:109], v[4:5]
	v_fma_f64 v[2:3], -v[44:45], v[102:103], v[2:3]
	s_add_i32 s36, s38, s36
	s_add_i32 s35, s38, s35
	v_fma_f64 v[2:3], -v[46:47], v[106:107], v[2:3]
	s_lshl_b32 s36, s36, 3
	s_lshl_b32 s35, s35, 3
	ds_write_b64 v48, v[46:47] offset:3200
	s_waitcnt lgkmcnt(1)
	v_mul_f64 v[48:49], v[8:9], v[2:3]
	v_mov_b32_e32 v2, s36
	v_mov_b32_e32 v6, s35
	s_add_i32 s34, s38, s34
	s_add_i32 s33, s38, s33
	ds_read2_b64 v[2:5], v2 offset1:1
	ds_read2_b64 v[6:9], v6 offset1:1
	s_lshl_b32 s34, s34, 3
	s_lshl_b32 s33, s33, 3
	v_mov_b32_e32 v52, s34
	v_mov_b32_e32 v56, s33
	ds_read2_b64 v[52:55], v52 offset1:1
	ds_read2_b64 v[56:59], v56 offset1:1
	s_waitcnt lgkmcnt(3)
	v_fma_f64 v[4:5], -v[12:13], v[4:5], v[24:25]
	s_add_i32 s29, s38, s29
	s_waitcnt lgkmcnt(2)
	v_fma_f64 v[4:5], -v[14:15], v[8:9], v[4:5]
	s_lshl_b32 s29, s29, 3
	s_add_i32 s28, s38, s28
	s_waitcnt lgkmcnt(1)
	v_fma_f64 v[4:5], -v[16:17], v[54:55], v[4:5]
	v_mov_b32_e32 v8, s29
	s_lshl_b32 s28, s28, 3
	s_waitcnt lgkmcnt(0)
	v_fma_f64 v[4:5], -v[18:19], v[58:59], v[4:5]
	ds_read2_b64 v[58:61], v8 offset1:1
	v_mov_b32_e32 v8, s28
	s_add_i32 s27, s38, s27
	ds_read2_b64 v[62:65], v8 offset1:1
	s_lshl_b32 s27, s27, 3
	s_add_i32 s26, s38, s26
	ds_write_b64 v51, v[48:49] offset:3200
	v_mov_b32_e32 v8, s27
	s_lshl_b32 s26, s26, 3
	s_add_i32 s25, s38, s25
	v_mov_b32_e32 v9, s26
	ds_read2_b64 v[66:69], v8 offset1:1
	ds_read2_b64 v[70:73], v9 offset1:1
	s_lshl_b32 s25, s25, 3
	s_add_i32 s21, s38, s21
	v_mov_b32_e32 v8, s25
	s_lshl_b32 s21, s21, 3
	s_waitcnt lgkmcnt(4)
	v_fma_f64 v[4:5], -v[20:21], v[60:61], v[4:5]
	v_mov_b32_e32 v9, s21
	ds_read2_b64 v[74:77], v8 offset1:1
	ds_read2_b64 v[78:81], v9 offset1:1
	s_waitcnt lgkmcnt(5)
	v_fma_f64 v[4:5], -v[22:23], v[64:65], v[4:5]
	s_waitcnt lgkmcnt(3)
	v_fma_f64 v[4:5], -v[26:27], v[68:69], v[4:5]
	s_add_i32 s20, s38, s20
	s_waitcnt lgkmcnt(2)
	v_fma_f64 v[4:5], -v[28:29], v[72:73], v[4:5]
	s_lshl_b32 s20, s20, 3
	s_add_i32 s19, s38, s19
	s_waitcnt lgkmcnt(1)
	v_fma_f64 v[4:5], -v[30:31], v[76:77], v[4:5]
	v_mov_b32_e32 v8, s20
	s_lshl_b32 s19, s19, 3
	s_waitcnt lgkmcnt(0)
	v_fma_f64 v[4:5], -v[32:33], v[80:81], v[4:5]
	ds_read2_b64 v[80:83], v8 offset1:1
	v_mov_b32_e32 v8, s19
	s_add_i32 s18, s38, s18
	v_fma_f64 v[2:3], -v[12:13], v[2:3], v[10:11]
	ds_read2_b64 v[84:87], v8 offset1:1
	s_lshl_b32 s18, s18, 3
	s_add_i32 s17, s38, s17
	v_fma_f64 v[2:3], -v[14:15], v[6:7], v[2:3]
	v_mov_b32_e32 v8, s18
	s_lshl_b32 s17, s17, 3
	s_add_i32 s16, s38, s16
	v_fma_f64 v[2:3], -v[16:17], v[52:53], v[2:3]
	v_mov_b32_e32 v9, s17
	ds_read2_b64 v[88:91], v8 offset1:1
	ds_read2_b64 v[92:95], v9 offset1:1
	s_lshl_b32 s16, s16, 3
	s_add_i32 s13, s38, s13
	v_fma_f64 v[2:3], -v[18:19], v[56:57], v[2:3]
	v_mov_b32_e32 v8, s16
	s_lshl_b32 s13, s13, 3
	v_fma_f64 v[2:3], -v[20:21], v[58:59], v[2:3]
	s_waitcnt lgkmcnt(3)
	v_fma_f64 v[4:5], -v[34:35], v[82:83], v[4:5]
	v_mov_b32_e32 v9, s13
	ds_read2_b64 v[96:99], v8 offset1:1
	ds_read2_b64 v[100:103], v9 offset1:1
	v_fma_f64 v[2:3], -v[22:23], v[62:63], v[2:3]
	s_waitcnt lgkmcnt(4)
	v_fma_f64 v[4:5], -v[36:37], v[86:87], v[4:5]
	v_fma_f64 v[2:3], -v[26:27], v[66:67], v[2:3]
	s_waitcnt lgkmcnt(3)
	v_fma_f64 v[4:5], -v[38:39], v[90:91], v[4:5]
	s_add_i32 s12, s38, s12
	v_fma_f64 v[2:3], -v[28:29], v[70:71], v[2:3]
	s_waitcnt lgkmcnt(2)
	v_fma_f64 v[4:5], -v[40:41], v[94:95], v[4:5]
	s_lshl_b32 s12, s12, 3
	s_add_i32 s9, s38, s9
	v_fma_f64 v[2:3], -v[30:31], v[74:75], v[2:3]
	s_waitcnt lgkmcnt(1)
	v_fma_f64 v[4:5], -v[42:43], v[98:99], v[4:5]
	v_mov_b32_e32 v8, s12
	s_lshl_b32 s9, s9, 3
	s_add_i32 s38, s38, s8
	v_fma_f64 v[2:3], -v[32:33], v[78:79], v[2:3]
	s_waitcnt lgkmcnt(0)
	v_fma_f64 v[4:5], -v[44:45], v[102:103], v[4:5]
	ds_read2_b64 v[102:105], v8 offset1:1
	v_mov_b32_e32 v8, s9
	s_lshl_b32 s8, s38, 3
	v_fma_f64 v[2:3], -v[34:35], v[80:81], v[2:3]
	ds_read2_b64 v[106:109], v8 offset1:1
	v_mov_b32_e32 v8, s8
	v_fma_f64 v[2:3], -v[36:37], v[84:85], v[2:3]
	ds_read2_b64 v[110:113], v8 offset1:1
	s_add_i32 s8, s37, 0xfffff2e0
	v_fma_f64 v[2:3], -v[38:39], v[88:89], v[2:3]
	v_mov_b32_e32 v8, s8
	v_fma_f64 v[2:3], -v[40:41], v[92:93], v[2:3]
	ds_read_b64 v[8:9], v8
	v_fma_f64 v[2:3], -v[42:43], v[96:97], v[2:3]
	s_waitcnt lgkmcnt(3)
	v_fma_f64 v[4:5], -v[46:47], v[104:105], v[4:5]
	v_fma_f64 v[2:3], -v[44:45], v[100:101], v[2:3]
	s_waitcnt lgkmcnt(2)
	v_fma_f64 v[4:5], -v[48:49], v[108:109], v[4:5]
	v_fma_f64 v[2:3], -v[46:47], v[102:103], v[2:3]
	s_waitcnt lgkmcnt(1)
	v_mul_f64 v[4:5], v[112:113], v[4:5]
	v_fma_f64 v[2:3], -v[48:49], v[106:107], v[2:3]
	v_fma_f64 v[2:3], -v[4:5], v[110:111], v[2:3]
	s_waitcnt lgkmcnt(0)
	v_mul_f64 v[2:3], v[8:9], v[2:3]
	s_sub_i32 s8, s30, 21
	ds_write_b64 v50, v[4:5] offset:3200
	ds_write_b64 v1, v[2:3] offset:3200
.LBB87_45:
	s_cmp_gt_i32 s8, -1
	s_cbranch_scc0 .LBB87_64
; %bb.46:
	s_cmp_lt_u32 s8, 15
	s_cbranch_scc1 .LBB87_51
; %bb.47:
	s_mul_i32 s9, s8, 20
	v_add_lshl_u32 v1, s9, v0, 3
	s_sub_i32 s12, s9, 20
	v_add_u32_e32 v2, 0x800, v1
	v_add_lshl_u32 v34, s12, v0, 3
	ds_read_b64 v[30:31], v1 offset:3200
	ds_read_b64 v[32:33], v34 offset:3200
	ds_read2_b64 v[26:29], v2 offset0:84 offset1:104
	ds_read2_b64 v[22:25], v2 offset0:44 offset1:64
	;; [unrolled: 1-line block ×7, first 2 shown]
	s_cmp_le_i32 s31, s8
	s_cbranch_scc1 .LBB87_50
; %bb.48:
	s_mul_i32 s16, s30, 0xa0
	s_lshl_b32 s13, s8, 3
	s_add_i32 s13, s16, s13
	v_lshl_add_u32 v35, v0, 3, s16
	s_addk_i32 s13, 0xfee8
	v_add_u32_e32 v35, 0xbe0, v35
	s_mov_b32 s16, s31
.LBB87_49:                              ; =>This Inner Loop Header: Depth=1
	v_mov_b32_e32 v64, s13
	ds_read_b64 v[68:69], v35
	ds_read2_b64 v[36:39], v64 offset0:14 offset1:15
	ds_read2_b64 v[40:43], v64 offset0:12 offset1:13
	;; [unrolled: 1-line block ×7, first 2 shown]
	ds_read2_b64 v[64:67], v64 offset1:1
	s_add_i32 s16, s16, -1
	s_addk_i32 s13, 0xff60
	v_add_u32_e32 v35, 0xffffff60, v35
	s_cmp_gt_i32 s16, s8
	s_waitcnt lgkmcnt(7)
	v_fma_f64 v[30:31], -v[68:69], v[38:39], v[30:31]
	v_fma_f64 v[32:33], -v[68:69], v[36:37], v[32:33]
	s_waitcnt lgkmcnt(6)
	v_fma_f64 v[28:29], -v[68:69], v[42:43], v[28:29]
	v_fma_f64 v[26:27], -v[68:69], v[40:41], v[26:27]
	;; [unrolled: 3-line block ×8, first 2 shown]
	s_cbranch_scc1 .LBB87_49
.LBB87_50:
	s_mul_i32 s13, s8, 0xa8
	s_add_i32 s16, s13, -8
	v_add_u32_e32 v35, 0xc80, v1
	v_add_u32_e32 v1, 0xc80, v34
	v_mov_b32_e32 v34, s16
	ds_read2_b64 v[36:39], v34 offset1:1
	s_add_i32 s16, s13, 0xffffff58
	v_mov_b32_e32 v34, s16
	ds_read_b64 v[40:41], v34
	s_add_i32 s17, s8, -3
	s_waitcnt lgkmcnt(1)
	v_mul_f64 v[30:31], v[38:39], v[30:31]
	v_fma_f64 v[32:33], -v[30:31], v[36:37], v[32:33]
	s_add_i32 s16, s17, s9
	s_waitcnt lgkmcnt(0)
	v_mul_f64 v[32:33], v[40:41], v[32:33]
	s_lshl_b32 s16, s16, 3
	ds_write_b64 v1, v[32:33]
	v_mov_b32_e32 v1, s16
	s_add_i32 s16, s17, s12
	s_lshl_b32 s16, s16, 3
	ds_write_b64 v35, v[30:31]
	ds_read2_b64 v[34:37], v1 offset1:1
	v_mov_b32_e32 v1, s16
	s_sub_i32 s16, s12, 20
	s_add_i32 s17, s17, s16
	s_lshl_b32 s17, s17, 3
	ds_read2_b64 v[38:41], v1 offset1:1
	v_mov_b32_e32 v1, s17
	ds_read2_b64 v[42:45], v1 offset1:1
	s_waitcnt lgkmcnt(2)
	v_fma_f64 v[28:29], -v[30:31], v[36:37], v[28:29]
	s_add_i32 s17, s13, 0xfffffe08
	s_add_i32 s19, s8, -5
	s_waitcnt lgkmcnt(1)
	v_fma_f64 v[28:29], -v[32:33], v[40:41], v[28:29]
	v_mov_b32_e32 v1, s17
	s_add_i32 s18, s19, s9
	ds_read_b64 v[46:47], v1
	s_waitcnt lgkmcnt(1)
	v_mul_f64 v[28:29], v[44:45], v[28:29]
	v_add_lshl_u32 v1, s16, v0, 3
	s_lshl_b32 s18, s18, 3
	ds_write_b64 v1, v[28:29] offset:3200
	v_mov_b32_e32 v1, s18
	s_add_i32 s18, s19, s12
	v_fma_f64 v[26:27], -v[30:31], v[34:35], v[26:27]
	s_lshl_b32 s18, s18, 3
	v_fma_f64 v[26:27], -v[32:33], v[38:39], v[26:27]
	v_mov_b32_e32 v38, s18
	ds_read2_b64 v[34:37], v1 offset1:1
	ds_read2_b64 v[38:41], v38 offset1:1
	v_fma_f64 v[26:27], -v[28:29], v[42:43], v[26:27]
	s_sub_i32 s17, s12, 40
	s_add_i32 s18, s19, s16
	s_waitcnt lgkmcnt(3)
	v_mul_f64 v[26:27], v[46:47], v[26:27]
	v_add_lshl_u32 v1, s17, v0, 3
	s_lshl_b32 s18, s18, 3
	ds_write_b64 v1, v[26:27] offset:3200
	v_mov_b32_e32 v1, s18
	s_add_i32 s18, s19, s17
	s_waitcnt lgkmcnt(2)
	v_fma_f64 v[24:25], -v[30:31], v[36:37], v[24:25]
	s_lshl_b32 s18, s18, 3
	s_waitcnt lgkmcnt(1)
	v_fma_f64 v[24:25], -v[32:33], v[40:41], v[24:25]
	ds_read2_b64 v[40:43], v1 offset1:1
	v_mov_b32_e32 v1, s18
	s_sub_i32 s18, s12, 60
	s_add_i32 s19, s19, s18
	s_lshl_b32 s19, s19, 3
	ds_read2_b64 v[44:47], v1 offset1:1
	v_mov_b32_e32 v1, s19
	ds_read2_b64 v[48:51], v1 offset1:1
	s_waitcnt lgkmcnt(2)
	v_fma_f64 v[24:25], -v[28:29], v[42:43], v[24:25]
	s_add_i32 s19, s13, 0xfffffcb8
	s_add_i32 s21, s8, -7
	s_waitcnt lgkmcnt(1)
	v_fma_f64 v[24:25], -v[26:27], v[46:47], v[24:25]
	v_mov_b32_e32 v1, s19
	s_add_i32 s20, s21, s9
	ds_read_b64 v[42:43], v1
	s_waitcnt lgkmcnt(1)
	v_mul_f64 v[24:25], v[50:51], v[24:25]
	v_add_lshl_u32 v1, s18, v0, 3
	s_lshl_b32 s20, s20, 3
	ds_write_b64 v1, v[24:25] offset:3200
	v_fma_f64 v[22:23], -v[30:31], v[34:35], v[22:23]
	v_mov_b32_e32 v1, s20
	s_add_i32 s20, s21, s12
	v_fma_f64 v[22:23], -v[32:33], v[38:39], v[22:23]
	s_lshl_b32 s20, s20, 3
	v_fma_f64 v[22:23], -v[28:29], v[40:41], v[22:23]
	v_mov_b32_e32 v38, s20
	v_fma_f64 v[22:23], -v[26:27], v[44:45], v[22:23]
	ds_read2_b64 v[34:37], v1 offset1:1
	ds_read2_b64 v[38:41], v38 offset1:1
	v_fma_f64 v[22:23], -v[24:25], v[48:49], v[22:23]
	s_add_i32 s19, s12, 0xffffffb0
	s_add_i32 s20, s21, s16
	s_waitcnt lgkmcnt(3)
	v_mul_f64 v[22:23], v[42:43], v[22:23]
	v_add_lshl_u32 v1, s19, v0, 3
	s_lshl_b32 s20, s20, 3
	ds_write_b64 v1, v[22:23] offset:3200
	v_mov_b32_e32 v1, s20
	s_add_i32 s20, s21, s17
	s_waitcnt lgkmcnt(2)
	v_fma_f64 v[20:21], -v[30:31], v[36:37], v[20:21]
	s_lshl_b32 s20, s20, 3
	s_waitcnt lgkmcnt(1)
	v_fma_f64 v[20:21], -v[32:33], v[40:41], v[20:21]
	ds_read2_b64 v[40:43], v1 offset1:1
	v_mov_b32_e32 v1, s20
	s_add_i32 s20, s21, s18
	s_lshl_b32 s20, s20, 3
	ds_read2_b64 v[44:47], v1 offset1:1
	v_mov_b32_e32 v1, s20
	s_add_i32 s20, s21, s19
	s_lshl_b32 s20, s20, 3
	v_mov_b32_e32 v36, s20
	s_add_i32 s20, s13, 0xfffffc10
	ds_read2_b64 v[48:51], v1 offset1:1
	ds_read2_b64 v[52:55], v36 offset1:1
	v_mov_b32_e32 v1, s20
	ds_read_b64 v[36:37], v1
	s_waitcnt lgkmcnt(4)
	v_fma_f64 v[20:21], -v[28:29], v[42:43], v[20:21]
	s_waitcnt lgkmcnt(3)
	v_fma_f64 v[20:21], -v[26:27], v[46:47], v[20:21]
	;; [unrolled: 2-line block ×3, first 2 shown]
	s_add_i32 s20, s12, 0xffffff9c
	s_waitcnt lgkmcnt(1)
	v_fma_f64 v[20:21], -v[22:23], v[54:55], v[20:21]
	s_add_i32 s21, s21, s20
	s_waitcnt lgkmcnt(0)
	v_mul_f64 v[20:21], v[36:37], v[20:21]
	v_add_lshl_u32 v1, s20, v0, 3
	s_lshl_b32 s21, s21, 3
	ds_write_b64 v1, v[20:21] offset:3200
	v_fma_f64 v[18:19], -v[30:31], v[34:35], v[18:19]
	v_mov_b32_e32 v1, s21
	v_fma_f64 v[18:19], -v[32:33], v[38:39], v[18:19]
	ds_read_b64 v[34:35], v1
	v_fma_f64 v[18:19], -v[28:29], v[40:41], v[18:19]
	v_fma_f64 v[18:19], -v[26:27], v[44:45], v[18:19]
	s_add_i32 s26, s8, -9
	s_add_i32 s21, s13, 0xfffffb68
	v_fma_f64 v[18:19], -v[24:25], v[48:49], v[18:19]
	s_add_i32 s25, s26, s9
	v_mov_b32_e32 v1, s21
	v_fma_f64 v[18:19], -v[22:23], v[52:53], v[18:19]
	s_lshl_b32 s25, s25, 3
	ds_read_b64 v[36:37], v1
	s_waitcnt lgkmcnt(1)
	v_fma_f64 v[18:19], -v[20:21], v[34:35], v[18:19]
	v_mov_b32_e32 v34, s25
	s_add_i32 s25, s26, s12
	s_lshl_b32 s25, s25, 3
	v_mov_b32_e32 v38, s25
	s_add_i32 s25, s26, s16
	s_lshl_b32 s25, s25, 3
	v_mov_b32_e32 v42, s25
	s_add_i32 s25, s26, s17
	s_waitcnt lgkmcnt(0)
	v_mul_f64 v[18:19], v[36:37], v[18:19]
	ds_read2_b64 v[34:37], v34 offset1:1
	ds_read2_b64 v[38:41], v38 offset1:1
	s_lshl_b32 s25, s25, 3
	v_mov_b32_e32 v46, s25
	ds_read2_b64 v[42:45], v42 offset1:1
	ds_read2_b64 v[46:49], v46 offset1:1
	s_add_i32 s21, s12, 0xffffff88
	s_add_i32 s25, s26, s18
	v_add_lshl_u32 v1, s21, v0, 3
	s_waitcnt lgkmcnt(3)
	v_fma_f64 v[16:17], -v[30:31], v[36:37], v[16:17]
	s_lshl_b32 s25, s25, 3
	ds_write_b64 v1, v[18:19] offset:3200
	s_waitcnt lgkmcnt(3)
	v_fma_f64 v[16:17], -v[32:33], v[40:41], v[16:17]
	v_mov_b32_e32 v1, s25
	s_add_i32 s25, s26, s19
	s_waitcnt lgkmcnt(2)
	v_fma_f64 v[16:17], -v[28:29], v[44:45], v[16:17]
	s_lshl_b32 s25, s25, 3
	s_waitcnt lgkmcnt(1)
	v_fma_f64 v[16:17], -v[26:27], v[48:49], v[16:17]
	ds_read2_b64 v[48:51], v1 offset1:1
	v_mov_b32_e32 v1, s25
	s_add_i32 s25, s26, s20
	s_lshl_b32 s25, s25, 3
	ds_read2_b64 v[52:55], v1 offset1:1
	v_mov_b32_e32 v1, s25
	s_add_i32 s25, s26, s21
	s_lshl_b32 s25, s25, 3
	v_mov_b32_e32 v36, s25
	s_add_i32 s25, s13, 0xfffffac0
	ds_read2_b64 v[56:59], v1 offset1:1
	ds_read2_b64 v[60:63], v36 offset1:1
	v_mov_b32_e32 v1, s25
	ds_read_b64 v[36:37], v1
	s_waitcnt lgkmcnt(4)
	v_fma_f64 v[16:17], -v[24:25], v[50:51], v[16:17]
	s_waitcnt lgkmcnt(3)
	v_fma_f64 v[16:17], -v[22:23], v[54:55], v[16:17]
	;; [unrolled: 2-line block ×3, first 2 shown]
	s_add_i32 s25, s12, 0xffffff74
	s_waitcnt lgkmcnt(1)
	v_fma_f64 v[16:17], -v[18:19], v[62:63], v[16:17]
	v_fma_f64 v[14:15], -v[30:31], v[34:35], v[14:15]
	s_add_i32 s26, s26, s25
	s_waitcnt lgkmcnt(0)
	v_mul_f64 v[16:17], v[36:37], v[16:17]
	v_add_lshl_u32 v1, s25, v0, 3
	v_fma_f64 v[14:15], -v[32:33], v[38:39], v[14:15]
	s_lshl_b32 s26, s26, 3
	ds_write_b64 v1, v[16:17] offset:3200
	v_fma_f64 v[14:15], -v[28:29], v[42:43], v[14:15]
	v_mov_b32_e32 v1, s26
	s_add_i32 s27, s13, 0xfffffa18
	s_add_i32 s28, s8, -11
	v_fma_f64 v[14:15], -v[26:27], v[46:47], v[14:15]
	ds_read_b64 v[34:35], v1
	v_mov_b32_e32 v1, s27
	s_add_i32 s27, s28, s9
	v_fma_f64 v[14:15], -v[24:25], v[48:49], v[14:15]
	s_lshl_b32 s27, s27, 3
	v_fma_f64 v[14:15], -v[22:23], v[52:53], v[14:15]
	ds_read_b64 v[42:43], v1
	v_mov_b32_e32 v1, s27
	s_add_i32 s27, s28, s12
	v_fma_f64 v[14:15], -v[20:21], v[56:57], v[14:15]
	s_lshl_b32 s27, s27, 3
	v_fma_f64 v[14:15], -v[18:19], v[60:61], v[14:15]
	v_mov_b32_e32 v38, s27
	s_waitcnt lgkmcnt(1)
	v_fma_f64 v[14:15], -v[16:17], v[34:35], v[14:15]
	ds_read2_b64 v[34:37], v1 offset1:1
	ds_read2_b64 v[38:41], v38 offset1:1
	s_add_i32 s26, s12, 0xffffff60
	s_add_i32 s27, s28, s16
	s_waitcnt lgkmcnt(2)
	v_mul_f64 v[14:15], v[42:43], v[14:15]
	v_add_lshl_u32 v1, s26, v0, 3
	s_lshl_b32 s27, s27, 3
	ds_write_b64 v1, v[14:15] offset:3200
	v_mov_b32_e32 v1, s27
	s_add_i32 s27, s28, s17
	s_waitcnt lgkmcnt(2)
	v_fma_f64 v[12:13], -v[30:31], v[36:37], v[12:13]
	s_lshl_b32 s27, s27, 3
	s_waitcnt lgkmcnt(1)
	v_fma_f64 v[12:13], -v[32:33], v[40:41], v[12:13]
	ds_read2_b64 v[40:43], v1 offset1:1
	v_mov_b32_e32 v1, s27
	s_add_i32 s27, s28, s18
	s_lshl_b32 s27, s27, 3
	ds_read2_b64 v[44:47], v1 offset1:1
	v_mov_b32_e32 v1, s27
	s_add_i32 s27, s28, s19
	s_lshl_b32 s27, s27, 3
	v_mov_b32_e32 v36, s27
	s_add_i32 s27, s28, s20
	s_lshl_b32 s27, s27, 3
	ds_read2_b64 v[48:51], v1 offset1:1
	ds_read2_b64 v[52:55], v36 offset1:1
	v_mov_b32_e32 v1, s27
	s_add_i32 s27, s28, s21
	s_lshl_b32 s27, s27, 3
	s_waitcnt lgkmcnt(3)
	v_fma_f64 v[12:13], -v[28:29], v[42:43], v[12:13]
	v_mov_b32_e32 v36, s27
	ds_read2_b64 v[56:59], v1 offset1:1
	ds_read2_b64 v[60:63], v36 offset1:1
	s_waitcnt lgkmcnt(4)
	v_fma_f64 v[12:13], -v[26:27], v[46:47], v[12:13]
	s_add_i32 s27, s28, s25
	s_waitcnt lgkmcnt(3)
	v_fma_f64 v[12:13], -v[24:25], v[50:51], v[12:13]
	s_lshl_b32 s27, s27, 3
	s_waitcnt lgkmcnt(2)
	v_fma_f64 v[12:13], -v[22:23], v[54:55], v[12:13]
	v_mov_b32_e32 v1, s27
	s_add_i32 s27, s28, s26
	s_waitcnt lgkmcnt(1)
	v_fma_f64 v[12:13], -v[20:21], v[58:59], v[12:13]
	s_lshl_b32 s27, s27, 3
	s_waitcnt lgkmcnt(0)
	v_fma_f64 v[12:13], -v[18:19], v[62:63], v[12:13]
	ds_read2_b64 v[62:65], v1 offset1:1
	v_mov_b32_e32 v1, s27
	s_add_i32 s27, s9, 0xffffff38
	v_fma_f64 v[10:11], -v[30:31], v[34:35], v[10:11]
	s_add_i32 s28, s28, s27
	v_fma_f64 v[10:11], -v[32:33], v[38:39], v[10:11]
	s_lshl_b32 s28, s28, 3
	v_fma_f64 v[10:11], -v[28:29], v[40:41], v[10:11]
	ds_read2_b64 v[66:69], v1 offset1:1
	v_mov_b32_e32 v1, s28
	v_fma_f64 v[10:11], -v[26:27], v[44:45], v[10:11]
	s_add_i32 s33, s8, -13
	ds_read2_b64 v[70:73], v1 offset1:1
	s_add_i32 s28, s13, 0xfffff8c8
	v_fma_f64 v[10:11], -v[24:25], v[48:49], v[10:11]
	s_add_i32 s29, s33, s9
	v_mov_b32_e32 v1, s28
	v_fma_f64 v[10:11], -v[22:23], v[52:53], v[10:11]
	s_lshl_b32 s29, s29, 3
	ds_read_b64 v[36:37], v1
	v_fma_f64 v[10:11], -v[20:21], v[56:57], v[10:11]
	v_mov_b32_e32 v34, s29
	s_add_i32 s29, s33, s12
	s_waitcnt lgkmcnt(3)
	v_fma_f64 v[12:13], -v[16:17], v[64:65], v[12:13]
	v_fma_f64 v[10:11], -v[18:19], v[60:61], v[10:11]
	s_lshl_b32 s29, s29, 3
	s_waitcnt lgkmcnt(2)
	v_fma_f64 v[12:13], -v[14:15], v[68:69], v[12:13]
	v_fma_f64 v[10:11], -v[16:17], v[62:63], v[10:11]
	v_mov_b32_e32 v38, s29
	s_add_i32 s29, s33, s16
	s_waitcnt lgkmcnt(1)
	v_mul_f64 v[12:13], v[72:73], v[12:13]
	v_add_lshl_u32 v1, s27, v0, 3
	v_fma_f64 v[10:11], -v[14:15], v[66:67], v[10:11]
	s_lshl_b32 s29, s29, 3
	ds_write_b64 v1, v[12:13] offset:3200
	v_fma_f64 v[10:11], -v[12:13], v[70:71], v[10:11]
	v_mov_b32_e32 v42, s29
	s_add_i32 s29, s33, s17
	s_waitcnt lgkmcnt(1)
	v_mul_f64 v[10:11], v[36:37], v[10:11]
	ds_read2_b64 v[34:37], v34 offset1:1
	ds_read2_b64 v[38:41], v38 offset1:1
	s_lshl_b32 s29, s29, 3
	v_mov_b32_e32 v46, s29
	ds_read2_b64 v[42:45], v42 offset1:1
	ds_read2_b64 v[46:49], v46 offset1:1
	s_add_i32 s28, s9, 0xffffff24
	s_add_i32 s29, s33, s18
	v_add_lshl_u32 v1, s28, v0, 3
	s_waitcnt lgkmcnt(3)
	v_fma_f64 v[8:9], -v[30:31], v[36:37], v[8:9]
	s_lshl_b32 s29, s29, 3
	ds_write_b64 v1, v[10:11] offset:3200
	s_waitcnt lgkmcnt(3)
	v_fma_f64 v[8:9], -v[32:33], v[40:41], v[8:9]
	v_mov_b32_e32 v1, s29
	s_add_i32 s29, s33, s19
	s_waitcnt lgkmcnt(2)
	v_fma_f64 v[8:9], -v[28:29], v[44:45], v[8:9]
	s_lshl_b32 s29, s29, 3
	s_waitcnt lgkmcnt(1)
	v_fma_f64 v[8:9], -v[26:27], v[48:49], v[8:9]
	ds_read2_b64 v[48:51], v1 offset1:1
	v_mov_b32_e32 v1, s29
	s_add_i32 s29, s33, s20
	s_lshl_b32 s29, s29, 3
	ds_read2_b64 v[52:55], v1 offset1:1
	v_mov_b32_e32 v1, s29
	s_add_i32 s29, s33, s21
	s_lshl_b32 s29, s29, 3
	v_mov_b32_e32 v36, s29
	s_add_i32 s29, s33, s25
	s_lshl_b32 s29, s29, 3
	ds_read2_b64 v[56:59], v1 offset1:1
	ds_read2_b64 v[60:63], v36 offset1:1
	v_mov_b32_e32 v1, s29
	s_add_i32 s29, s33, s26
	s_lshl_b32 s29, s29, 3
	s_waitcnt lgkmcnt(3)
	v_fma_f64 v[8:9], -v[24:25], v[50:51], v[8:9]
	v_mov_b32_e32 v36, s29
	ds_read2_b64 v[64:67], v1 offset1:1
	ds_read2_b64 v[68:71], v36 offset1:1
	s_waitcnt lgkmcnt(4)
	v_fma_f64 v[8:9], -v[22:23], v[54:55], v[8:9]
	s_add_i32 s29, s33, s27
	s_waitcnt lgkmcnt(3)
	v_fma_f64 v[8:9], -v[20:21], v[58:59], v[8:9]
	s_lshl_b32 s29, s29, 3
	s_waitcnt lgkmcnt(2)
	v_fma_f64 v[8:9], -v[18:19], v[62:63], v[8:9]
	v_mov_b32_e32 v1, s29
	s_add_i32 s29, s33, s28
	v_fma_f64 v[6:7], -v[30:31], v[34:35], v[6:7]
	s_waitcnt lgkmcnt(1)
	v_fma_f64 v[8:9], -v[16:17], v[66:67], v[8:9]
	s_lshl_b32 s29, s29, 3
	v_fma_f64 v[6:7], -v[32:33], v[38:39], v[6:7]
	s_waitcnt lgkmcnt(0)
	v_fma_f64 v[8:9], -v[14:15], v[70:71], v[8:9]
	ds_read2_b64 v[70:73], v1 offset1:1
	v_mov_b32_e32 v1, s29
	s_add_i32 s29, s9, 0xffffff10
	v_fma_f64 v[6:7], -v[28:29], v[42:43], v[6:7]
	s_add_i32 s33, s33, s29
	v_fma_f64 v[6:7], -v[26:27], v[46:47], v[6:7]
	s_lshl_b32 s33, s33, 3
	v_fma_f64 v[6:7], -v[24:25], v[48:49], v[6:7]
	ds_read2_b64 v[74:77], v1 offset1:1
	v_mov_b32_e32 v1, s33
	v_fma_f64 v[6:7], -v[22:23], v[52:53], v[6:7]
	ds_read2_b64 v[78:81], v1 offset1:1
	s_add_i32 s33, s13, 0xfffff778
	v_fma_f64 v[6:7], -v[20:21], v[56:57], v[6:7]
	v_mov_b32_e32 v1, s33
	v_fma_f64 v[6:7], -v[18:19], v[60:61], v[6:7]
	ds_read_b64 v[36:37], v1
	v_fma_f64 v[6:7], -v[16:17], v[64:65], v[6:7]
	s_waitcnt lgkmcnt(3)
	v_fma_f64 v[8:9], -v[12:13], v[72:73], v[8:9]
	v_fma_f64 v[6:7], -v[14:15], v[68:69], v[6:7]
	s_waitcnt lgkmcnt(2)
	v_fma_f64 v[8:9], -v[10:11], v[76:77], v[8:9]
	v_fma_f64 v[6:7], -v[12:13], v[70:71], v[6:7]
	s_waitcnt lgkmcnt(1)
	v_mul_f64 v[8:9], v[80:81], v[8:9]
	v_fma_f64 v[6:7], -v[10:11], v[74:75], v[6:7]
	s_add_i32 s33, s8, -15
	v_add_lshl_u32 v1, s29, v0, 3
	v_fma_f64 v[6:7], -v[8:9], v[78:79], v[6:7]
	s_add_i32 s34, s9, 0xfffffefc
	s_add_i32 s35, s33, s9
	ds_write_b64 v1, v[8:9] offset:3200
	s_waitcnt lgkmcnt(1)
	v_mul_f64 v[86:87], v[36:37], v[6:7]
	v_add_lshl_u32 v1, s34, v0, 3
	s_lshl_b32 s35, s35, 3
	s_add_i32 s12, s33, s12
	ds_write_b64 v1, v[86:87] offset:3200
	v_mov_b32_e32 v1, s35
	s_lshl_b32 s12, s12, 3
	ds_read2_b64 v[34:37], v1 offset1:1
	v_mov_b32_e32 v1, s12
	s_add_i32 s12, s33, s16
	s_lshl_b32 s12, s12, 3
	ds_read2_b64 v[38:41], v1 offset1:1
	v_mov_b32_e32 v1, s12
	s_add_i32 s12, s33, s17
	s_lshl_b32 s12, s12, 3
	v_mov_b32_e32 v42, s12
	s_add_i32 s12, s33, s18
	s_lshl_b32 s12, s12, 3
	s_waitcnt lgkmcnt(1)
	v_fma_f64 v[36:37], -v[30:31], v[36:37], v[4:5]
	ds_read2_b64 v[4:7], v1 offset1:1
	ds_read2_b64 v[42:45], v42 offset1:1
	v_mov_b32_e32 v1, s12
	s_add_i32 s12, s33, s19
	s_lshl_b32 s12, s12, 3
	v_mov_b32_e32 v50, s12
	ds_read2_b64 v[46:49], v1 offset1:1
	ds_read2_b64 v[50:53], v50 offset1:1
	s_waitcnt lgkmcnt(4)
	v_fma_f64 v[36:37], -v[32:33], v[40:41], v[36:37]
	s_add_i32 s12, s33, s20
	s_waitcnt lgkmcnt(3)
	v_fma_f64 v[6:7], -v[28:29], v[6:7], v[36:37]
	s_lshl_b32 s12, s12, 3
	s_waitcnt lgkmcnt(2)
	v_fma_f64 v[6:7], -v[26:27], v[44:45], v[6:7]
	v_mov_b32_e32 v1, s12
	s_add_i32 s12, s33, s21
	s_waitcnt lgkmcnt(1)
	v_fma_f64 v[6:7], -v[24:25], v[48:49], v[6:7]
	s_lshl_b32 s12, s12, 3
	s_waitcnt lgkmcnt(0)
	v_fma_f64 v[6:7], -v[22:23], v[52:53], v[6:7]
	ds_read2_b64 v[52:55], v1 offset1:1
	v_mov_b32_e32 v1, s12
	s_add_i32 s12, s33, s25
	s_lshl_b32 s12, s12, 3
	ds_read2_b64 v[56:59], v1 offset1:1
	v_mov_b32_e32 v1, s12
	s_add_i32 s12, s33, s26
	s_lshl_b32 s12, s12, 3
	v_mov_b32_e32 v36, s12
	s_add_i32 s12, s33, s27
	s_lshl_b32 s12, s12, 3
	ds_read2_b64 v[60:63], v1 offset1:1
	ds_read2_b64 v[64:67], v36 offset1:1
	v_mov_b32_e32 v1, s12
	s_add_i32 s12, s33, s28
	s_lshl_b32 s12, s12, 3
	s_waitcnt lgkmcnt(3)
	v_fma_f64 v[6:7], -v[20:21], v[54:55], v[6:7]
	v_mov_b32_e32 v36, s12
	ds_read2_b64 v[68:71], v1 offset1:1
	ds_read2_b64 v[72:75], v36 offset1:1
	s_waitcnt lgkmcnt(4)
	v_fma_f64 v[6:7], -v[18:19], v[58:59], v[6:7]
	s_add_i32 s12, s33, s29
	v_fma_f64 v[2:3], -v[30:31], v[34:35], v[2:3]
	s_waitcnt lgkmcnt(3)
	v_fma_f64 v[6:7], -v[16:17], v[62:63], v[6:7]
	s_lshl_b32 s12, s12, 3
	v_fma_f64 v[2:3], -v[32:33], v[38:39], v[2:3]
	s_waitcnt lgkmcnt(2)
	v_fma_f64 v[6:7], -v[14:15], v[66:67], v[6:7]
	v_mov_b32_e32 v1, s12
	s_add_i32 s12, s33, s34
	v_fma_f64 v[2:3], -v[28:29], v[4:5], v[2:3]
	s_waitcnt lgkmcnt(1)
	v_fma_f64 v[6:7], -v[12:13], v[70:71], v[6:7]
	s_lshl_b32 s12, s12, 3
	v_fma_f64 v[2:3], -v[26:27], v[42:43], v[2:3]
	s_waitcnt lgkmcnt(0)
	v_fma_f64 v[6:7], -v[10:11], v[74:75], v[6:7]
	ds_read2_b64 v[74:77], v1 offset1:1
	v_mov_b32_e32 v1, s12
	s_add_i32 s12, s9, 0xfffffee8
	v_fma_f64 v[2:3], -v[24:25], v[46:47], v[2:3]
	s_add_i32 s33, s33, s12
	v_fma_f64 v[2:3], -v[22:23], v[50:51], v[2:3]
	s_lshl_b32 s16, s33, 3
	v_fma_f64 v[2:3], -v[20:21], v[52:53], v[2:3]
	ds_read2_b64 v[78:81], v1 offset1:1
	v_mov_b32_e32 v1, s16
	v_fma_f64 v[2:3], -v[18:19], v[56:57], v[2:3]
	ds_read2_b64 v[82:85], v1 offset1:1
	s_addk_i32 s13, 0xf628
	v_fma_f64 v[2:3], -v[16:17], v[60:61], v[2:3]
	v_mov_b32_e32 v1, s13
	v_fma_f64 v[2:3], -v[14:15], v[64:65], v[2:3]
	ds_read_b64 v[36:37], v1
	v_fma_f64 v[2:3], -v[12:13], v[68:69], v[2:3]
	s_waitcnt lgkmcnt(3)
	v_fma_f64 v[6:7], -v[8:9], v[76:77], v[6:7]
	v_fma_f64 v[2:3], -v[10:11], v[72:73], v[2:3]
	s_waitcnt lgkmcnt(2)
	v_fma_f64 v[6:7], -v[86:87], v[80:81], v[6:7]
	v_fma_f64 v[2:3], -v[8:9], v[74:75], v[2:3]
	s_waitcnt lgkmcnt(1)
	v_mul_f64 v[6:7], v[84:85], v[6:7]
	v_fma_f64 v[2:3], -v[86:87], v[78:79], v[2:3]
	v_add_lshl_u32 v1, s12, v0, 3
	v_fma_f64 v[2:3], -v[6:7], v[82:83], v[2:3]
	s_addk_i32 s9, 0xfed4
	ds_write_b64 v1, v[6:7] offset:3200
	s_waitcnt lgkmcnt(1)
	v_mul_f64 v[2:3], v[36:37], v[2:3]
	v_add_lshl_u32 v1, s9, v0, 3
	s_add_i32 s8, s8, -16
	ds_write_b64 v1, v[2:3] offset:3200
.LBB87_51:
	s_cmp_lt_i32 s8, 0
	s_cbranch_scc1 .LBB87_64
; %bb.52:
	s_bitcmp1_b32 s8, 0
	s_cselect_b64 s[12:13], -1, 0
	s_and_b64 vcc, exec, s[12:13]
	s_mov_b32 s9, s8
	s_cbranch_vccnz .LBB87_57
; %bb.53:
	s_mul_i32 s9, s8, 20
	v_add_lshl_u32 v1, s9, v0, 3
	ds_read_b64 v[2:3], v1 offset:3200
	s_cmp_le_i32 s31, s8
	s_cbranch_scc1 .LBB87_56
; %bb.54:
	s_mul_i32 s12, s30, 0xa0
	s_lshl_b32 s9, s8, 3
	s_add_i32 s9, s12, s9
	v_lshl_add_u32 v4, v0, 3, s12
	s_addk_i32 s9, 0xff60
	v_add_u32_e32 v4, 0xbe0, v4
	s_mov_b32 s12, s31
.LBB87_55:                              ; =>This Inner Loop Header: Depth=1
	v_mov_b32_e32 v5, s9
	ds_read_b64 v[6:7], v4
	ds_read_b64 v[8:9], v5
	s_add_i32 s12, s12, -1
	s_addk_i32 s9, 0xff60
	v_add_u32_e32 v4, 0xffffff60, v4
	s_cmp_gt_i32 s12, s8
	s_waitcnt lgkmcnt(0)
	v_fma_f64 v[2:3], -v[6:7], v[8:9], v[2:3]
	s_cbranch_scc1 .LBB87_55
.LBB87_56:
	s_mul_i32 s9, s8, 0xa8
	v_mov_b32_e32 v4, s9
	ds_read_b64 v[4:5], v4
	v_add_u32_e32 v1, 0xc80, v1
	s_add_i32 s9, s8, -1
	s_waitcnt lgkmcnt(0)
	v_mul_f64 v[2:3], v[4:5], v[2:3]
	ds_write_b64 v1, v[2:3]
.LBB87_57:
	s_cmp_eq_u32 s8, 0
	s_cbranch_scc1 .LBB87_64
; %bb.58:
	s_mul_i32 s12, s30, 0xa0
	s_lshl_b32 s8, s9, 3
	s_add_i32 s13, s12, s8
	v_lshl_add_u32 v1, v0, 3, s12
	s_add_i32 s8, s13, 0xffffff60
	v_add_u32_e32 v1, 0xbe0, v1
	s_add_i32 s12, s13, 0xffffff58
	s_branch .LBB87_60
.LBB87_59:                              ;   in Loop: Header=BB87_60 Depth=1
	s_addk_i32 s13, 0xff58
	v_mov_b32_e32 v2, s13
	ds_read_b64 v[2:3], v2
	s_add_i32 s13, s9, -2
	s_add_i32 s8, s8, -16
	;; [unrolled: 1-line block ×3, first 2 shown]
	s_cmp_lt_i32 s9, 2
	s_waitcnt lgkmcnt(0)
	v_mul_f64 v[2:3], v[2:3], v[4:5]
	s_mov_b32 s9, s13
	ds_write_b64 v6, v[2:3]
	s_cbranch_scc1 .LBB87_64
.LBB87_60:                              ; =>This Loop Header: Depth=1
                                        ;     Child Loop BB87_61 Depth 2
                                        ;     Child Loop BB87_63 Depth 2
	s_mul_i32 s13, s9, 20
	v_add_lshl_u32 v4, s13, v0, 3
	ds_read_b64 v[2:3], v4 offset:3200
	s_cmp_le_i32 s31, s9
	v_mov_b32_e32 v5, v1
	s_mov_b32 s13, s8
	s_mov_b32 s16, s31
	s_cbranch_scc1 .LBB87_62
.LBB87_61:                              ;   Parent Loop BB87_60 Depth=1
                                        ; =>  This Inner Loop Header: Depth=2
	v_mov_b32_e32 v8, s13
	ds_read_b64 v[6:7], v5
	ds_read_b64 v[8:9], v8
	s_add_i32 s16, s16, -1
	s_addk_i32 s13, 0xff60
	v_add_u32_e32 v5, 0xffffff60, v5
	s_cmp_gt_i32 s16, s9
	s_waitcnt lgkmcnt(0)
	v_fma_f64 v[2:3], -v[6:7], v[8:9], v[2:3]
	s_cbranch_scc1 .LBB87_61
.LBB87_62:                              ;   in Loop: Header=BB87_60 Depth=1
	s_mul_i32 s13, s9, 0xa8
	v_add_u32_e32 v8, 0xc80, v4
	v_mov_b32_e32 v4, s13
	ds_read_b64 v[10:11], v4
	v_add_u32_e32 v6, 0xffffff60, v8
	ds_read_b64 v[4:5], v6
	s_cmp_lt_i32 s31, s9
	v_mov_b32_e32 v7, v1
	s_waitcnt lgkmcnt(1)
	v_mul_f64 v[2:3], v[10:11], v[2:3]
	s_mov_b32 s16, s12
	s_mov_b32 s17, s30
	ds_write_b64 v8, v[2:3]
	s_cbranch_scc1 .LBB87_59
.LBB87_63:                              ;   Parent Loop BB87_60 Depth=1
                                        ; =>  This Inner Loop Header: Depth=2
	v_mov_b32_e32 v8, s16
	ds_read_b64 v[2:3], v7
	ds_read_b64 v[8:9], v8
	s_add_i32 s17, s17, -1
	s_addk_i32 s16, 0xff60
	v_add_u32_e32 v7, 0xffffff60, v7
	s_cmp_gt_i32 s17, s9
	s_waitcnt lgkmcnt(0)
	v_fma_f64 v[4:5], -v[2:3], v[8:9], v[4:5]
	s_cbranch_scc1 .LBB87_63
	s_branch .LBB87_59
.LBB87_64:
	s_waitcnt lgkmcnt(0)
	; wave barrier
	s_waitcnt lgkmcnt(0)
	s_and_saveexec_b64 s[8:9], s[14:15]
	s_cbranch_execz .LBB87_71
; %bb.65:
	s_cmp_lt_i32 s10, 8
	s_mov_b32 s8, 0
	s_cbranch_scc1 .LBB87_68
; %bb.66:
	v_mad_i64_i32 v[2:3], s[8:9], s22, v0, 0
	v_lshlrev_b64 v[2:3], 3, v[2:3]
	v_mov_b32_e32 v4, s24
	v_add_co_u32_e32 v1, vcc, s11, v2
	v_addc_co_u32_e32 v2, vcc, v4, v3, vcc
	v_mov_b32_e32 v3, 0xc80
	s_lshl_b32 s8, s30, 3
	v_lshl_add_u32 v3, v0, 3, v3
	s_and_b32 s9, s8, 0xc0
	s_mov_b32 s8, 0
	s_mov_b64 s[10:11], 0
.LBB87_67:                              ; =>This Inner Loop Header: Depth=1
	ds_read2_b64 v[4:7], v3 offset1:20
	ds_read2_b64 v[8:11], v3 offset0:40 offset1:60
	ds_read2_b64 v[12:15], v3 offset0:80 offset1:100
	;; [unrolled: 1-line block ×3, first 2 shown]
	s_add_i32 s8, s8, 8
	v_add_co_u32_e32 v20, vcc, s10, v1
	s_add_u32 s10, s10, 64
	v_mov_b32_e32 v21, s11
	s_addc_u32 s11, s11, 0
	v_add_u32_e32 v3, 0x500, v3
	v_addc_co_u32_e32 v21, vcc, v2, v21, vcc
	s_cmp_lg_u32 s9, s10
	s_waitcnt lgkmcnt(3)
	global_store_dwordx4 v[20:21], v[4:7], off
	s_waitcnt lgkmcnt(2)
	global_store_dwordx4 v[20:21], v[8:11], off offset:16
	s_waitcnt lgkmcnt(1)
	global_store_dwordx4 v[20:21], v[12:15], off offset:32
	;; [unrolled: 2-line block ×3, first 2 shown]
	s_cbranch_scc1 .LBB87_67
.LBB87_68:
	s_and_b32 s10, s30, 7
	s_cmp_eq_u32 s10, 0
	s_mov_b32 s9, 0
	s_cbranch_scc1 .LBB87_71
; %bb.69:
	s_lshl_b64 s[6:7], s[6:7], 3
	v_lshlrev_b32_e32 v1, 3, v0
	v_mov_b32_e32 v2, s7
	v_add_co_u32_e32 v1, vcc, s6, v1
	s_lshl_b64 s[6:7], s[8:9], 3
	s_add_u32 s2, s2, s6
	s_addc_u32 s3, s3, s7
	s_add_u32 s2, s2, s4
	s_addc_u32 s3, s3, s5
	;; [unrolled: 2-line block ×3, first 2 shown]
	v_addc_co_u32_e32 v4, vcc, 0, v2, vcc
	v_pk_mov_b32 v[2:3], s[0:1], s[0:1] op_sel:[0,1]
	v_mad_u64_u32 v[2:3], s[0:1], v1, s22, v[2:3]
	s_mul_i32 s0, s8, 0xa0
	v_mul_lo_u32 v1, v1, s23
	v_mul_lo_u32 v4, v4, s22
	v_lshl_add_u32 v0, v0, 3, s0
	v_add3_u32 v3, v4, v3, v1
	v_add_u32_e32 v0, 0xc80, v0
.LBB87_70:                              ; =>This Inner Loop Header: Depth=1
	ds_read_b64 v[4:5], v0
	s_add_i32 s10, s10, -1
	v_add_u32_e32 v0, 0xa0, v0
	s_cmp_lg_u32 s10, 0
	s_waitcnt lgkmcnt(0)
	global_store_dwordx2 v[2:3], v[4:5], off
	v_add_co_u32_e32 v2, vcc, 8, v2
	v_addc_co_u32_e32 v3, vcc, 0, v3, vcc
	s_cbranch_scc1 .LBB87_70
.LBB87_71:
	s_endpgm
	.section	.rodata,"a",@progbits
	.p2align	6, 0x0
	.amdhsa_kernel _ZL38rocblas_trsm_small_left_device_sharedBILi20ELi20ELb0EddPKdPdEv13rocblas_fill_18rocblas_operation_17rocblas_diagonal_iiT3_T4_lilT5_lili
		.amdhsa_group_segment_fixed_size 6400
		.amdhsa_private_segment_fixed_size 0
		.amdhsa_kernarg_size 360
		.amdhsa_user_sgpr_count 6
		.amdhsa_user_sgpr_private_segment_buffer 1
		.amdhsa_user_sgpr_dispatch_ptr 0
		.amdhsa_user_sgpr_queue_ptr 0
		.amdhsa_user_sgpr_kernarg_segment_ptr 1
		.amdhsa_user_sgpr_dispatch_id 0
		.amdhsa_user_sgpr_flat_scratch_init 0
		.amdhsa_user_sgpr_kernarg_preload_length 0
		.amdhsa_user_sgpr_kernarg_preload_offset 0
		.amdhsa_user_sgpr_private_segment_size 0
		.amdhsa_uses_dynamic_stack 0
		.amdhsa_system_sgpr_private_segment_wavefront_offset 0
		.amdhsa_system_sgpr_workgroup_id_x 1
		.amdhsa_system_sgpr_workgroup_id_y 0
		.amdhsa_system_sgpr_workgroup_id_z 1
		.amdhsa_system_sgpr_workgroup_info 0
		.amdhsa_system_vgpr_workitem_id 0
		.amdhsa_next_free_vgpr 114
		.amdhsa_next_free_sgpr 40
		.amdhsa_accum_offset 116
		.amdhsa_reserve_vcc 1
		.amdhsa_reserve_flat_scratch 0
		.amdhsa_float_round_mode_32 0
		.amdhsa_float_round_mode_16_64 0
		.amdhsa_float_denorm_mode_32 3
		.amdhsa_float_denorm_mode_16_64 3
		.amdhsa_dx10_clamp 1
		.amdhsa_ieee_mode 1
		.amdhsa_fp16_overflow 0
		.amdhsa_tg_split 0
		.amdhsa_exception_fp_ieee_invalid_op 0
		.amdhsa_exception_fp_denorm_src 0
		.amdhsa_exception_fp_ieee_div_zero 0
		.amdhsa_exception_fp_ieee_overflow 0
		.amdhsa_exception_fp_ieee_underflow 0
		.amdhsa_exception_fp_ieee_inexact 0
		.amdhsa_exception_int_div_zero 0
	.end_amdhsa_kernel
	.section	.text._ZL38rocblas_trsm_small_left_device_sharedBILi20ELi20ELb0EddPKdPdEv13rocblas_fill_18rocblas_operation_17rocblas_diagonal_iiT3_T4_lilT5_lili,"axG",@progbits,_ZL38rocblas_trsm_small_left_device_sharedBILi20ELi20ELb0EddPKdPdEv13rocblas_fill_18rocblas_operation_17rocblas_diagonal_iiT3_T4_lilT5_lili,comdat
.Lfunc_end87:
	.size	_ZL38rocblas_trsm_small_left_device_sharedBILi20ELi20ELb0EddPKdPdEv13rocblas_fill_18rocblas_operation_17rocblas_diagonal_iiT3_T4_lilT5_lili, .Lfunc_end87-_ZL38rocblas_trsm_small_left_device_sharedBILi20ELi20ELb0EddPKdPdEv13rocblas_fill_18rocblas_operation_17rocblas_diagonal_iiT3_T4_lilT5_lili
                                        ; -- End function
	.section	.AMDGPU.csdata,"",@progbits
; Kernel info:
; codeLenInByte = 17976
; NumSgprs: 44
; NumVgprs: 114
; NumAgprs: 0
; TotalNumVgprs: 114
; ScratchSize: 0
; MemoryBound: 0
; FloatMode: 240
; IeeeMode: 1
; LDSByteSize: 6400 bytes/workgroup (compile time only)
; SGPRBlocks: 5
; VGPRBlocks: 14
; NumSGPRsForWavesPerEU: 44
; NumVGPRsForWavesPerEU: 114
; AccumOffset: 116
; Occupancy: 3
; WaveLimiterHint : 0
; COMPUTE_PGM_RSRC2:SCRATCH_EN: 0
; COMPUTE_PGM_RSRC2:USER_SGPR: 6
; COMPUTE_PGM_RSRC2:TRAP_HANDLER: 0
; COMPUTE_PGM_RSRC2:TGID_X_EN: 1
; COMPUTE_PGM_RSRC2:TGID_Y_EN: 0
; COMPUTE_PGM_RSRC2:TGID_Z_EN: 1
; COMPUTE_PGM_RSRC2:TIDIG_COMP_CNT: 0
; COMPUTE_PGM_RSRC3_GFX90A:ACCUM_OFFSET: 28
; COMPUTE_PGM_RSRC3_GFX90A:TG_SPLIT: 0
	.section	.text._ZL30rocblas_trsm_small_left_deviceILi20ELi20ELb0EddPKdPdEv13rocblas_fill_18rocblas_operation_17rocblas_diagonal_iiT3_T4_lilT5_lili,"axG",@progbits,_ZL30rocblas_trsm_small_left_deviceILi20ELi20ELb0EddPKdPdEv13rocblas_fill_18rocblas_operation_17rocblas_diagonal_iiT3_T4_lilT5_lili,comdat
	.globl	_ZL30rocblas_trsm_small_left_deviceILi20ELi20ELb0EddPKdPdEv13rocblas_fill_18rocblas_operation_17rocblas_diagonal_iiT3_T4_lilT5_lili ; -- Begin function _ZL30rocblas_trsm_small_left_deviceILi20ELi20ELb0EddPKdPdEv13rocblas_fill_18rocblas_operation_17rocblas_diagonal_iiT3_T4_lilT5_lili
	.p2align	8
	.type	_ZL30rocblas_trsm_small_left_deviceILi20ELi20ELb0EddPKdPdEv13rocblas_fill_18rocblas_operation_17rocblas_diagonal_iiT3_T4_lilT5_lili,@function
_ZL30rocblas_trsm_small_left_deviceILi20ELi20ELb0EddPKdPdEv13rocblas_fill_18rocblas_operation_17rocblas_diagonal_iiT3_T4_lilT5_lili: ; @_ZL30rocblas_trsm_small_left_deviceILi20ELi20ELb0EddPKdPdEv13rocblas_fill_18rocblas_operation_17rocblas_diagonal_iiT3_T4_lilT5_lili
; %bb.0:
	s_load_dwordx4 s[12:15], s[4:5], 0x4
	s_load_dwordx4 s[0:3], s[4:5], 0x18
	s_load_dwordx2 s[24:25], s[4:5], 0x28
	s_load_dwordx4 s[8:11], s[4:5], 0x38
	s_load_dwordx2 s[20:21], s[4:5], 0x48
	s_waitcnt lgkmcnt(0)
	s_min_i32 s16, s14, 20
	s_mov_b32 s17, 0
	s_add_i32 s18, s16, -1
	v_cmp_gt_i32_e32 vcc, s16, v0
	s_and_saveexec_b64 s[22:23], vcc
	s_cbranch_execz .LBB88_10
; %bb.1:
	s_load_dword s26, s[4:5], 0x30
	s_mul_i32 s9, s7, s9
	s_mul_hi_u32 s19, s7, s8
	s_add_i32 s9, s19, s9
	s_mul_i32 s8, s7, s8
	s_waitcnt lgkmcnt(0)
	s_ashr_i32 s27, s26, 31
	s_cmp_lt_u32 s18, 3
	v_lshlrev_b32_e32 v1, 3, v0
	s_cbranch_scc1 .LBB88_4
; %bb.2:
	s_lshl_b64 s[28:29], s[8:9], 3
	s_add_u32 s17, s2, s28
	s_addc_u32 s19, s3, s29
	s_lshl_b64 s[28:29], s[24:25], 3
	s_add_u32 s17, s17, s28
	s_addc_u32 s19, s19, s29
	v_mov_b32_e32 v3, s19
	v_add_co_u32_e32 v2, vcc, s17, v1
	s_mul_hi_i32 s36, s26, 24
	s_lshl_b64 s[28:29], s[26:27], 5
	s_lshl_b64 s[30:31], s[26:27], 4
	;; [unrolled: 1-line block ×3, first 2 shown]
	v_addc_co_u32_e32 v3, vcc, 0, v3, vcc
	s_and_b32 s17, s16, -4
	s_mul_i32 s19, s26, 24
	s_mov_b32 s33, 0
	v_mov_b32_e32 v4, s35
	v_mov_b32_e32 v5, s31
	;; [unrolled: 1-line block ×5, first 2 shown]
.LBB88_3:                               ; =>This Inner Loop Header: Depth=1
	v_add_co_u32_e32 v12, vcc, s34, v2
	v_addc_co_u32_e32 v13, vcc, v3, v4, vcc
	v_add_co_u32_e32 v14, vcc, s30, v2
	v_addc_co_u32_e32 v15, vcc, v3, v5, vcc
	v_add_co_u32_e32 v16, vcc, s19, v2
	global_load_dwordx2 v[10:11], v[2:3], off
	v_addc_co_u32_e32 v17, vcc, v3, v6, vcc
	global_load_dwordx2 v[18:19], v[12:13], off
	global_load_dwordx2 v[20:21], v[14:15], off
	;; [unrolled: 1-line block ×3, first 2 shown]
	s_add_i32 s33, s33, 4
	v_add_co_u32_e32 v2, vcc, s28, v2
	v_addc_co_u32_e32 v3, vcc, v3, v7, vcc
	s_cmp_eq_u32 s17, s33
	s_waitcnt vmcnt(2)
	ds_write2_b64 v8, v[10:11], v[18:19] offset1:20
	s_waitcnt vmcnt(0)
	ds_write2_b64 v8, v[20:21], v[22:23] offset0:40 offset1:60
	v_add_u32_e32 v8, 0x280, v8
	s_cbranch_scc0 .LBB88_3
.LBB88_4:
	s_and_b32 s19, s16, 3
	s_cmp_eq_u32 s19, 0
	s_cbranch_scc1 .LBB88_7
; %bb.5:
	s_mul_i32 s28, s17, 0xa0
	v_lshl_add_u32 v4, v0, 3, s28
	s_mul_i32 s28, s27, s17
	s_mul_hi_u32 s29, s26, s17
	s_add_i32 s29, s29, s28
	s_mul_i32 s28, s26, s17
	s_lshl_b64 s[8:9], s[8:9], 3
	s_lshl_b64 s[28:29], s[28:29], 3
	s_add_u32 s17, s8, s28
	s_addc_u32 s28, s9, s29
	s_lshl_b64 s[8:9], s[24:25], 3
	s_add_u32 s8, s17, s8
	s_addc_u32 s9, s28, s9
	s_add_u32 s2, s2, s8
	s_addc_u32 s3, s3, s9
	v_mov_b32_e32 v3, s3
	v_add_co_u32_e32 v2, vcc, s2, v1
	s_lshl_b64 s[2:3], s[26:27], 3
	v_addc_co_u32_e32 v3, vcc, 0, v3, vcc
	v_mov_b32_e32 v1, s3
.LBB88_6:                               ; =>This Inner Loop Header: Depth=1
	global_load_dwordx2 v[6:7], v[2:3], off
	v_add_co_u32_e32 v2, vcc, s2, v2
	s_add_i32 s19, s19, -1
	v_addc_co_u32_e32 v3, vcc, v3, v1, vcc
	s_cmp_lg_u32 s19, 0
	s_waitcnt vmcnt(0)
	ds_write_b64 v4, v[6:7]
	v_add_u32_e32 v4, 0xa0, v4
	s_cbranch_scc1 .LBB88_6
.LBB88_7:
	v_mul_u32_u24_e32 v1, 21, v0
	v_mov_b32_e32 v2, 0
	s_cmpk_lg_i32 s13, 0x84
	v_lshlrev_b32_e32 v1, 3, v1
	v_mov_b32_e32 v3, 0x3ff00000
	s_cbranch_scc0 .LBB88_9
; %bb.8:
	ds_read_b64 v[2:3], v1
	s_waitcnt lgkmcnt(0)
	v_div_scale_f64 v[4:5], s[2:3], v[2:3], v[2:3], 1.0
	v_rcp_f64_e32 v[6:7], v[4:5]
	v_div_scale_f64 v[8:9], vcc, 1.0, v[2:3], 1.0
	v_fma_f64 v[10:11], -v[4:5], v[6:7], 1.0
	v_fmac_f64_e32 v[6:7], v[6:7], v[10:11]
	v_fma_f64 v[10:11], -v[4:5], v[6:7], 1.0
	v_fmac_f64_e32 v[6:7], v[6:7], v[10:11]
	v_mul_f64 v[10:11], v[8:9], v[6:7]
	v_fma_f64 v[4:5], -v[4:5], v[10:11], v[8:9]
	v_div_fmas_f64 v[4:5], v[4:5], v[6:7], v[10:11]
	v_div_fixup_f64 v[2:3], v[4:5], v[2:3], 1.0
.LBB88_9:
	ds_write_b64 v1, v[2:3]
.LBB88_10:
	s_or_b64 exec, exec, s[22:23]
	s_load_dword s2, s[4:5], 0x68
	s_mul_i32 s3, s6, 0xffffffec
	s_add_i32 s3, s3, s15
	s_waitcnt lgkmcnt(0)
	; wave barrier
	s_waitcnt lgkmcnt(0)
	s_add_i32 s2, s2, -1
	s_cmp_ge_u32 s6, s2
	s_cselect_b32 s2, s3, 20
	v_cmp_gt_i32_e32 vcc, s2, v0
	s_and_saveexec_b64 s[2:3], vcc
	s_cbranch_execz .LBB88_57
; %bb.11:
	s_load_dwordx2 s[2:3], s[4:5], 0x58
	s_load_dword s8, s[4:5], 0x50
	s_waitcnt lgkmcnt(0)
	s_mul_i32 s3, s7, s3
	s_mul_hi_u32 s4, s7, s2
	s_mul_i32 s2, s7, s2
	s_add_i32 s3, s4, s3
	s_lshl_b64 s[2:3], s[2:3], 3
	s_add_u32 s7, s10, s2
	s_addc_u32 s9, s11, s3
	s_lshl_b64 s[4:5], s[20:21], 3
	s_add_u32 s13, s7, s4
	v_mad_u64_u32 v[0:1], s[6:7], s6, 20, v[0:1]
	v_mad_i64_i32 v[0:1], s[6:7], s8, v0, 0
	s_addc_u32 s9, s9, s5
	v_lshlrev_b64 v[58:59], 3, v[0:1]
	v_mov_b32_e32 v0, s9
	v_add_co_u32_e32 v56, vcc, s13, v58
	v_addc_co_u32_e32 v57, vcc, v0, v59, vcc
	s_cmpk_eq_i32 s12, 0x6f
	s_mov_b64 s[6:7], -1
	s_cbranch_scc1 .LBB88_35
; %bb.12:
	s_cmp_gt_i32 s14, 19
	s_cselect_b64 s[8:9], -1, 0
	s_mov_b32 s6, 0
	s_and_b64 vcc, exec, s[8:9]
	s_cbranch_vccz .LBB88_14
; %bb.13:
	global_load_dwordx4 v[18:21], v[56:57], off
	global_load_dwordx4 v[14:17], v[56:57], off offset:16
	global_load_dwordx4 v[10:13], v[56:57], off offset:32
	global_load_dwordx4 v[6:9], v[56:57], off offset:48
	global_load_dwordx4 v[32:35], v[56:57], off offset:64
	global_load_dwordx4 v[28:31], v[56:57], off offset:80
	global_load_dwordx4 v[24:27], v[56:57], off offset:112
	global_load_dwordx4 v[36:39], v[56:57], off offset:96
	global_load_dwordx4 v[0:3], v[56:57], off offset:144
	v_mov_b32_e32 v60, 0
	ds_read2_b64 v[40:43], v60 offset1:42
	ds_read_b128 v[44:47], v60 offset:160
	ds_read_b128 v[48:51], v60 offset:320
	;; [unrolled: 1-line block ×9, first 2 shown]
	s_movk_i32 s6, 0x400
	s_waitcnt vmcnt(8)
	v_mul_f64 v[4:5], v[18:19], s[0:1]
	s_waitcnt lgkmcnt(9)
	v_mul_f64 v[4:5], v[40:41], v[4:5]
	s_waitcnt lgkmcnt(8)
	v_mul_f64 v[18:19], v[4:5], v[44:45]
	v_fma_f64 v[18:19], v[20:21], s[0:1], -v[18:19]
	s_waitcnt lgkmcnt(7)
	v_mul_f64 v[20:21], v[4:5], v[48:49]
	s_waitcnt lgkmcnt(6)
	v_mul_f64 v[22:23], v[4:5], v[52:53]
	s_waitcnt vmcnt(7)
	v_fma_f64 v[14:15], v[14:15], s[0:1], -v[20:21]
	v_fma_f64 v[20:21], v[16:17], s[0:1], -v[22:23]
	s_waitcnt lgkmcnt(5)
	v_mul_f64 v[16:17], v[4:5], v[62:63]
	s_waitcnt lgkmcnt(4)
	v_mul_f64 v[22:23], v[4:5], v[66:67]
	s_waitcnt vmcnt(6)
	v_fma_f64 v[40:41], v[10:11], s[0:1], -v[16:17]
	s_waitcnt lgkmcnt(3)
	v_mul_f64 v[10:11], v[4:5], v[70:71]
	v_fma_f64 v[22:23], v[12:13], s[0:1], -v[22:23]
	s_waitcnt lgkmcnt(2)
	v_mul_f64 v[12:13], v[4:5], v[74:75]
	s_waitcnt vmcnt(5)
	v_fma_f64 v[52:53], v[6:7], s[0:1], -v[10:11]
	s_waitcnt lgkmcnt(1)
	v_mul_f64 v[6:7], v[4:5], v[78:79]
	s_waitcnt lgkmcnt(0)
	v_mul_f64 v[10:11], v[4:5], v[82:83]
	v_fma_f64 v[8:9], v[8:9], s[0:1], -v[12:13]
	s_waitcnt vmcnt(4)
	v_fma_f64 v[66:67], v[32:33], s[0:1], -v[6:7]
	v_fma_f64 v[70:71], v[34:35], s[0:1], -v[10:11]
	v_mul_f64 v[6:7], v[46:47], v[18:19]
	ds_read_b128 v[10:13], v60 offset:496
	v_fma_f64 v[74:75], -v[6:7], v[50:51], v[14:15]
	ds_read_b128 v[14:17], v60 offset:656
	v_fma_f64 v[78:79], -v[6:7], v[54:55], v[20:21]
	ds_read_b128 v[18:21], v60 offset:816
	ds_read_b128 v[48:51], v60 offset:832
	v_fma_f64 v[86:87], -v[6:7], v[72:73], v[52:53]
	ds_read_b128 v[52:55], v60 offset:976
	v_fma_f64 v[22:23], -v[6:7], v[68:69], v[22:23]
	v_fma_f64 v[88:89], -v[6:7], v[76:77], v[8:9]
	;; [unrolled: 1-line block ×3, first 2 shown]
	ds_read_b128 v[66:69], v60 offset:1136
	v_mul_f64 v[8:9], v[42:43], v[74:75]
	ds_read_b128 v[74:77], v60 offset:1152
	v_fma_f64 v[82:83], -v[6:7], v[64:65], v[40:41]
	v_fma_f64 v[84:85], -v[6:7], v[84:85], v[70:71]
	ds_read_b128 v[70:73], v60 offset:1296
	s_waitcnt lgkmcnt(7)
	v_fma_f64 v[10:11], -v[8:9], v[10:11], v[78:79]
	ds_read2_b64 v[44:47], v60 offset0:84 offset1:126
	v_mul_f64 v[10:11], v[12:13], v[10:11]
	s_waitcnt lgkmcnt(7)
	v_fma_f64 v[12:13], -v[8:9], v[14:15], v[82:83]
	v_fma_f64 v[78:79], -v[10:11], v[16:17], v[12:13]
	ds_read_b128 v[12:15], v60 offset:1168
	s_waitcnt lgkmcnt(7)
	v_fma_f64 v[16:17], -v[8:9], v[18:19], v[22:23]
	ds_read_b128 v[62:65], v60 offset:992
	v_fma_f64 v[22:23], -v[10:11], v[20:21], v[16:17]
	s_waitcnt lgkmcnt(6)
	v_fma_f64 v[20:21], -v[8:9], v[52:53], v[86:87]
	ds_read_b128 v[16:19], v60 offset:1312
	v_fma_f64 v[82:83], -v[10:11], v[54:55], v[20:21]
	ds_read_b128 v[52:55], v60 offset:1328
	s_waitcnt lgkmcnt(7)
	v_fma_f64 v[20:21], -v[8:9], v[66:67], v[88:89]
	v_fma_f64 v[86:87], -v[10:11], v[68:69], v[20:21]
	s_waitcnt lgkmcnt(5)
	v_fma_f64 v[20:21], -v[8:9], v[70:71], v[80:81]
	v_fma_f64 v[80:81], -v[10:11], v[72:73], v[20:21]
	s_waitcnt lgkmcnt(4)
	v_mul_f64 v[20:21], v[44:45], v[78:79]
	v_fma_f64 v[22:23], -v[20:21], v[48:49], v[22:23]
	s_waitcnt lgkmcnt(2)
	v_fma_f64 v[44:45], -v[20:21], v[62:63], v[82:83]
	v_mul_f64 v[22:23], v[50:51], v[22:23]
	ds_read_b128 v[40:43], v60 offset:1456
	ds_read_b128 v[70:73], v60 offset:1472
	v_fma_f64 v[48:49], -v[20:21], v[74:75], v[86:87]
	s_waitcnt lgkmcnt(3)
	v_fma_f64 v[16:17], -v[20:21], v[16:17], v[80:81]
	v_fma_f64 v[44:45], -v[22:23], v[64:65], v[44:45]
	;; [unrolled: 1-line block ×4, first 2 shown]
	v_mul_f64 v[16:17], v[46:47], v[44:45]
	v_fma_f64 v[12:13], -v[16:17], v[12:13], v[48:49]
	s_waitcnt lgkmcnt(2)
	v_fma_f64 v[44:45], -v[16:17], v[52:53], v[18:19]
	v_mul_f64 v[18:19], v[14:15], v[12:13]
	v_fma_f64 v[12:13], -v[18:19], v[54:55], v[44:45]
	ds_read_b128 v[44:47], v60 offset:1488
	ds_read2_b64 v[66:69], v60 offset0:168 offset1:210
	s_waitcnt lgkmcnt(3)
	v_fma_f64 v[40:41], -v[8:9], v[40:41], v[84:85]
	v_fma_f64 v[14:15], -v[10:11], v[42:43], v[40:41]
	ds_read_b128 v[40:43], v60 offset:1504
	s_waitcnt lgkmcnt(3)
	v_fma_f64 v[14:15], -v[20:21], v[70:71], v[14:15]
	v_fma_f64 v[14:15], -v[22:23], v[72:73], v[14:15]
	s_waitcnt lgkmcnt(2)
	v_fma_f64 v[14:15], -v[16:17], v[44:45], v[14:15]
	s_waitcnt lgkmcnt(1)
	v_mul_f64 v[12:13], v[66:67], v[12:13]
	v_fma_f64 v[14:15], -v[18:19], v[46:47], v[14:15]
	ds_read_b128 v[44:47], v60 offset:1600
	s_waitcnt lgkmcnt(1)
	v_fma_f64 v[14:15], -v[12:13], v[40:41], v[14:15]
	v_mul_f64 v[14:15], v[42:43], v[14:15]
	global_store_dwordx4 v[56:57], v[4:7], off
	global_store_dwordx4 v[56:57], v[8:11], off offset:16
	global_store_dwordx4 v[56:57], v[20:23], off offset:32
	;; [unrolled: 1-line block ×4, first 2 shown]
	global_load_dwordx4 v[32:35], v[56:57], off offset:128
	ds_read_b128 v[40:43], v60 offset:1616
	ds_read_b128 v[48:51], v60 offset:1632
	s_waitcnt lgkmcnt(2)
	v_mul_f64 v[44:45], v[4:5], v[44:45]
	s_waitcnt vmcnt(9)
	v_fma_f64 v[28:29], v[28:29], s[0:1], -v[44:45]
	v_fma_f64 v[28:29], -v[6:7], v[46:47], v[28:29]
	ds_read_b128 v[44:47], v60 offset:1648
	s_waitcnt lgkmcnt(2)
	v_fma_f64 v[28:29], -v[8:9], v[40:41], v[28:29]
	v_fma_f64 v[28:29], -v[10:11], v[42:43], v[28:29]
	ds_read_b128 v[40:43], v60 offset:1664
	s_waitcnt lgkmcnt(2)
	v_fma_f64 v[28:29], -v[20:21], v[48:49], v[28:29]
	v_fma_f64 v[28:29], -v[22:23], v[50:51], v[28:29]
	s_waitcnt lgkmcnt(1)
	v_fma_f64 v[28:29], -v[16:17], v[44:45], v[28:29]
	v_fma_f64 v[28:29], -v[18:19], v[46:47], v[28:29]
	ds_read_b128 v[44:47], v60 offset:1760
	s_waitcnt lgkmcnt(1)
	v_fma_f64 v[28:29], -v[12:13], v[40:41], v[28:29]
	v_fma_f64 v[28:29], -v[14:15], v[42:43], v[28:29]
	ds_read_b128 v[40:43], v60 offset:1776
	ds_read_b128 v[48:51], v60 offset:1792
	s_waitcnt lgkmcnt(2)
	v_mul_f64 v[44:45], v[4:5], v[44:45]
	v_fma_f64 v[30:31], v[30:31], s[0:1], -v[44:45]
	v_fma_f64 v[30:31], -v[6:7], v[46:47], v[30:31]
	s_waitcnt lgkmcnt(1)
	v_fma_f64 v[30:31], -v[8:9], v[40:41], v[30:31]
	v_fma_f64 v[30:31], -v[10:11], v[42:43], v[30:31]
	ds_read_b128 v[40:43], v60 offset:1808
	ds_read_b128 v[44:47], v60 offset:1824
	s_waitcnt lgkmcnt(2)
	v_fma_f64 v[30:31], -v[20:21], v[48:49], v[30:31]
	v_fma_f64 v[30:31], -v[22:23], v[50:51], v[30:31]
	ds_read_b128 v[48:51], v60 offset:1840
	s_waitcnt lgkmcnt(2)
	v_fma_f64 v[30:31], -v[16:17], v[40:41], v[30:31]
	v_fma_f64 v[30:31], -v[18:19], v[42:43], v[30:31]
	s_waitcnt lgkmcnt(1)
	v_fma_f64 v[30:31], -v[12:13], v[44:45], v[30:31]
	ds_read_b128 v[40:43], v60 offset:1920
	v_mul_f64 v[28:29], v[68:69], v[28:29]
	v_fma_f64 v[30:31], -v[14:15], v[46:47], v[30:31]
	s_waitcnt lgkmcnt(1)
	v_fma_f64 v[30:31], -v[28:29], v[48:49], v[30:31]
	v_mul_f64 v[30:31], v[50:51], v[30:31]
	global_store_dwordx4 v[56:57], v[28:31], off offset:80
	ds_read_b128 v[44:47], v60 offset:1936
	ds_read_b128 v[48:51], v60 offset:1952
	;; [unrolled: 1-line block ×3, first 2 shown]
	s_waitcnt lgkmcnt(3)
	v_mul_f64 v[40:41], v[4:5], v[40:41]
	s_waitcnt vmcnt(8)
	v_fma_f64 v[36:37], v[36:37], s[0:1], -v[40:41]
	v_fma_f64 v[36:37], -v[6:7], v[42:43], v[36:37]
	s_waitcnt lgkmcnt(2)
	v_fma_f64 v[36:37], -v[8:9], v[44:45], v[36:37]
	v_fma_f64 v[36:37], -v[10:11], v[46:47], v[36:37]
	ds_read_b128 v[40:43], v60 offset:1984
	ds_read_b128 v[44:47], v60 offset:2000
	s_waitcnt lgkmcnt(3)
	v_fma_f64 v[36:37], -v[20:21], v[48:49], v[36:37]
	v_fma_f64 v[36:37], -v[22:23], v[50:51], v[36:37]
	s_waitcnt lgkmcnt(2)
	v_fma_f64 v[36:37], -v[16:17], v[52:53], v[36:37]
	v_fma_f64 v[36:37], -v[18:19], v[54:55], v[36:37]
	s_waitcnt lgkmcnt(1)
	v_fma_f64 v[36:37], -v[12:13], v[40:41], v[36:37]
	v_add_u32_e64 v40, s6, 0
	ds_read2_b64 v[48:51], v40 offset0:124 offset1:166
	v_fma_f64 v[36:37], -v[14:15], v[42:43], v[36:37]
	ds_read_b128 v[40:43], v60 offset:2080
	s_waitcnt lgkmcnt(2)
	v_fma_f64 v[36:37], -v[28:29], v[44:45], v[36:37]
	v_fma_f64 v[36:37], -v[30:31], v[46:47], v[36:37]
	ds_read_b128 v[44:47], v60 offset:2096
	s_waitcnt lgkmcnt(2)
	v_mul_f64 v[36:37], v[48:49], v[36:37]
	s_waitcnt lgkmcnt(1)
	v_mul_f64 v[40:41], v[4:5], v[40:41]
	v_fma_f64 v[48:49], v[38:39], s[0:1], -v[40:41]
	ds_read_b128 v[38:41], v60 offset:2112
	v_fma_f64 v[42:43], -v[6:7], v[42:43], v[48:49]
	s_waitcnt lgkmcnt(1)
	v_fma_f64 v[48:49], -v[8:9], v[44:45], v[42:43]
	ds_read_b128 v[42:45], v60 offset:2128
	v_fma_f64 v[46:47], -v[10:11], v[46:47], v[48:49]
	s_waitcnt lgkmcnt(1)
	v_fma_f64 v[38:39], -v[20:21], v[38:39], v[46:47]
	;; [unrolled: 4-line block ×6, first 2 shown]
	v_mul_f64 v[38:39], v[44:45], v[38:39]
	global_store_dwordx4 v[56:57], v[36:39], off offset:96
	ds_read_b128 v[40:43], v60 offset:2256
	ds_read_b128 v[52:55], v60 offset:2272
	s_waitcnt lgkmcnt(2)
	v_mul_f64 v[44:45], v[4:5], v[46:47]
	v_fma_f64 v[24:25], v[24:25], s[0:1], -v[44:45]
	v_fma_f64 v[24:25], -v[6:7], v[48:49], v[24:25]
	ds_read_b128 v[44:47], v60 offset:2288
	s_waitcnt lgkmcnt(2)
	v_fma_f64 v[24:25], -v[8:9], v[40:41], v[24:25]
	v_fma_f64 v[24:25], -v[10:11], v[42:43], v[24:25]
	ds_read_b128 v[40:43], v60 offset:2304
	s_waitcnt lgkmcnt(2)
	v_fma_f64 v[24:25], -v[20:21], v[52:53], v[24:25]
	;; [unrolled: 4-line block ×4, first 2 shown]
	v_fma_f64 v[24:25], -v[14:15], v[42:43], v[24:25]
	s_waitcnt lgkmcnt(1)
	v_fma_f64 v[24:25], -v[28:29], v[52:53], v[24:25]
	ds_read_b128 v[40:43], v60 offset:2400
	v_fma_f64 v[24:25], -v[30:31], v[54:55], v[24:25]
	s_waitcnt lgkmcnt(1)
	v_fma_f64 v[24:25], -v[36:37], v[44:45], v[24:25]
	v_fma_f64 v[24:25], -v[38:39], v[46:47], v[24:25]
	ds_read_b128 v[44:47], v60 offset:2416
	v_mul_f64 v[24:25], v[50:51], v[24:25]
	s_waitcnt lgkmcnt(1)
	v_mul_f64 v[40:41], v[4:5], v[40:41]
	ds_read_b128 v[48:51], v60 offset:2432
	v_fma_f64 v[26:27], v[26:27], s[0:1], -v[40:41]
	v_fma_f64 v[26:27], -v[6:7], v[42:43], v[26:27]
	ds_read_b128 v[40:43], v60 offset:2448
	s_waitcnt lgkmcnt(2)
	v_fma_f64 v[26:27], -v[8:9], v[44:45], v[26:27]
	v_fma_f64 v[26:27], -v[10:11], v[46:47], v[26:27]
	s_waitcnt lgkmcnt(1)
	v_fma_f64 v[26:27], -v[20:21], v[48:49], v[26:27]
	ds_read_b128 v[44:47], v60 offset:2464
	v_fma_f64 v[26:27], -v[22:23], v[50:51], v[26:27]
	s_waitcnt lgkmcnt(1)
	v_fma_f64 v[26:27], -v[16:17], v[40:41], v[26:27]
	v_fma_f64 v[26:27], -v[18:19], v[42:43], v[26:27]
	ds_read_b128 v[40:43], v60 offset:2480
	ds_read_b128 v[48:51], v60 offset:2496
	s_waitcnt lgkmcnt(2)
	v_fma_f64 v[26:27], -v[12:13], v[44:45], v[26:27]
	v_fma_f64 v[26:27], -v[14:15], v[46:47], v[26:27]
	ds_read_b128 v[44:47], v60 offset:2512
	s_waitcnt lgkmcnt(2)
	v_fma_f64 v[26:27], -v[28:29], v[40:41], v[26:27]
	v_fma_f64 v[26:27], -v[30:31], v[42:43], v[26:27]
	s_waitcnt lgkmcnt(1)
	v_fma_f64 v[26:27], -v[36:37], v[48:49], v[26:27]
	ds_read_b128 v[40:43], v60 offset:2560
	v_fma_f64 v[26:27], -v[38:39], v[50:51], v[26:27]
	s_waitcnt lgkmcnt(1)
	v_fma_f64 v[26:27], -v[24:25], v[44:45], v[26:27]
	v_mul_f64 v[26:27], v[46:47], v[26:27]
	global_store_dwordx4 v[56:57], v[24:27], off offset:112
	ds_read_b128 v[44:47], v60 offset:2576
	ds_read_b128 v[48:51], v60 offset:2592
	;; [unrolled: 1-line block ×3, first 2 shown]
	s_waitcnt lgkmcnt(3)
	v_mul_f64 v[40:41], v[4:5], v[40:41]
	s_waitcnt vmcnt(3)
	v_fma_f64 v[32:33], v[32:33], s[0:1], -v[40:41]
	v_fma_f64 v[32:33], -v[6:7], v[42:43], v[32:33]
	s_waitcnt lgkmcnt(2)
	v_fma_f64 v[32:33], -v[8:9], v[44:45], v[32:33]
	v_fma_f64 v[32:33], -v[10:11], v[46:47], v[32:33]
	ds_read_b128 v[40:43], v60 offset:2624
	ds_read_b128 v[44:47], v60 offset:2640
	s_waitcnt lgkmcnt(3)
	v_fma_f64 v[32:33], -v[20:21], v[48:49], v[32:33]
	v_fma_f64 v[32:33], -v[22:23], v[50:51], v[32:33]
	s_waitcnt lgkmcnt(2)
	v_fma_f64 v[32:33], -v[16:17], v[52:53], v[32:33]
	v_fma_f64 v[32:33], -v[18:19], v[54:55], v[32:33]
	ds_read_b128 v[48:51], v60 offset:2656
	s_waitcnt lgkmcnt(2)
	v_fma_f64 v[32:33], -v[12:13], v[40:41], v[32:33]
	v_fma_f64 v[32:33], -v[14:15], v[42:43], v[32:33]
	ds_read_b128 v[40:43], v60 offset:2672
	s_waitcnt lgkmcnt(2)
	v_fma_f64 v[32:33], -v[28:29], v[44:45], v[32:33]
	v_fma_f64 v[32:33], -v[30:31], v[46:47], v[32:33]
	s_movk_i32 s6, 0x800
	s_waitcnt lgkmcnt(1)
	v_fma_f64 v[32:33], -v[36:37], v[48:49], v[32:33]
	v_add_u32_e64 v44, s6, 0
	ds_read2_b64 v[44:47], v44 offset0:80 offset1:122
	v_fma_f64 v[32:33], -v[38:39], v[50:51], v[32:33]
	ds_read_b128 v[48:51], v60 offset:2720
	s_waitcnt lgkmcnt(2)
	v_fma_f64 v[32:33], -v[24:25], v[40:41], v[32:33]
	v_fma_f64 v[32:33], -v[26:27], v[42:43], v[32:33]
	ds_read_b128 v[40:43], v60 offset:2736
	s_waitcnt lgkmcnt(2)
	v_mul_f64 v[32:33], v[44:45], v[32:33]
	s_waitcnt lgkmcnt(1)
	v_mul_f64 v[44:45], v[4:5], v[48:49]
	ds_read_b128 v[52:55], v60 offset:2752
	v_fma_f64 v[34:35], v[34:35], s[0:1], -v[44:45]
	v_fma_f64 v[34:35], -v[6:7], v[50:51], v[34:35]
	ds_read_b128 v[48:51], v60 offset:2768
	s_waitcnt lgkmcnt(2)
	v_fma_f64 v[34:35], -v[8:9], v[40:41], v[34:35]
	v_fma_f64 v[34:35], -v[10:11], v[42:43], v[34:35]
	ds_read_b128 v[40:43], v60 offset:2784
	s_waitcnt lgkmcnt(2)
	v_fma_f64 v[34:35], -v[20:21], v[52:53], v[34:35]
	v_fma_f64 v[34:35], -v[22:23], v[54:55], v[34:35]
	ds_read_b128 v[52:55], v60 offset:2800
	s_waitcnt lgkmcnt(2)
	v_fma_f64 v[34:35], -v[16:17], v[48:49], v[34:35]
	v_fma_f64 v[34:35], -v[18:19], v[50:51], v[34:35]
	ds_read_b128 v[48:51], v60 offset:2816
	s_waitcnt lgkmcnt(2)
	v_fma_f64 v[34:35], -v[12:13], v[40:41], v[34:35]
	v_fma_f64 v[34:35], -v[14:15], v[42:43], v[34:35]
	ds_read_b128 v[40:43], v60 offset:2832
	s_waitcnt lgkmcnt(2)
	v_fma_f64 v[34:35], -v[28:29], v[52:53], v[34:35]
	v_fma_f64 v[34:35], -v[30:31], v[54:55], v[34:35]
	ds_read_b128 v[52:55], v60 offset:2848
	s_waitcnt lgkmcnt(2)
	v_fma_f64 v[34:35], -v[36:37], v[48:49], v[34:35]
	v_fma_f64 v[34:35], -v[38:39], v[50:51], v[34:35]
	s_waitcnt lgkmcnt(1)
	v_fma_f64 v[34:35], -v[24:25], v[40:41], v[34:35]
	v_fma_f64 v[34:35], -v[26:27], v[42:43], v[34:35]
	ds_read_b128 v[40:43], v60 offset:2880
	s_waitcnt lgkmcnt(1)
	v_fma_f64 v[34:35], -v[32:33], v[52:53], v[34:35]
	v_mul_f64 v[34:35], v[54:55], v[34:35]
	global_store_dwordx4 v[56:57], v[32:35], off offset:128
	ds_read_b128 v[48:51], v60 offset:2896
	ds_read_b128 v[52:55], v60 offset:2912
	s_waitcnt lgkmcnt(2)
	v_mul_f64 v[40:41], v[4:5], v[40:41]
	v_fma_f64 v[0:1], v[0:1], s[0:1], -v[40:41]
	v_fma_f64 v[0:1], -v[6:7], v[42:43], v[0:1]
	ds_read_b128 v[40:43], v60 offset:2928
	s_waitcnt lgkmcnt(2)
	v_fma_f64 v[0:1], -v[8:9], v[48:49], v[0:1]
	v_fma_f64 v[0:1], -v[10:11], v[50:51], v[0:1]
	ds_read_b128 v[48:51], v60 offset:2944
	s_waitcnt lgkmcnt(2)
	v_fma_f64 v[0:1], -v[20:21], v[52:53], v[0:1]
	;; [unrolled: 4-line block ×6, first 2 shown]
	v_fma_f64 v[0:1], -v[38:39], v[42:43], v[0:1]
	s_waitcnt lgkmcnt(1)
	v_fma_f64 v[0:1], -v[24:25], v[48:49], v[0:1]
	v_fma_f64 v[0:1], -v[26:27], v[50:51], v[0:1]
	ds_read_b128 v[40:43], v60 offset:3040
	s_waitcnt lgkmcnt(1)
	v_fma_f64 v[0:1], -v[32:33], v[52:53], v[0:1]
	v_fma_f64 v[0:1], -v[34:35], v[54:55], v[0:1]
	v_mul_f64 v[0:1], v[46:47], v[0:1]
	ds_read_b128 v[44:47], v60 offset:3056
	s_waitcnt lgkmcnt(1)
	v_mul_f64 v[4:5], v[4:5], v[40:41]
	v_fma_f64 v[40:41], v[2:3], s[0:1], -v[4:5]
	ds_read_b128 v[2:5], v60 offset:3072
	v_fma_f64 v[6:7], -v[6:7], v[42:43], v[40:41]
	s_waitcnt lgkmcnt(1)
	v_fma_f64 v[40:41], -v[8:9], v[44:45], v[6:7]
	ds_read_b128 v[6:9], v60 offset:3088
	v_fma_f64 v[10:11], -v[10:11], v[46:47], v[40:41]
	s_waitcnt lgkmcnt(1)
	v_fma_f64 v[2:3], -v[20:21], v[2:3], v[10:11]
	;; [unrolled: 4-line block ×5, first 2 shown]
	v_fma_f64 v[10:11], -v[30:31], v[4:5], v[2:3]
	ds_read_b128 v[2:5], v60 offset:3152
	s_waitcnt lgkmcnt(1)
	v_fma_f64 v[6:7], -v[36:37], v[6:7], v[10:11]
	ds_read_b128 v[10:13], v60 offset:3168
	v_fma_f64 v[14:15], -v[38:39], v[8:9], v[6:7]
	ds_read_b128 v[6:9], v60 offset:3184
	s_waitcnt lgkmcnt(2)
	v_fma_f64 v[2:3], -v[24:25], v[2:3], v[14:15]
	v_fma_f64 v[2:3], -v[26:27], v[4:5], v[2:3]
	s_waitcnt lgkmcnt(1)
	v_fma_f64 v[2:3], -v[32:33], v[10:11], v[2:3]
	v_fma_f64 v[2:3], -v[34:35], v[12:13], v[2:3]
	s_waitcnt lgkmcnt(0)
	v_fma_f64 v[2:3], -v[0:1], v[6:7], v[2:3]
	v_mul_f64 v[2:3], v[8:9], v[2:3]
	s_mov_b32 s6, 20
	global_store_dwordx4 v[56:57], v[0:3], off offset:144
.LBB88_14:
	s_cmp_lt_i32 s6, s16
	s_cbranch_scc0 .LBB88_34
; %bb.15:
	s_add_i32 s7, s6, 15
	s_cmp_ge_u32 s7, s16
	s_cbranch_scc1 .LBB88_23
; %bb.16:
	s_lshl_b32 s12, s6, 3
	v_add_co_u32_e32 v28, vcc, s12, v56
	v_addc_co_u32_e32 v29, vcc, 0, v57, vcc
	global_load_dwordx4 v[0:3], v[28:29], off
	global_load_dwordx4 v[4:7], v[28:29], off offset:16
	global_load_dwordx4 v[8:11], v[28:29], off offset:32
	;; [unrolled: 1-line block ×7, first 2 shown]
	s_mov_b32 s12, 0
	s_andn2_b64 vcc, exec, s[8:9]
	s_waitcnt vmcnt(7)
	v_mul_f64 v[36:37], v[0:1], s[0:1]
	v_mul_f64 v[34:35], v[2:3], s[0:1]
	s_waitcnt vmcnt(6)
	v_mul_f64 v[4:5], v[4:5], s[0:1]
	v_mul_f64 v[6:7], v[6:7], s[0:1]
	;; [unrolled: 3-line block ×8, first 2 shown]
	s_cbranch_vccnz .LBB88_22
; %bb.17:
	s_max_u32 s8, s6, 1
	s_cmp_eq_u32 s8, 1
	s_cbranch_scc1 .LBB88_20
; %bb.18:
	s_and_b32 s12, s8, 20
	s_add_u32 s13, s10, s4
	s_addc_u32 s15, s11, s5
	s_add_u32 s13, s13, s2
	s_addc_u32 s15, s15, s3
	v_mov_b32_e32 v0, s15
	v_add_co_u32_e32 v1, vcc, s13, v58
	v_addc_co_u32_e32 v0, vcc, v0, v59, vcc
	v_add_co_u32_e32 v38, vcc, 8, v1
	s_mul_i32 s9, s6, 0xa0
	v_addc_co_u32_e32 v39, vcc, 0, v0, vcc
	s_mov_b32 s13, 0
.LBB88_19:                              ; =>This Inner Loop Header: Depth=1
	global_load_dwordx4 v[0:3], v[38:39], off offset:-8
	v_mov_b32_e32 v88, s9
	ds_read_b128 v[40:43], v88
	ds_read_b128 v[44:47], v88 offset:160
	ds_read_b128 v[48:51], v88 offset:320
	;; [unrolled: 1-line block ×10, first 2 shown]
	s_add_i32 s13, s13, 2
	s_add_i32 s9, s9, 16
	v_add_co_u32_e32 v38, vcc, 16, v38
	v_addc_co_u32_e32 v39, vcc, 0, v39, vcc
	s_cmp_lg_u32 s12, s13
	s_waitcnt vmcnt(0) lgkmcnt(10)
	v_fma_f64 v[36:37], -v[0:1], v[40:41], v[36:37]
	s_waitcnt lgkmcnt(9)
	v_fma_f64 v[34:35], -v[0:1], v[44:45], v[34:35]
	s_waitcnt lgkmcnt(8)
	;; [unrolled: 2-line block ×4, first 2 shown]
	v_fma_f64 v[8:9], -v[0:1], v[60:61], v[8:9]
	v_fma_f64 v[36:37], -v[2:3], v[42:43], v[36:37]
	ds_read_b128 v[40:43], v88 offset:1760
	v_fma_f64 v[34:35], -v[2:3], v[46:47], v[34:35]
	ds_read_b128 v[44:47], v88 offset:1920
	;; [unrolled: 2-line block ×5, first 2 shown]
	s_waitcnt lgkmcnt(10)
	v_fma_f64 v[10:11], -v[0:1], v[64:65], v[10:11]
	s_waitcnt lgkmcnt(9)
	v_fma_f64 v[12:13], -v[0:1], v[68:69], v[12:13]
	;; [unrolled: 2-line block ×11, first 2 shown]
	v_fma_f64 v[10:11], -v[2:3], v[66:67], v[10:11]
	v_fma_f64 v[12:13], -v[2:3], v[70:71], v[12:13]
	;; [unrolled: 1-line block ×11, first 2 shown]
	s_cbranch_scc1 .LBB88_19
.LBB88_20:
	s_bitcmp0_b32 s8, 0
	s_cbranch_scc1 .LBB88_22
; %bb.21:
	s_lshl_b32 s8, s12, 3
	v_add_co_u32_e32 v0, vcc, s8, v56
	v_addc_co_u32_e32 v1, vcc, 0, v57, vcc
	global_load_dwordx2 v[54:55], v[0:1], off
	s_mul_i32 s8, s6, 20
	s_add_i32 s8, s8, s12
	s_lshl_b32 s8, s8, 3
	v_mov_b32_e32 v64, s8
	v_add_u32_e32 v65, 0x400, v64
	v_add_u32_e32 v68, 0x800, v64
	ds_read2_b64 v[0:3], v64 offset1:20
	ds_read2_b64 v[38:41], v64 offset0:40 offset1:60
	ds_read2_b64 v[42:45], v64 offset0:80 offset1:100
	;; [unrolled: 1-line block ×7, first 2 shown]
	s_waitcnt vmcnt(0) lgkmcnt(7)
	v_fma_f64 v[36:37], -v[54:55], v[0:1], v[36:37]
	v_fma_f64 v[34:35], -v[54:55], v[2:3], v[34:35]
	s_waitcnt lgkmcnt(6)
	v_fma_f64 v[4:5], -v[54:55], v[38:39], v[4:5]
	v_fma_f64 v[6:7], -v[54:55], v[40:41], v[6:7]
	s_waitcnt lgkmcnt(5)
	;; [unrolled: 3-line block ×7, first 2 shown]
	v_fma_f64 v[32:33], -v[54:55], v[68:69], v[32:33]
	v_fma_f64 v[30:31], -v[54:55], v[70:71], v[30:31]
.LBB88_22:
	s_mul_i32 s8, s6, 0xa8
	v_mov_b32_e32 v38, s8
	s_or_b32 s8, s6, 1
	s_mul_i32 s8, s8, 20
	s_add_i32 s8, s8, s6
	s_lshl_b32 s8, s8, 3
	ds_read2_b64 v[40:43], v38 offset1:42
	v_mov_b32_e32 v39, s8
	ds_read_b128 v[44:47], v39
	ds_read_b128 v[48:51], v39 offset:160
	s_add_i32 s9, s6, 14
	s_waitcnt lgkmcnt(2)
	v_mul_f64 v[0:1], v[40:41], v[36:37]
	s_mul_i32 s9, s9, 20
	s_waitcnt lgkmcnt(1)
	v_fma_f64 v[2:3], -v[0:1], v[44:45], v[34:35]
	ds_read_b128 v[34:37], v39 offset:320
	v_mul_f64 v[2:3], v[46:47], v[2:3]
	ds_read_b128 v[44:47], v39 offset:336
	s_waitcnt lgkmcnt(2)
	v_fma_f64 v[4:5], -v[0:1], v[48:49], v[4:5]
	v_fma_f64 v[4:5], -v[2:3], v[50:51], v[4:5]
	s_waitcnt lgkmcnt(1)
	v_fma_f64 v[6:7], -v[0:1], v[34:35], v[6:7]
	v_fma_f64 v[6:7], -v[2:3], v[36:37], v[6:7]
	ds_read_b128 v[34:37], v39 offset:480
	v_mul_f64 v[4:5], v[42:43], v[4:5]
	ds_read_b128 v[40:43], v39 offset:496
	s_waitcnt lgkmcnt(2)
	v_fma_f64 v[6:7], -v[4:5], v[44:45], v[6:7]
	v_mul_f64 v[6:7], v[46:47], v[6:7]
	global_store_dwordx4 v[28:29], v[0:3], off
	global_store_dwordx4 v[28:29], v[4:7], off offset:16
	s_waitcnt lgkmcnt(1)
	v_fma_f64 v[8:9], -v[0:1], v[34:35], v[8:9]
	v_fma_f64 v[8:9], -v[2:3], v[36:37], v[8:9]
	ds_read2_b64 v[34:37], v38 offset0:84 offset1:126
	ds_read_b128 v[44:47], v39 offset:640
	s_waitcnt lgkmcnt(2)
	v_fma_f64 v[8:9], -v[4:5], v[40:41], v[8:9]
	v_fma_f64 v[8:9], -v[6:7], v[42:43], v[8:9]
	ds_read_b128 v[40:43], v39 offset:656
	s_waitcnt lgkmcnt(2)
	v_mul_f64 v[8:9], v[34:35], v[8:9]
	s_waitcnt lgkmcnt(1)
	v_fma_f64 v[10:11], -v[0:1], v[44:45], v[10:11]
	v_fma_f64 v[10:11], -v[2:3], v[46:47], v[10:11]
	ds_read_b128 v[44:47], v39 offset:672
	s_waitcnt lgkmcnt(1)
	v_fma_f64 v[10:11], -v[4:5], v[40:41], v[10:11]
	v_fma_f64 v[10:11], -v[6:7], v[42:43], v[10:11]
	ds_read2_b64 v[40:43], v39 offset0:100 offset1:105
	ds_read2_b64 v[48:51], v39 offset0:101 offset1:102
	s_add_i32 s9, s9, s6
	s_waitcnt lgkmcnt(2)
	v_fma_f64 v[10:11], -v[8:9], v[44:45], v[10:11]
	v_mul_f64 v[10:11], v[46:47], v[10:11]
	ds_read2_b64 v[44:47], v39 offset0:103 offset1:104
	s_waitcnt lgkmcnt(2)
	v_fma_f64 v[12:13], -v[0:1], v[40:41], v[12:13]
	s_waitcnt lgkmcnt(1)
	v_fma_f64 v[12:13], -v[2:3], v[48:49], v[12:13]
	v_fma_f64 v[12:13], -v[4:5], v[50:51], v[12:13]
	global_store_dwordx4 v[28:29], v[8:11], off offset:32
	s_waitcnt lgkmcnt(0)
	v_fma_f64 v[12:13], -v[6:7], v[44:45], v[12:13]
	ds_read2_b64 v[48:51], v39 offset0:120 offset1:140
	ds_read2_b64 v[52:55], v39 offset0:121 offset1:122
	v_fma_f64 v[12:13], -v[8:9], v[46:47], v[12:13]
	v_fma_f64 v[12:13], -v[10:11], v[42:43], v[12:13]
	v_mul_f64 v[12:13], v[36:37], v[12:13]
	ds_read2_b64 v[34:37], v39 offset0:123 offset1:124
	ds_read2_b64 v[40:43], v39 offset0:125 offset1:126
	s_waitcnt lgkmcnt(3)
	v_fma_f64 v[14:15], -v[0:1], v[48:49], v[14:15]
	s_waitcnt lgkmcnt(2)
	v_fma_f64 v[14:15], -v[2:3], v[52:53], v[14:15]
	v_fma_f64 v[14:15], -v[4:5], v[54:55], v[14:15]
	ds_read2_b64 v[44:47], v38 offset0:147 offset1:168
	s_waitcnt lgkmcnt(2)
	v_fma_f64 v[14:15], -v[6:7], v[34:35], v[14:15]
	v_fma_f64 v[14:15], -v[8:9], v[36:37], v[14:15]
	s_waitcnt lgkmcnt(1)
	v_fma_f64 v[14:15], -v[10:11], v[40:41], v[14:15]
	v_fma_f64 v[14:15], -v[12:13], v[42:43], v[14:15]
	s_waitcnt lgkmcnt(0)
	v_mul_f64 v[14:15], v[44:45], v[14:15]
	ds_read2_b64 v[34:37], v39 offset0:141 offset1:142
	global_store_dwordx4 v[28:29], v[12:15], off offset:48
	ds_read2_b64 v[40:43], v39 offset0:147 offset1:160
	ds_read2_b64 v[52:55], v39 offset0:143 offset1:144
	v_fma_f64 v[16:17], -v[0:1], v[50:51], v[16:17]
	ds_read2_b64 v[48:51], v39 offset0:145 offset1:146
	s_waitcnt lgkmcnt(3)
	v_fma_f64 v[16:17], -v[2:3], v[34:35], v[16:17]
	v_fma_f64 v[16:17], -v[4:5], v[36:37], v[16:17]
	ds_read2_b64 v[34:37], v39 offset0:161 offset1:162
	s_waitcnt lgkmcnt(2)
	v_fma_f64 v[16:17], -v[6:7], v[52:53], v[16:17]
	v_fma_f64 v[16:17], -v[8:9], v[54:55], v[16:17]
	s_waitcnt lgkmcnt(1)
	v_fma_f64 v[16:17], -v[10:11], v[48:49], v[16:17]
	v_fma_f64 v[16:17], -v[12:13], v[50:51], v[16:17]
	;; [unrolled: 1-line block ×3, first 2 shown]
	v_mul_f64 v[16:17], v[46:47], v[16:17]
	ds_read2_b64 v[44:47], v39 offset0:163 offset1:164
	v_fma_f64 v[18:19], -v[0:1], v[42:43], v[18:19]
	ds_read2_b64 v[40:43], v39 offset0:165 offset1:166
	s_waitcnt lgkmcnt(2)
	v_fma_f64 v[18:19], -v[2:3], v[34:35], v[18:19]
	v_fma_f64 v[18:19], -v[4:5], v[36:37], v[18:19]
	s_waitcnt lgkmcnt(1)
	v_fma_f64 v[18:19], -v[6:7], v[44:45], v[18:19]
	ds_read2_b64 v[34:37], v39 offset0:167 offset1:168
	v_fma_f64 v[18:19], -v[8:9], v[46:47], v[18:19]
	s_waitcnt lgkmcnt(1)
	v_fma_f64 v[18:19], -v[10:11], v[40:41], v[18:19]
	v_fma_f64 v[18:19], -v[12:13], v[42:43], v[18:19]
	ds_read2_b64 v[40:43], v38 offset0:189 offset1:210
	ds_read2_b64 v[44:47], v39 offset0:181 offset1:182
	;; [unrolled: 1-line block ×3, first 2 shown]
	s_waitcnt lgkmcnt(3)
	v_fma_f64 v[18:19], -v[14:15], v[34:35], v[18:19]
	v_fma_f64 v[18:19], -v[16:17], v[36:37], v[18:19]
	ds_read2_b64 v[34:37], v39 offset0:183 offset1:184
	ds_read2_b64 v[52:55], v39 offset0:185 offset1:186
	s_waitcnt lgkmcnt(2)
	v_fma_f64 v[20:21], -v[0:1], v[48:49], v[20:21]
	v_fma_f64 v[20:21], -v[2:3], v[44:45], v[20:21]
	;; [unrolled: 1-line block ×3, first 2 shown]
	ds_read2_b64 v[44:47], v39 offset0:187 offset1:188
	s_waitcnt lgkmcnt(2)
	v_fma_f64 v[20:21], -v[6:7], v[34:35], v[20:21]
	v_fma_f64 v[20:21], -v[8:9], v[36:37], v[20:21]
	ds_read2_b64 v[34:37], v39 offset0:201 offset1:202
	s_waitcnt lgkmcnt(2)
	v_fma_f64 v[20:21], -v[10:11], v[52:53], v[20:21]
	v_fma_f64 v[20:21], -v[12:13], v[54:55], v[20:21]
	s_waitcnt lgkmcnt(1)
	v_fma_f64 v[20:21], -v[14:15], v[44:45], v[20:21]
	ds_read2_b64 v[52:55], v39 offset0:200 offset1:220
	v_mul_f64 v[18:19], v[40:41], v[18:19]
	v_fma_f64 v[20:21], -v[16:17], v[46:47], v[20:21]
	v_fma_f64 v[20:21], -v[18:19], v[50:51], v[20:21]
	v_mul_f64 v[20:21], v[42:43], v[20:21]
	ds_read2_b64 v[40:43], v39 offset0:203 offset1:204
	ds_read2_b64 v[44:47], v39 offset0:205 offset1:206
	s_waitcnt lgkmcnt(2)
	v_fma_f64 v[22:23], -v[0:1], v[52:53], v[22:23]
	v_fma_f64 v[22:23], -v[2:3], v[34:35], v[22:23]
	;; [unrolled: 1-line block ×3, first 2 shown]
	ds_read2_b64 v[34:37], v39 offset0:207 offset1:208
	s_waitcnt lgkmcnt(2)
	v_fma_f64 v[22:23], -v[6:7], v[40:41], v[22:23]
	v_fma_f64 v[22:23], -v[8:9], v[42:43], v[22:23]
	ds_read2_b64 v[40:43], v39 offset0:209 offset1:210
	s_waitcnt lgkmcnt(2)
	v_fma_f64 v[22:23], -v[10:11], v[44:45], v[22:23]
	v_fma_f64 v[22:23], -v[12:13], v[46:47], v[22:23]
	s_waitcnt lgkmcnt(1)
	v_fma_f64 v[22:23], -v[14:15], v[34:35], v[22:23]
	v_fma_f64 v[22:23], -v[16:17], v[36:37], v[22:23]
	ds_read2_b64 v[34:37], v39 offset0:221 offset1:222
	s_waitcnt lgkmcnt(1)
	v_fma_f64 v[22:23], -v[18:19], v[40:41], v[22:23]
	v_fma_f64 v[22:23], -v[20:21], v[42:43], v[22:23]
	ds_read2_b64 v[40:43], v39 offset0:223 offset1:224
	v_fma_f64 v[24:25], -v[0:1], v[54:55], v[24:25]
	ds_read2_b64 v[48:51], v39 offset0:225 offset1:226
	s_waitcnt lgkmcnt(2)
	v_fma_f64 v[24:25], -v[2:3], v[34:35], v[24:25]
	v_fma_f64 v[24:25], -v[4:5], v[36:37], v[24:25]
	ds_read2_b64 v[34:37], v39 offset0:227 offset1:228
	s_waitcnt lgkmcnt(2)
	v_fma_f64 v[24:25], -v[6:7], v[40:41], v[24:25]
	v_fma_f64 v[24:25], -v[8:9], v[42:43], v[24:25]
	ds_read2_b64 v[40:43], v39 offset0:229 offset1:230
	ds_read2_b64 v[44:47], v38 offset0:231 offset1:252
	s_waitcnt lgkmcnt(3)
	v_fma_f64 v[24:25], -v[10:11], v[48:49], v[24:25]
	v_fma_f64 v[24:25], -v[12:13], v[50:51], v[24:25]
	ds_read2_b64 v[48:51], v39 offset0:231 offset1:240
	s_waitcnt lgkmcnt(3)
	v_fma_f64 v[24:25], -v[14:15], v[34:35], v[24:25]
	v_fma_f64 v[24:25], -v[16:17], v[36:37], v[24:25]
	ds_read2_b64 v[34:37], v39 offset0:241 offset1:242
	s_waitcnt lgkmcnt(3)
	v_fma_f64 v[24:25], -v[18:19], v[40:41], v[24:25]
	s_waitcnt lgkmcnt(2)
	v_mul_f64 v[22:23], v[44:45], v[22:23]
	v_fma_f64 v[24:25], -v[20:21], v[42:43], v[24:25]
	ds_read2_b64 v[40:43], v39 offset0:243 offset1:244
	s_waitcnt lgkmcnt(2)
	v_fma_f64 v[24:25], -v[22:23], v[48:49], v[24:25]
	v_mul_f64 v[24:25], v[46:47], v[24:25]
	ds_read2_b64 v[44:47], v39 offset0:245 offset1:246
	v_fma_f64 v[26:27], -v[0:1], v[50:51], v[26:27]
	s_waitcnt lgkmcnt(2)
	v_fma_f64 v[26:27], -v[2:3], v[34:35], v[26:27]
	v_fma_f64 v[26:27], -v[4:5], v[36:37], v[26:27]
	ds_read2_b64 v[34:37], v39 offset0:247 offset1:248
	s_waitcnt lgkmcnt(2)
	v_fma_f64 v[26:27], -v[6:7], v[40:41], v[26:27]
	v_fma_f64 v[26:27], -v[8:9], v[42:43], v[26:27]
	ds_read2_b64 v[40:43], v39 offset0:249 offset1:250
	s_waitcnt lgkmcnt(2)
	v_fma_f64 v[26:27], -v[10:11], v[44:45], v[26:27]
	v_fma_f64 v[26:27], -v[12:13], v[46:47], v[26:27]
	s_waitcnt lgkmcnt(1)
	v_fma_f64 v[26:27], -v[14:15], v[34:35], v[26:27]
	v_fma_f64 v[26:27], -v[16:17], v[36:37], v[26:27]
	ds_read2_b64 v[34:37], v39 offset0:251 offset1:252
	v_add_u32_e32 v38, 0x800, v38
	ds_read2_b64 v[44:47], v38 offset0:17 offset1:38
	s_waitcnt lgkmcnt(2)
	v_fma_f64 v[26:27], -v[18:19], v[40:41], v[26:27]
	v_fma_f64 v[26:27], -v[20:21], v[42:43], v[26:27]
	s_lshl_b32 s9, s9, 3
	s_waitcnt lgkmcnt(1)
	v_fma_f64 v[26:27], -v[22:23], v[34:35], v[26:27]
	v_mov_b32_e32 v52, s9
	v_fma_f64 v[26:27], -v[24:25], v[36:37], v[26:27]
	ds_read_b128 v[34:37], v52
	s_waitcnt lgkmcnt(1)
	v_mul_f64 v[26:27], v[44:45], v[26:27]
	global_store_dwordx4 v[28:29], v[16:19], off offset:64
	global_store_dwordx4 v[28:29], v[20:23], off offset:80
	;; [unrolled: 1-line block ×3, first 2 shown]
	ds_read_b128 v[38:41], v52 offset:16
	ds_read_b128 v[42:45], v52 offset:32
	;; [unrolled: 1-line block ×3, first 2 shown]
	s_waitcnt lgkmcnt(3)
	v_fma_f64 v[32:33], -v[0:1], v[34:35], v[32:33]
	v_fma_f64 v[32:33], -v[2:3], v[36:37], v[32:33]
	s_waitcnt lgkmcnt(2)
	v_fma_f64 v[32:33], -v[4:5], v[38:39], v[32:33]
	v_fma_f64 v[32:33], -v[6:7], v[40:41], v[32:33]
	s_waitcnt lgkmcnt(1)
	v_fma_f64 v[36:37], -v[8:9], v[42:43], v[32:33]
	ds_read_b128 v[32:35], v52 offset:64
	v_fma_f64 v[40:41], -v[10:11], v[44:45], v[36:37]
	ds_read_b128 v[36:39], v52 offset:80
	s_waitcnt lgkmcnt(2)
	v_fma_f64 v[40:41], -v[12:13], v[48:49], v[40:41]
	v_fma_f64 v[40:41], -v[14:15], v[50:51], v[40:41]
	s_waitcnt lgkmcnt(1)
	v_fma_f64 v[32:33], -v[16:17], v[32:33], v[40:41]
	v_fma_f64 v[32:33], -v[18:19], v[34:35], v[32:33]
	;; [unrolled: 3-line block ×3, first 2 shown]
	s_mul_i32 s7, s7, 20
	ds_read_b128 v[32:35], v52 offset:96
	s_add_i32 s7, s7, s6
	s_add_i32 s8, s6, 16
	s_lshl_b32 s6, s7, 3
	v_mov_b32_e32 v48, s6
	ds_read_b128 v[36:39], v48
	s_waitcnt lgkmcnt(1)
	v_fma_f64 v[32:33], -v[24:25], v[32:33], v[40:41]
	v_fma_f64 v[40:41], -v[26:27], v[34:35], v[32:33]
	ds_read_b128 v[32:35], v48 offset:16
	ds_read_b128 v[42:45], v48 offset:32
	s_waitcnt lgkmcnt(2)
	v_fma_f64 v[0:1], -v[0:1], v[36:37], v[30:31]
	v_fma_f64 v[0:1], -v[2:3], v[38:39], v[0:1]
	v_mul_f64 v[40:41], v[46:47], v[40:41]
	s_waitcnt lgkmcnt(1)
	v_fma_f64 v[4:5], -v[4:5], v[32:33], v[0:1]
	ds_read_b128 v[0:3], v48 offset:48
	v_fma_f64 v[4:5], -v[6:7], v[34:35], v[4:5]
	s_waitcnt lgkmcnt(1)
	v_fma_f64 v[8:9], -v[8:9], v[42:43], v[4:5]
	ds_read_b128 v[4:7], v48 offset:64
	v_fma_f64 v[8:9], -v[10:11], v[44:45], v[8:9]
	s_waitcnt lgkmcnt(1)
	v_fma_f64 v[0:1], -v[12:13], v[0:1], v[8:9]
	v_fma_f64 v[8:9], -v[14:15], v[2:3], v[0:1]
	ds_read_b128 v[0:3], v48 offset:80
	s_waitcnt lgkmcnt(1)
	v_fma_f64 v[4:5], -v[16:17], v[4:5], v[8:9]
	ds_read_b128 v[8:11], v48 offset:96
	v_fma_f64 v[12:13], -v[18:19], v[6:7], v[4:5]
	ds_read_b128 v[4:7], v48 offset:112
	s_waitcnt lgkmcnt(2)
	v_fma_f64 v[0:1], -v[20:21], v[0:1], v[12:13]
	v_fma_f64 v[0:1], -v[22:23], v[2:3], v[0:1]
	s_waitcnt lgkmcnt(1)
	v_fma_f64 v[0:1], -v[24:25], v[8:9], v[0:1]
	v_fma_f64 v[0:1], -v[26:27], v[10:11], v[0:1]
	s_waitcnt lgkmcnt(0)
	v_fma_f64 v[0:1], -v[40:41], v[4:5], v[0:1]
	v_mul_f64 v[42:43], v[6:7], v[0:1]
	s_mov_b32 s6, s8
	global_store_dwordx4 v[28:29], v[40:43], off offset:112
.LBB88_23:
	s_cmp_ge_i32 s6, s16
	s_cbranch_scc1 .LBB88_34
; %bb.24:
	s_add_i32 s12, s6, -1
	s_add_u32 s7, s10, s4
	s_addc_u32 s8, s11, s5
	s_add_u32 s7, s7, s2
	s_addc_u32 s8, s8, s3
	v_mov_b32_e32 v0, s8
	v_add_co_u32_e32 v8, vcc, s7, v58
	v_addc_co_u32_e32 v9, vcc, v0, v59, vcc
	v_add_co_u32_e32 v0, vcc, 56, v8
	s_mul_i32 s13, s6, 0xa0
	v_addc_co_u32_e32 v1, vcc, 0, v9, vcc
	s_mov_b32 s9, 0
	s_mov_b32 s17, s6
	;; [unrolled: 1-line block ×3, first 2 shown]
	s_branch .LBB88_26
.LBB88_25:                              ;   in Loop: Header=BB88_26 Depth=1
	s_mul_i32 s7, s6, 0xa8
	v_mov_b32_e32 v6, s7
	ds_read_b64 v[6:7], v6
	s_add_i32 s6, s6, 1
	s_add_i32 s15, s15, 1
	s_addk_i32 s13, 0xa0
	v_add_u16_e64 v10, s17, 1
	s_waitcnt lgkmcnt(0)
	v_mul_f64 v[4:5], v[6:7], v[4:5]
	s_cmp_ge_i32 s6, s16
	v_readfirstlane_b32 s17, v10
	global_store_dwordx2 v[2:3], v[4:5], off
	s_cbranch_scc1 .LBB88_34
.LBB88_26:                              ; =>This Loop Header: Depth=1
                                        ;     Child Loop BB88_29 Depth 2
                                        ;     Child Loop BB88_33 Depth 2
	s_ashr_i32 s7, s6, 31
	s_lshl_b64 s[20:21], s[6:7], 3
	v_mov_b32_e32 v3, s21
	v_add_co_u32_e32 v2, vcc, s20, v56
	v_addc_co_u32_e32 v3, vcc, v57, v3, vcc
	global_load_dwordx2 v[4:5], v[2:3], off
	s_cmp_eq_u32 s6, 0
	s_waitcnt vmcnt(0)
	v_mul_f64 v[4:5], v[4:5], s[0:1]
	s_cbranch_scc1 .LBB88_25
; %bb.27:                               ;   in Loop: Header=BB88_26 Depth=1
	s_add_i32 s7, s12, s15
	s_cmp_lt_u32 s7, 7
	s_cbranch_scc1 .LBB88_31
; %bb.28:                               ;   in Loop: Header=BB88_26 Depth=1
	s_and_b32 s8, s6, -8
	s_mov_b32 s7, 0
	v_pk_mov_b32 v[6:7], v[0:1], v[0:1] op_sel:[0,1]
	s_mov_b32 s19, s13
.LBB88_29:                              ;   Parent Loop BB88_26 Depth=1
                                        ; =>  This Inner Loop Header: Depth=2
	global_load_dwordx4 v[10:13], v[6:7], off offset:-56
	global_load_dwordx4 v[14:17], v[6:7], off offset:-40
	;; [unrolled: 1-line block ×4, first 2 shown]
	v_mov_b32_e32 v38, s19
	ds_read_b128 v[26:29], v38
	ds_read_b128 v[30:33], v38 offset:16
	ds_read_b128 v[34:37], v38 offset:32
	;; [unrolled: 1-line block ×3, first 2 shown]
	s_add_i32 s7, s7, 8
	s_add_i32 s19, s19, 64
	v_add_co_u32_e32 v6, vcc, 64, v6
	v_addc_co_u32_e32 v7, vcc, 0, v7, vcc
	s_cmp_lg_u32 s8, s7
	s_waitcnt vmcnt(3) lgkmcnt(3)
	v_fma_f64 v[4:5], -v[10:11], v[26:27], v[4:5]
	v_fma_f64 v[4:5], -v[12:13], v[28:29], v[4:5]
	s_waitcnt vmcnt(2) lgkmcnt(2)
	v_fma_f64 v[4:5], -v[14:15], v[30:31], v[4:5]
	v_fma_f64 v[4:5], -v[16:17], v[32:33], v[4:5]
	;; [unrolled: 3-line block ×4, first 2 shown]
	s_cbranch_scc1 .LBB88_29
; %bb.30:                               ;   in Loop: Header=BB88_26 Depth=1
	s_and_b32 s7, s6, 7
	s_cmp_eq_u32 s7, 0
	s_cbranch_scc0 .LBB88_32
	s_branch .LBB88_25
.LBB88_31:                              ;   in Loop: Header=BB88_26 Depth=1
	s_mov_b32 s8, 0
	s_and_b32 s7, s6, 7
	s_cmp_eq_u32 s7, 0
	s_cbranch_scc1 .LBB88_25
.LBB88_32:                              ;   in Loop: Header=BB88_26 Depth=1
	s_lshl_b64 s[20:21], s[8:9], 3
	v_mov_b32_e32 v7, s21
	v_add_co_u32_e32 v6, vcc, s20, v8
	s_and_b32 s7, s17, 7
	s_lshl_b32 s19, s8, 3
	v_addc_co_u32_e32 v7, vcc, v9, v7, vcc
.LBB88_33:                              ;   Parent Loop BB88_26 Depth=1
                                        ; =>  This Inner Loop Header: Depth=2
	global_load_dwordx2 v[10:11], v[6:7], off
	s_add_i32 s8, s13, s19
	v_mov_b32_e32 v12, s8
	ds_read_b64 v[12:13], v12
	s_add_i32 s19, s19, 8
	v_add_co_u32_e32 v6, vcc, 8, v6
	s_add_i32 s7, s7, -1
	v_addc_co_u32_e32 v7, vcc, 0, v7, vcc
	s_cmp_lg_u32 s7, 0
	s_waitcnt vmcnt(0) lgkmcnt(0)
	v_fma_f64 v[4:5], -v[10:11], v[12:13], v[4:5]
	s_cbranch_scc1 .LBB88_33
	s_branch .LBB88_25
.LBB88_34:
	s_mov_b64 s[6:7], 0
.LBB88_35:
	s_and_b64 vcc, exec, s[6:7]
	s_cbranch_vccz .LBB88_57
; %bb.36:
	s_cmp_gt_i32 s14, 19
	s_mov_b32 s6, s18
	s_cbranch_scc0 .LBB88_38
; %bb.37:
	s_ashr_i32 s19, s18, 31
	s_lshl_b64 s[6:7], s[18:19], 3
	v_mov_b32_e32 v0, s7
	v_add_co_u32_e32 v12, vcc, s6, v56
	v_addc_co_u32_e32 v13, vcc, v57, v0, vcc
	global_load_dwordx2 v[14:15], v[12:13], off
	s_mov_b32 s17, 0
	s_lshl_b64 s[6:7], s[16:17], 3
	v_mov_b32_e32 v0, s7
	v_add_co_u32_e32 v38, vcc, s6, v56
	v_addc_co_u32_e32 v39, vcc, v57, v0, vcc
	global_load_dwordx2 v[36:37], v[38:39], off offset:-16
	global_load_dwordx4 v[4:7], v[38:39], off offset:-32
	global_load_dwordx4 v[8:11], v[38:39], off offset:-48
	;; [unrolled: 1-line block ×9, first 2 shown]
	s_mul_i32 s9, s18, 0xa8
	s_mul_i32 s8, s18, 20
	s_add_i32 s12, s16, -4
	s_add_i32 s13, s16, -6
	s_add_i32 s6, s16, s8
	s_add_i32 s7, s9, 0xffffff58
	s_ashr_i32 s17, s16, 31
	s_sub_i32 s15, s8, 20
	s_sub_i32 s19, s8, 40
	s_add_i32 s14, s12, s8
	s_add_i32 s20, s9, 0xfffffe08
	;; [unrolled: 1-line block ×3, first 2 shown]
	s_lshl_b32 s22, s6, 3
	v_mov_b32_e32 v40, s7
	s_lshl_b64 s[6:7], s[16:17], 3
	s_add_i32 s17, s12, s15
	s_add_i32 s12, s12, s19
	;; [unrolled: 1-line block ×4, first 2 shown]
	s_lshl_b32 s14, s14, 3
	v_mov_b32_e32 v54, s20
	s_lshl_b32 s20, s21, 3
	s_add_i32 s19, s22, -16
	s_lshl_b32 s12, s12, 3
	s_lshl_b32 s15, s15, 3
	;; [unrolled: 1-line block ×3, first 2 shown]
	v_mov_b32_e32 v50, s14
	s_lshl_b32 s14, s17, 3
	v_mov_b32_e32 v68, s20
	v_mov_b32_e32 v38, s19
	;; [unrolled: 1-line block ×4, first 2 shown]
	s_add_i32 s12, s13, 0xffffff60
	v_mov_b32_e32 v39, s14
	v_mov_b32_e32 v76, s13
	ds_read2_b64 v[46:49], v38 offset1:1
	ds_read_b64 v[40:41], v40
	ds_read2_b64 v[50:53], v50 offset1:1
	ds_read2_b64 v[60:63], v39 offset1:1
	;; [unrolled: 1-line block ×3, first 2 shown]
	ds_read_b64 v[54:55], v54
	ds_read2_b64 v[68:71], v68 offset1:1
	ds_read2_b64 v[72:75], v72 offset1:1
	v_mov_b32_e32 v38, s12
	ds_read2_b64 v[76:79], v76 offset1:1
	ds_read2_b64 v[80:83], v38 offset1:1
	s_addk_i32 s13, 0xfec0
	v_mov_b32_e32 v84, s13
	s_add_i32 s12, s9, 0xfffffcb8
	s_addk_i32 s9, 0xfc10
	s_add_i32 s17, s8, 0xfffffefc
	s_waitcnt vmcnt(10)
	v_mul_f64 v[14:15], v[14:15], s[0:1]
	s_waitcnt lgkmcnt(9)
	v_mul_f64 v[38:39], v[48:49], v[14:15]
	global_store_dwordx2 v[12:13], v[38:39], off
	v_mul_f64 v[12:13], v[38:39], v[46:47]
	s_waitcnt lgkmcnt(7)
	v_mul_f64 v[14:15], v[38:39], v[52:53]
	v_mul_f64 v[46:47], v[38:39], v[50:51]
	s_waitcnt vmcnt(10)
	v_fma_f64 v[12:13], v[36:37], s[0:1], -v[12:13]
	s_waitcnt vmcnt(9)
	v_fma_f64 v[6:7], v[6:7], s[0:1], -v[14:15]
	v_mul_f64 v[40:41], v[40:41], v[12:13]
	s_waitcnt lgkmcnt(3)
	v_mul_f64 v[48:49], v[38:39], v[70:71]
	v_fma_f64 v[4:5], v[4:5], s[0:1], -v[46:47]
	v_fma_f64 v[6:7], -v[40:41], v[62:63], v[6:7]
	ds_read2_b64 v[12:15], v84 offset1:1
	s_waitcnt vmcnt(8)
	v_fma_f64 v[10:11], v[10:11], s[0:1], -v[48:49]
	v_fma_f64 v[4:5], -v[40:41], v[60:61], v[4:5]
	v_mul_f64 v[6:7], v[66:67], v[6:7]
	s_waitcnt lgkmcnt(3)
	v_fma_f64 v[10:11], -v[40:41], v[74:75], v[10:11]
	v_fma_f64 v[4:5], -v[6:7], v[64:65], v[4:5]
	s_waitcnt lgkmcnt(2)
	v_fma_f64 v[10:11], -v[6:7], v[78:79], v[10:11]
	v_mul_f64 v[4:5], v[54:55], v[4:5]
	s_waitcnt lgkmcnt(1)
	v_fma_f64 v[10:11], -v[4:5], v[82:83], v[10:11]
	v_mov_b32_e32 v36, s12
	ds_read_b64 v[36:37], v36
	s_waitcnt lgkmcnt(1)
	v_mul_f64 v[10:11], v[14:15], v[10:11]
	v_mul_f64 v[14:15], v[38:39], v[68:69]
	v_fma_f64 v[8:9], v[8:9], s[0:1], -v[14:15]
	v_fma_f64 v[8:9], -v[40:41], v[72:73], v[8:9]
	v_fma_f64 v[8:9], -v[6:7], v[76:77], v[8:9]
	s_add_i32 s12, s8, 0xffffff9c
	v_fma_f64 v[8:9], -v[4:5], v[80:81], v[8:9]
	s_add_i32 s13, s16, s12
	v_fma_f64 v[8:9], -v[10:11], v[12:13], v[8:9]
	s_lshl_b32 s13, s13, 3
	s_waitcnt lgkmcnt(0)
	v_mul_f64 v[8:9], v[36:37], v[8:9]
	v_mov_b32_e32 v36, s13
	ds_read2_b64 v[12:15], v36 offset0:92 offset1:93
	ds_read2_b64 v[46:49], v36 offset0:72 offset1:73
	s_sub_i32 s13, s13, 64
	v_mov_b32_e32 v37, s13
	ds_read2_b64 v[50:53], v37 offset1:1
	ds_read2_b64 v[60:63], v36 offset0:52 offset1:53
	s_waitcnt lgkmcnt(3)
	v_mul_f64 v[14:15], v[38:39], v[14:15]
	ds_read2_b64 v[64:67], v36 offset0:32 offset1:33
	ds_read2_b64 v[68:71], v36 offset0:12 offset1:13
	s_waitcnt vmcnt(7)
	v_fma_f64 v[14:15], v[44:45], s[0:1], -v[14:15]
	v_mov_b32_e32 v36, s9
	s_waitcnt lgkmcnt(4)
	v_fma_f64 v[14:15], -v[40:41], v[48:49], v[14:15]
	ds_read_b64 v[36:37], v36
	s_waitcnt lgkmcnt(3)
	v_fma_f64 v[14:15], -v[6:7], v[62:63], v[14:15]
	s_add_i32 s9, s16, -9
	s_waitcnt lgkmcnt(2)
	v_fma_f64 v[14:15], -v[4:5], v[66:67], v[14:15]
	s_add_i32 s13, s12, s9
	s_waitcnt lgkmcnt(1)
	v_fma_f64 v[14:15], -v[10:11], v[70:71], v[14:15]
	s_lshl_b32 s13, s13, 3
	v_fma_f64 v[14:15], -v[8:9], v[52:53], v[14:15]
	s_addk_i32 s13, 0xff60
	s_waitcnt lgkmcnt(0)
	v_mul_f64 v[14:15], v[36:37], v[14:15]
	v_mul_f64 v[12:13], v[38:39], v[12:13]
	v_mov_b32_e32 v36, s13
	s_add_i32 s13, s8, 0xffffff74
	v_fma_f64 v[12:13], v[42:43], s[0:1], -v[12:13]
	s_add_i32 s9, s9, s13
	v_fma_f64 v[12:13], -v[40:41], v[46:47], v[12:13]
	s_lshl_b32 s9, s9, 3
	v_fma_f64 v[12:13], -v[6:7], v[60:61], v[12:13]
	v_mov_b32_e32 v37, s9
	ds_read2_b64 v[42:45], v36 offset1:1
	ds_read2_b64 v[46:49], v37 offset1:1
	v_fma_f64 v[12:13], -v[4:5], v[64:65], v[12:13]
	s_add_i32 s9, s16, -10
	v_fma_f64 v[12:13], -v[10:11], v[68:69], v[12:13]
	s_add_i32 s13, s13, s9
	v_fma_f64 v[12:13], -v[8:9], v[50:51], v[12:13]
	s_lshl_b32 s13, s13, 3
	s_waitcnt lgkmcnt(1)
	v_fma_f64 v[12:13], -v[14:15], v[44:45], v[12:13]
	v_mov_b32_e32 v44, s13
	s_waitcnt lgkmcnt(0)
	v_mul_f64 v[12:13], v[48:49], v[12:13]
	ds_read2_b64 v[48:51], v44 offset0:140 offset1:141
	s_add_i32 s9, s9, s12
	s_lshl_b32 s9, s9, 3
	v_mov_b32_e32 v36, s9
	ds_read2_b64 v[52:55], v36 offset1:1
	s_waitcnt lgkmcnt(1)
	v_mul_f64 v[36:37], v[38:39], v[50:51]
	ds_read2_b64 v[60:63], v44 offset0:120 offset1:121
	ds_read2_b64 v[64:67], v44 offset0:100 offset1:101
	;; [unrolled: 1-line block ×4, first 2 shown]
	s_waitcnt vmcnt(6)
	v_fma_f64 v[18:19], v[18:19], s[0:1], -v[36:37]
	s_mul_i32 s9, s16, 0xa8
	s_waitcnt lgkmcnt(3)
	v_fma_f64 v[18:19], -v[40:41], v[62:63], v[18:19]
	s_add_i32 s13, s9, 0xfffffa18
	s_waitcnt lgkmcnt(2)
	v_fma_f64 v[18:19], -v[6:7], v[66:67], v[18:19]
	v_mov_b32_e32 v36, s13
	s_waitcnt lgkmcnt(1)
	v_fma_f64 v[18:19], -v[4:5], v[70:71], v[18:19]
	s_add_i32 s13, s16, -11
	ds_read_b64 v[36:37], v36
	s_waitcnt lgkmcnt(1)
	v_fma_f64 v[18:19], -v[10:11], v[74:75], v[18:19]
	s_add_i32 s14, s12, s13
	v_fma_f64 v[18:19], -v[8:9], v[54:55], v[18:19]
	s_lshl_b32 s14, s14, 3
	v_fma_f64 v[18:19], -v[14:15], v[42:43], v[18:19]
	s_add_i32 s15, s14, 0xffffff60
	v_fma_f64 v[18:19], -v[12:13], v[46:47], v[18:19]
	v_mov_b32_e32 v42, s15
	ds_read2_b64 v[42:45], v42 offset1:1
	s_waitcnt lgkmcnt(1)
	v_mul_f64 v[18:19], v[36:37], v[18:19]
	v_mul_f64 v[36:37], v[38:39], v[48:49]
	v_fma_f64 v[16:17], v[16:17], s[0:1], -v[36:37]
	s_add_i32 s15, s14, 0xfffffec0
	s_addk_i32 s14, 0xfe20
	v_fma_f64 v[16:17], -v[40:41], v[60:61], v[16:17]
	v_mov_b32_e32 v37, s14
	s_add_i32 s14, s8, 0xffffff4c
	v_fma_f64 v[16:17], -v[6:7], v[64:65], v[16:17]
	v_mov_b32_e32 v36, s15
	s_add_i32 s13, s13, s14
	v_fma_f64 v[16:17], -v[4:5], v[68:69], v[16:17]
	ds_read2_b64 v[46:49], v36 offset1:1
	ds_read2_b64 v[60:63], v37 offset1:1
	s_lshl_b32 s13, s13, 3
	v_fma_f64 v[16:17], -v[10:11], v[72:73], v[16:17]
	v_mov_b32_e32 v36, s13
	s_add_i32 s13, s16, -12
	v_fma_f64 v[16:17], -v[8:9], v[52:53], v[16:17]
	s_add_i32 s14, s14, s13
	s_waitcnt lgkmcnt(2)
	v_fma_f64 v[16:17], -v[14:15], v[44:45], v[16:17]
	s_lshl_b32 s14, s14, 3
	s_waitcnt lgkmcnt(1)
	v_fma_f64 v[16:17], -v[12:13], v[48:49], v[16:17]
	ds_read2_b64 v[48:51], v36 offset1:1
	v_mov_b32_e32 v36, s14
	s_waitcnt lgkmcnt(1)
	v_fma_f64 v[16:17], -v[18:19], v[62:63], v[16:17]
	ds_read2_b64 v[52:55], v36 offset0:100 offset1:101
	ds_read2_b64 v[62:65], v36 offset0:180 offset1:181
	ds_read2_b64 v[66:69], v36 offset0:160 offset1:161
	ds_read2_b64 v[70:73], v36 offset0:140 offset1:141
	ds_read2_b64 v[74:77], v36 offset0:120 offset1:121
	s_add_i32 s13, s13, s12
	s_lshl_b32 s13, s13, 3
	s_waitcnt lgkmcnt(5)
	v_mul_f64 v[16:17], v[50:51], v[16:17]
	s_waitcnt lgkmcnt(3)
	v_mul_f64 v[36:37], v[38:39], v[64:65]
	s_waitcnt vmcnt(5)
	v_fma_f64 v[26:27], v[26:27], s[0:1], -v[36:37]
	s_waitcnt lgkmcnt(2)
	v_fma_f64 v[26:27], -v[40:41], v[68:69], v[26:27]
	s_waitcnt lgkmcnt(1)
	v_fma_f64 v[26:27], -v[6:7], v[72:73], v[26:27]
	v_mov_b32_e32 v36, s13
	s_waitcnt lgkmcnt(0)
	v_fma_f64 v[26:27], -v[4:5], v[76:77], v[26:27]
	ds_read2_b64 v[76:79], v36 offset1:1
	s_add_i32 s13, s9, 0xfffff8c8
	v_fma_f64 v[26:27], -v[10:11], v[54:55], v[26:27]
	v_mov_b32_e32 v36, s13
	ds_read_b64 v[36:37], v36
	s_waitcnt lgkmcnt(1)
	v_fma_f64 v[26:27], -v[8:9], v[78:79], v[26:27]
	v_fma_f64 v[26:27], -v[14:15], v[42:43], v[26:27]
	;; [unrolled: 1-line block ×4, first 2 shown]
	s_add_i32 s13, s16, -13
	v_fma_f64 v[26:27], -v[16:17], v[48:49], v[26:27]
	s_add_i32 s14, s12, s13
	s_waitcnt lgkmcnt(0)
	v_mul_f64 v[26:27], v[36:37], v[26:27]
	v_mul_f64 v[36:37], v[38:39], v[62:63]
	s_lshl_b32 s14, s14, 3
	v_fma_f64 v[24:25], v[24:25], s[0:1], -v[36:37]
	s_add_i32 s15, s14, 0xffffff60
	v_fma_f64 v[24:25], -v[40:41], v[66:67], v[24:25]
	v_mov_b32_e32 v36, s15
	s_add_i32 s15, s14, 0xfffffec0
	v_fma_f64 v[24:25], -v[6:7], v[70:71], v[24:25]
	ds_read2_b64 v[42:45], v36 offset1:1
	v_mov_b32_e32 v36, s15
	s_add_i32 s15, s14, 0xfffffe20
	v_fma_f64 v[24:25], -v[4:5], v[74:75], v[24:25]
	ds_read2_b64 v[46:49], v36 offset1:1
	v_mov_b32_e32 v36, s15
	s_add_i32 s15, s14, 0xfffffd80
	s_addk_i32 s14, 0xfce0
	v_fma_f64 v[24:25], -v[10:11], v[52:53], v[24:25]
	v_mov_b32_e32 v37, s15
	ds_read2_b64 v[50:53], v36 offset1:1
	ds_read2_b64 v[60:63], v37 offset1:1
	v_mov_b32_e32 v36, s14
	s_add_i32 s14, s8, 0xffffff24
	s_add_i32 s13, s13, s14
	s_lshl_b32 s13, s13, 3
	v_mov_b32_e32 v37, s13
	s_add_i32 s13, s16, -14
	v_fma_f64 v[24:25], -v[8:9], v[76:77], v[24:25]
	s_add_i32 s14, s14, s13
	s_waitcnt lgkmcnt(3)
	v_fma_f64 v[24:25], -v[14:15], v[44:45], v[24:25]
	s_lshl_b32 s14, s14, 3
	s_waitcnt lgkmcnt(2)
	v_fma_f64 v[24:25], -v[12:13], v[48:49], v[24:25]
	v_mov_b32_e32 v44, s14
	ds_read2_b64 v[64:67], v36 offset1:1
	ds_read2_b64 v[68:71], v37 offset1:1
	s_waitcnt lgkmcnt(3)
	v_fma_f64 v[24:25], -v[18:19], v[52:53], v[24:25]
	ds_read2_b64 v[52:55], v44 offset0:220 offset1:221
	s_add_i32 s13, s13, s12
	s_waitcnt lgkmcnt(3)
	v_fma_f64 v[24:25], -v[16:17], v[62:63], v[24:25]
	s_lshl_b32 s13, s13, 3
	s_waitcnt lgkmcnt(2)
	v_fma_f64 v[24:25], -v[26:27], v[66:67], v[24:25]
	v_mov_b32_e32 v36, s13
	s_waitcnt lgkmcnt(1)
	v_mul_f64 v[24:25], v[70:71], v[24:25]
	ds_read2_b64 v[70:73], v36 offset1:1
	s_waitcnt lgkmcnt(1)
	v_mul_f64 v[36:37], v[38:39], v[54:55]
	ds_read2_b64 v[74:77], v44 offset0:200 offset1:201
	ds_read2_b64 v[78:81], v44 offset0:180 offset1:181
	;; [unrolled: 1-line block ×4, first 2 shown]
	s_waitcnt vmcnt(4)
	v_fma_f64 v[34:35], v[34:35], s[0:1], -v[36:37]
	s_waitcnt lgkmcnt(3)
	v_fma_f64 v[34:35], -v[40:41], v[76:77], v[34:35]
	s_waitcnt lgkmcnt(2)
	v_fma_f64 v[34:35], -v[6:7], v[80:81], v[34:35]
	;; [unrolled: 2-line block ×4, first 2 shown]
	v_fma_f64 v[34:35], -v[8:9], v[72:73], v[34:35]
	v_fma_f64 v[34:35], -v[14:15], v[42:43], v[34:35]
	;; [unrolled: 1-line block ×7, first 2 shown]
	s_add_i32 s13, s9, 0xfffff778
	v_mul_f64 v[34:35], v[38:39], v[52:53]
	s_add_i32 s14, s16, -15
	v_mov_b32_e32 v42, s13
	v_fma_f64 v[32:33], v[32:33], s[0:1], -v[34:35]
	s_add_i32 s13, s12, s14
	v_fma_f64 v[32:33], -v[40:41], v[74:75], v[32:33]
	s_lshl_b32 s13, s13, 3
	v_fma_f64 v[32:33], -v[6:7], v[78:79], v[32:33]
	s_add_i32 s15, s13, 0xffffff60
	v_fma_f64 v[36:37], -v[4:5], v[82:83], v[32:33]
	v_mov_b32_e32 v32, s15
	s_add_i32 s15, s13, 0xfffffec0
	ds_read_b64 v[90:91], v42
	ds_read2_b64 v[32:35], v32 offset1:1
	v_mov_b32_e32 v42, s15
	s_add_i32 s15, s13, 0xfffffe20
	v_mov_b32_e32 v46, s15
	ds_read2_b64 v[42:45], v42 offset1:1
	ds_read2_b64 v[46:49], v46 offset1:1
	v_fma_f64 v[36:37], -v[10:11], v[86:87], v[36:37]
	v_fma_f64 v[36:37], -v[8:9], v[70:71], v[36:37]
	s_waitcnt lgkmcnt(2)
	v_fma_f64 v[34:35], -v[14:15], v[34:35], v[36:37]
	s_add_i32 s14, s14, s17
	s_waitcnt lgkmcnt(1)
	v_fma_f64 v[34:35], -v[12:13], v[44:45], v[34:35]
	s_lshl_b32 s14, s14, 3
	s_waitcnt lgkmcnt(0)
	v_fma_f64 v[86:87], -v[18:19], v[48:49], v[34:35]
	v_mov_b32_e32 v34, s14
	s_add_i32 s14, s16, -16
	s_add_i32 s17, s17, s14
	s_lshl_b32 s17, s17, 3
	s_add_i32 s19, s17, 0x820
	v_mov_b32_e32 v44, s19
	ds_read2_b64 v[34:37], v34 offset1:1
	ds_read2_b64 v[48:51], v44 offset1:1
	v_mov_b32_e32 v68, s17
	ds_read2_b64 v[52:55], v68 offset0:240 offset1:241
	ds_read2_b64 v[60:63], v68 offset0:220 offset1:221
	s_add_i32 s14, s14, s12
	ds_read2_b64 v[64:67], v68 offset0:200 offset1:201
	s_waitcnt lgkmcnt(3)
	v_mul_f64 v[44:45], v[38:39], v[50:51]
	s_lshl_b32 s14, s14, 3
	s_waitcnt vmcnt(3)
	v_fma_f64 v[30:31], v[30:31], s[0:1], -v[44:45]
	ds_read2_b64 v[68:71], v68 offset0:180 offset1:181
	v_mov_b32_e32 v44, s14
	ds_read2_b64 v[72:75], v44 offset1:1
	s_waitcnt lgkmcnt(4)
	v_fma_f64 v[30:31], -v[40:41], v[54:55], v[30:31]
	s_waitcnt lgkmcnt(3)
	v_fma_f64 v[30:31], -v[6:7], v[62:63], v[30:31]
	s_add_i32 s15, s13, 0xfffffd80
	s_waitcnt lgkmcnt(2)
	v_fma_f64 v[30:31], -v[4:5], v[66:67], v[30:31]
	v_mov_b32_e32 v76, s15
	s_add_i32 s15, s13, 0xfffffce0
	s_waitcnt lgkmcnt(1)
	v_fma_f64 v[30:31], -v[10:11], v[70:71], v[30:31]
	s_add_i32 s14, s9, 0xfffff628
	v_mov_b32_e32 v78, s15
	v_mov_b32_e32 v44, s14
	s_waitcnt lgkmcnt(0)
	v_fma_f64 v[30:31], -v[8:9], v[74:75], v[30:31]
	ds_read_b64 v[50:51], v44
	v_fma_f64 v[30:31], -v[14:15], v[32:33], v[30:31]
	ds_read2_b64 v[74:77], v76 offset1:1
	ds_read2_b64 v[78:81], v78 offset1:1
	s_add_i32 s14, s13, 0xfffffc40
	v_fma_f64 v[30:31], -v[12:13], v[42:43], v[30:31]
	v_mov_b32_e32 v32, s14
	s_addk_i32 s13, 0xfba0
	v_mov_b32_e32 v33, s13
	v_fma_f64 v[54:55], -v[18:19], v[46:47], v[30:31]
	ds_read2_b64 v[44:47], v32 offset1:1
	ds_read2_b64 v[82:85], v33 offset1:1
	s_waitcnt lgkmcnt(3)
	v_fma_f64 v[30:31], -v[16:17], v[76:77], v[86:87]
	s_waitcnt lgkmcnt(2)
	v_fma_f64 v[30:31], -v[26:27], v[80:81], v[30:31]
	v_mul_f64 v[32:33], v[90:91], v[88:89]
	s_waitcnt lgkmcnt(1)
	v_fma_f64 v[30:31], -v[24:25], v[46:47], v[30:31]
	s_waitcnt lgkmcnt(0)
	v_fma_f64 v[30:31], -v[32:33], v[84:85], v[30:31]
	v_mul_f64 v[30:31], v[36:37], v[30:31]
	v_mov_b32_e32 v36, s7
	v_add_co_u32_e32 v42, vcc, s6, v56
	v_addc_co_u32_e32 v43, vcc, v57, v36, vcc
	v_fma_f64 v[36:37], -v[16:17], v[74:75], v[54:55]
	v_fma_f64 v[36:37], -v[26:27], v[78:79], v[36:37]
	;; [unrolled: 1-line block ×4, first 2 shown]
	s_sub_i32 s6, s16, 17
	v_fma_f64 v[34:35], -v[30:31], v[34:35], v[36:37]
	s_add_i32 s7, s12, s6
	v_mul_f64 v[36:37], v[50:51], v[34:35]
	v_mul_f64 v[34:35], v[38:39], v[48:49]
	s_lshl_b32 s7, s7, 3
	v_fma_f64 v[28:29], v[28:29], s[0:1], -v[34:35]
	s_add_i32 s13, s7, 0xffffff60
	global_store_dwordx2 v[42:43], v[40:41], off offset:-16
	global_store_dwordx4 v[42:43], v[4:7], off offset:-32
	global_store_dwordx4 v[42:43], v[8:11], off offset:-48
	;; [unrolled: 1-line block ×4, first 2 shown]
	v_fma_f64 v[28:29], -v[40:41], v[52:53], v[28:29]
	v_mov_b32_e32 v34, s13
	s_add_i32 s13, s7, 0xfffffec0
	v_fma_f64 v[28:29], -v[6:7], v[60:61], v[28:29]
	v_mov_b32_e32 v35, s13
	ds_read2_b64 v[44:47], v34 offset1:1
	ds_read2_b64 v[48:51], v35 offset1:1
	s_add_i32 s13, s7, 0xfffffe20
	v_fma_f64 v[28:29], -v[4:5], v[64:65], v[28:29]
	v_mov_b32_e32 v34, s13
	s_add_i32 s13, s7, 0xfffffd80
	v_fma_f64 v[28:29], -v[10:11], v[68:69], v[28:29]
	v_mov_b32_e32 v35, s13
	ds_read2_b64 v[52:55], v34 offset1:1
	ds_read2_b64 v[60:63], v35 offset1:1
	s_add_i32 s14, s8, 0xfffffed4
	s_sub_i32 s15, s16, 18
	v_fma_f64 v[28:29], -v[8:9], v[72:73], v[28:29]
	s_add_i32 s17, s14, s15
	s_waitcnt lgkmcnt(3)
	v_fma_f64 v[28:29], -v[14:15], v[46:47], v[28:29]
	s_lshl_b32 s17, s17, 3
	s_waitcnt lgkmcnt(2)
	v_fma_f64 v[28:29], -v[12:13], v[50:51], v[28:29]
	s_add_i32 s19, s17, 0x960
	s_waitcnt lgkmcnt(1)
	v_fma_f64 v[28:29], -v[18:19], v[54:55], v[28:29]
	v_mov_b32_e32 v34, s19
	s_waitcnt lgkmcnt(0)
	v_fma_f64 v[28:29], -v[16:17], v[62:63], v[28:29]
	s_add_i32 s19, s17, 0x8c0
	ds_read2_b64 v[62:65], v34 offset1:1
	v_mov_b32_e32 v34, s19
	ds_read2_b64 v[66:69], v34 offset1:1
	s_add_i32 s19, s17, 0x820
	s_add_i32 s15, s15, s12
	s_waitcnt lgkmcnt(1)
	v_mul_f64 v[34:35], v[38:39], v[64:65]
	s_waitcnt vmcnt(7)
	v_fma_f64 v[22:23], v[22:23], s[0:1], -v[34:35]
	v_mov_b32_e32 v34, s19
	v_mov_b32_e32 v35, s17
	s_waitcnt lgkmcnt(0)
	v_fma_f64 v[22:23], -v[40:41], v[68:69], v[22:23]
	ds_read2_b64 v[68:71], v34 offset1:1
	ds_read2_b64 v[72:75], v35 offset0:220 offset1:221
	ds_read2_b64 v[76:79], v35 offset0:240 offset1:241
	s_lshl_b32 s15, s15, 3
	v_mov_b32_e32 v34, s15
	ds_read2_b64 v[80:83], v34 offset1:1
	s_waitcnt lgkmcnt(3)
	v_fma_f64 v[22:23], -v[6:7], v[70:71], v[22:23]
	s_add_i32 s13, s7, 0xfffffce0
	s_waitcnt lgkmcnt(1)
	v_fma_f64 v[22:23], -v[4:5], v[78:79], v[22:23]
	v_mov_b32_e32 v46, s13
	s_add_i32 s13, s7, 0xfffffc40
	v_fma_f64 v[22:23], -v[10:11], v[74:75], v[22:23]
	ds_read2_b64 v[84:87], v46 offset1:1
	s_waitcnt lgkmcnt(1)
	v_fma_f64 v[22:23], -v[8:9], v[82:83], v[22:23]
	v_mov_b32_e32 v34, s13
	v_fma_f64 v[22:23], -v[14:15], v[44:45], v[22:23]
	ds_read2_b64 v[44:47], v34 offset1:1
	s_add_i32 s13, s7, 0xfffffba0
	v_fma_f64 v[22:23], -v[12:13], v[48:49], v[22:23]
	v_mov_b32_e32 v34, s13
	s_add_i32 s13, s7, 0xfffffb00
	v_mov_b32_e32 v35, s13
	v_fma_f64 v[22:23], -v[18:19], v[52:53], v[22:23]
	ds_read2_b64 v[48:51], v34 offset1:1
	ds_read2_b64 v[52:55], v35 offset1:1
	s_addk_i32 s7, 0xfa60
	s_add_i32 s6, s6, s14
	v_fma_f64 v[22:23], -v[16:17], v[60:61], v[22:23]
	v_mov_b32_e32 v34, s7
	s_lshl_b32 s6, s6, 3
	s_waitcnt lgkmcnt(3)
	v_fma_f64 v[28:29], -v[26:27], v[86:87], v[28:29]
	v_mov_b32_e32 v35, s6
	v_fma_f64 v[22:23], -v[26:27], v[84:85], v[22:23]
	ds_read2_b64 v[82:85], v34 offset1:1
	ds_read2_b64 v[86:89], v35 offset1:1
	s_waitcnt lgkmcnt(4)
	v_fma_f64 v[28:29], -v[24:25], v[46:47], v[28:29]
	s_waitcnt lgkmcnt(3)
	v_fma_f64 v[28:29], -v[32:33], v[50:51], v[28:29]
	v_fma_f64 v[22:23], -v[24:25], v[44:45], v[22:23]
	s_waitcnt lgkmcnt(2)
	v_fma_f64 v[28:29], -v[30:31], v[54:55], v[28:29]
	;; [unrolled: 3-line block ×3, first 2 shown]
	v_fma_f64 v[22:23], -v[30:31], v[52:53], v[22:23]
	s_sub_i32 s7, s16, 19
	s_waitcnt lgkmcnt(0)
	v_mul_f64 v[34:35], v[88:89], v[28:29]
	v_fma_f64 v[22:23], -v[36:37], v[82:83], v[22:23]
	s_add_i32 s6, s9, 0xfffff4d8
	s_add_i32 s12, s12, s7
	v_fma_f64 v[28:29], -v[34:35], v[86:87], v[22:23]
	v_mov_b32_e32 v44, s6
	v_mul_f64 v[22:23], v[38:39], v[62:63]
	s_lshl_b32 s6, s12, 3
	v_fma_f64 v[20:21], v[20:21], s[0:1], -v[22:23]
	s_add_i32 s12, s6, 0xffffff60
	v_fma_f64 v[46:47], -v[40:41], v[66:67], v[20:21]
	v_mov_b32_e32 v20, s12
	ds_read_b64 v[44:45], v44
	ds_read2_b64 v[20:23], v20 offset1:1
	s_addk_i32 s8, 0xfeac
	v_fma_f64 v[46:47], -v[6:7], v[68:69], v[46:47]
	s_add_i32 s7, s7, s8
	v_fma_f64 v[46:47], -v[4:5], v[76:77], v[46:47]
	s_lshl_b32 s7, s7, 3
	v_fma_f64 v[46:47], -v[10:11], v[72:73], v[46:47]
	v_mov_b32_e32 v54, s7
	s_sub_i32 s7, s16, 20
	v_fma_f64 v[46:47], -v[8:9], v[80:81], v[46:47]
	s_add_i32 s12, s6, 0xfffffec0
	s_add_i32 s8, s8, s7
	s_waitcnt lgkmcnt(0)
	v_fma_f64 v[22:23], -v[14:15], v[22:23], v[46:47]
	v_mov_b32_e32 v46, s12
	s_add_i32 s12, s6, 0xfffffe20
	s_lshl_b32 s7, s8, 3
	v_mov_b32_e32 v50, s12
	s_add_i32 s8, s7, 0xaa0
	ds_read2_b64 v[46:49], v46 offset1:1
	ds_read2_b64 v[50:53], v50 offset1:1
	v_mov_b32_e32 v55, s8
	ds_read2_b64 v[60:63], v54 offset1:1
	ds_read2_b64 v[64:67], v55 offset1:1
	s_add_i32 s8, s6, 0xfffffd80
	s_waitcnt lgkmcnt(3)
	v_fma_f64 v[22:23], -v[12:13], v[48:49], v[22:23]
	v_mov_b32_e32 v48, s8
	s_add_i32 s8, s7, 0xa00
	s_waitcnt lgkmcnt(2)
	v_fma_f64 v[82:83], -v[18:19], v[52:53], v[22:23]
	s_waitcnt lgkmcnt(0)
	v_mul_f64 v[22:23], v[38:39], v[66:67]
	v_mov_b32_e32 v49, s8
	s_add_i32 s8, s7, 0x960
	ds_read2_b64 v[52:55], v49 offset1:1
	s_waitcnt vmcnt(6)
	v_fma_f64 v[2:3], v[2:3], s[0:1], -v[22:23]
	v_mov_b32_e32 v22, s8
	ds_read2_b64 v[66:69], v22 offset1:1
	s_add_i32 s8, s7, 0x8c0
	v_mov_b32_e32 v22, s8
	ds_read2_b64 v[70:73], v22 offset1:1
	s_waitcnt lgkmcnt(2)
	v_fma_f64 v[2:3], -v[40:41], v[54:55], v[2:3]
	s_add_i32 s8, s7, 0x820
	v_mov_b32_e32 v22, s8
	s_waitcnt lgkmcnt(1)
	v_fma_f64 v[2:3], -v[6:7], v[68:69], v[2:3]
	ds_read2_b64 v[74:77], v22 offset1:1
	s_waitcnt lgkmcnt(1)
	v_fma_f64 v[2:3], -v[4:5], v[72:73], v[2:3]
	v_mov_b32_e32 v72, s7
	ds_read2_b64 v[78:81], v72 offset0:240 offset1:241
	s_add_i32 s8, s9, 0xfffff388
	s_waitcnt lgkmcnt(1)
	v_fma_f64 v[2:3], -v[10:11], v[76:77], v[2:3]
	v_mov_b32_e32 v22, s8
	ds_read_b64 v[54:55], v22
	s_waitcnt lgkmcnt(1)
	v_fma_f64 v[2:3], -v[8:9], v[80:81], v[2:3]
	v_fma_f64 v[2:3], -v[14:15], v[20:21], v[2:3]
	ds_read2_b64 v[20:23], v48 offset1:1
	s_add_i32 s8, s6, 0xfffffce0
	v_mov_b32_e32 v48, s8
	v_fma_f64 v[2:3], -v[12:13], v[46:47], v[2:3]
	ds_read2_b64 v[46:49], v48 offset1:1
	s_add_i32 s8, s6, 0xfffffc40
	s_waitcnt lgkmcnt(1)
	v_fma_f64 v[68:69], -v[16:17], v[22:23], v[82:83]
	v_mov_b32_e32 v22, s8
	s_add_i32 s8, s6, 0xfffffba0
	v_fma_f64 v[2:3], -v[18:19], v[50:51], v[2:3]
	v_mov_b32_e32 v50, s8
	v_fma_f64 v[2:3], -v[16:17], v[20:21], v[2:3]
	ds_read2_b64 v[20:23], v22 offset1:1
	ds_read2_b64 v[80:83], v50 offset1:1
	s_waitcnt lgkmcnt(2)
	v_fma_f64 v[48:49], -v[26:27], v[48:49], v[68:69]
	s_add_i32 s8, s6, 0xfffffb00
	global_store_dwordx4 v[42:43], v[24:27], off offset:-96
	global_store_dwordx4 v[42:43], v[30:33], off offset:-112
	s_waitcnt lgkmcnt(1)
	v_fma_f64 v[22:23], -v[24:25], v[22:23], v[48:49]
	s_waitcnt lgkmcnt(0)
	v_fma_f64 v[50:51], -v[32:33], v[82:83], v[22:23]
	v_mov_b32_e32 v22, s8
	v_fma_f64 v[2:3], -v[26:27], v[46:47], v[2:3]
	ds_read2_b64 v[46:49], v22 offset1:1
	s_add_i32 s8, s6, 0xfffffa60
	v_mov_b32_e32 v22, s8
	v_fma_f64 v[2:3], -v[24:25], v[20:21], v[2:3]
	ds_read2_b64 v[20:23], v22 offset1:1
	s_add_i32 s8, s6, 0xfffff9c0
	s_waitcnt lgkmcnt(1)
	v_fma_f64 v[68:69], -v[30:31], v[48:49], v[50:51]
	v_mov_b32_e32 v48, s8
	s_addk_i32 s6, 0xf920
	v_fma_f64 v[2:3], -v[32:33], v[80:81], v[2:3]
	v_mov_b32_e32 v50, s6
	v_fma_f64 v[2:3], -v[30:31], v[46:47], v[2:3]
	ds_read2_b64 v[46:49], v48 offset1:1
	ds_read2_b64 v[80:83], v50 offset1:1
	s_waitcnt lgkmcnt(2)
	v_fma_f64 v[22:23], -v[36:37], v[22:23], v[68:69]
	v_mul_f64 v[50:51], v[44:45], v[28:29]
	v_fma_f64 v[2:3], -v[36:37], v[20:21], v[2:3]
	s_waitcnt lgkmcnt(1)
	v_fma_f64 v[22:23], -v[34:35], v[48:49], v[22:23]
	v_mul_f64 v[20:21], v[38:39], v[64:65]
	s_waitcnt lgkmcnt(0)
	v_fma_f64 v[22:23], -v[50:51], v[82:83], v[22:23]
	v_fma_f64 v[0:1], v[0:1], s[0:1], -v[20:21]
	v_mul_f64 v[48:49], v[62:63], v[22:23]
	v_fma_f64 v[0:1], -v[40:41], v[52:53], v[0:1]
	ds_read2_b64 v[20:23], v72 offset0:200 offset1:220
	v_fma_f64 v[0:1], -v[6:7], v[66:67], v[0:1]
	v_fma_f64 v[0:1], -v[4:5], v[70:71], v[0:1]
	ds_read2_b64 v[4:7], v72 offset0:160 offset1:180
	v_fma_f64 v[0:1], -v[10:11], v[74:75], v[0:1]
	v_fma_f64 v[0:1], -v[8:9], v[78:79], v[0:1]
	ds_read2_b64 v[8:11], v72 offset0:120 offset1:140
	s_waitcnt lgkmcnt(2)
	v_fma_f64 v[0:1], -v[14:15], v[22:23], v[0:1]
	v_fma_f64 v[0:1], -v[12:13], v[20:21], v[0:1]
	ds_read2_b64 v[12:15], v72 offset0:80 offset1:100
	s_waitcnt lgkmcnt(2)
	;; [unrolled: 4-line block ×3, first 2 shown]
	v_fma_f64 v[0:1], -v[26:27], v[10:11], v[0:1]
	v_fma_f64 v[0:1], -v[24:25], v[8:9], v[0:1]
	s_waitcnt lgkmcnt(1)
	v_fma_f64 v[0:1], -v[32:33], v[14:15], v[0:1]
	v_fma_f64 v[0:1], -v[30:31], v[12:13], v[0:1]
	s_waitcnt lgkmcnt(0)
	v_fma_f64 v[0:1], -v[36:37], v[6:7], v[0:1]
	ds_read2_b64 v[6:9], v72 offset1:20
	s_add_i32 s6, s7, 0xffffff60
	v_mov_b32_e32 v10, s6
	s_add_i32 s6, s9, 0xfffff2e0
	ds_read_b64 v[10:11], v10
	v_mov_b32_e32 v12, s6
	v_fma_f64 v[2:3], -v[34:35], v[46:47], v[2:3]
	ds_read_b64 v[12:13], v12
	v_fma_f64 v[2:3], -v[50:51], v[80:81], v[2:3]
	v_fma_f64 v[0:1], -v[34:35], v[4:5], v[0:1]
	;; [unrolled: 1-line block ×3, first 2 shown]
	s_waitcnt lgkmcnt(2)
	v_fma_f64 v[0:1], -v[50:51], v[8:9], v[0:1]
	v_mul_f64 v[2:3], v[54:55], v[2:3]
	v_fma_f64 v[0:1], -v[48:49], v[6:7], v[0:1]
	s_waitcnt lgkmcnt(1)
	v_fma_f64 v[0:1], -v[2:3], v[10:11], v[0:1]
	s_waitcnt lgkmcnt(0)
	v_mul_f64 v[0:1], v[12:13], v[0:1]
	s_sub_i32 s6, s16, 21
	global_store_dwordx4 v[42:43], v[34:37], off offset:-128
	global_store_dwordx4 v[42:43], v[48:51], off offset:-144
	;; [unrolled: 1-line block ×3, first 2 shown]
.LBB88_38:
	s_cmp_gt_i32 s6, -1
	s_cbranch_scc0 .LBB88_57
; %bb.39:
	s_cmp_lt_u32 s6, 15
	s_cbranch_scc1 .LBB88_44
; %bb.40:
	s_mov_b32 s7, 0
	s_lshl_b64 s[8:9], s[6:7], 3
	v_mov_b32_e32 v1, s9
	v_add_co_u32_e32 v0, vcc, s8, v56
	v_addc_co_u32_e32 v1, vcc, v57, v1, vcc
	global_load_dwordx4 v[2:5], v[0:1], off offset:-8
	global_load_dwordx4 v[6:9], v[0:1], off offset:-24
	;; [unrolled: 1-line block ×8, first 2 shown]
	s_cmp_le_i32 s18, s6
	s_waitcnt vmcnt(7)
	v_mul_f64 v[30:31], v[4:5], s[0:1]
	v_mul_f64 v[28:29], v[2:3], s[0:1]
	s_waitcnt vmcnt(6)
	v_mul_f64 v[2:3], v[8:9], s[0:1]
	v_mul_f64 v[34:35], v[6:7], s[0:1]
	;; [unrolled: 3-line block ×8, first 2 shown]
	s_cbranch_scc1 .LBB88_43
; %bb.41:
	s_mul_i32 s7, s16, 0xa0
	s_lshl_b32 s8, s6, 3
	s_add_i32 s7, s7, s8
	s_ashr_i32 s19, s18, 31
	s_addk_i32 s7, 0xfee8
	s_lshl_b64 s[8:9], s[18:19], 3
	s_add_u32 s8, s10, s8
	s_addc_u32 s9, s11, s9
	s_add_u32 s8, s8, s4
	s_addc_u32 s9, s9, s5
	;; [unrolled: 2-line block ×3, first 2 shown]
	v_mov_b32_e32 v33, s9
	v_add_co_u32_e32 v32, vcc, s8, v58
	v_addc_co_u32_e32 v33, vcc, v33, v59, vcc
	s_mov_b32 s8, s18
.LBB88_42:                              ; =>This Inner Loop Header: Depth=1
	global_load_dwordx2 v[72:73], v[32:33], off
	v_mov_b32_e32 v68, s7
	ds_read2_b64 v[36:39], v68 offset0:14 offset1:15
	ds_read2_b64 v[40:43], v68 offset0:12 offset1:13
	;; [unrolled: 1-line block ×7, first 2 shown]
	ds_read2_b64 v[68:71], v68 offset1:1
	s_add_i32 s8, s8, -1
	s_addk_i32 s7, 0xff60
	v_add_co_u32_e32 v32, vcc, -8, v32
	v_addc_co_u32_e32 v33, vcc, -1, v33, vcc
	s_cmp_gt_i32 s8, s6
	s_waitcnt vmcnt(0) lgkmcnt(7)
	v_fma_f64 v[30:31], -v[72:73], v[38:39], v[30:31]
	v_fma_f64 v[28:29], -v[72:73], v[36:37], v[28:29]
	s_waitcnt lgkmcnt(6)
	v_fma_f64 v[2:3], -v[72:73], v[42:43], v[2:3]
	v_fma_f64 v[34:35], -v[72:73], v[40:41], v[34:35]
	s_waitcnt lgkmcnt(5)
	;; [unrolled: 3-line block ×7, first 2 shown]
	v_fma_f64 v[26:27], -v[72:73], v[70:71], v[26:27]
	v_fma_f64 v[24:25], -v[72:73], v[68:69], v[24:25]
	s_cbranch_scc1 .LBB88_42
.LBB88_43:
	s_mul_i32 s8, s6, 0xa8
	s_add_i32 s7, s8, -8
	v_mov_b32_e32 v32, s7
	ds_read2_b64 v[36:39], v32 offset1:1
	s_add_i32 s7, s8, 0xffffff58
	v_mov_b32_e32 v32, s7
	ds_read_b64 v[32:33], v32
	s_ashr_i32 s7, s6, 31
	s_waitcnt lgkmcnt(1)
	v_mul_f64 v[30:31], v[38:39], v[30:31]
	global_store_dwordx2 v[0:1], v[30:31], off
	v_fma_f64 v[0:1], -v[30:31], v[36:37], v[28:29]
	s_lshl_b64 s[12:13], s[6:7], 3
	s_mul_i32 s9, s6, 20
	s_waitcnt lgkmcnt(0)
	v_mul_f64 v[32:33], v[32:33], v[0:1]
	v_mov_b32_e32 v0, s13
	s_add_i32 s13, s6, -3
	s_add_i32 s7, s13, s9
	v_add_co_u32_e32 v28, vcc, s12, v56
	s_lshl_b32 s7, s7, 3
	s_sub_i32 s12, s9, 20
	v_addc_co_u32_e32 v29, vcc, v57, v0, vcc
	v_mov_b32_e32 v0, s7
	s_add_i32 s7, s13, s12
	s_lshl_b32 s7, s7, 3
	ds_read2_b64 v[36:39], v0 offset1:1
	v_mov_b32_e32 v0, s7
	ds_read2_b64 v[40:43], v0 offset1:1
	s_sub_i32 s7, s9, 40
	s_add_i32 s13, s13, s7
	s_lshl_b32 s13, s13, 3
	v_mov_b32_e32 v0, s13
	s_waitcnt lgkmcnt(1)
	v_fma_f64 v[38:39], -v[30:31], v[38:39], v[2:3]
	ds_read2_b64 v[0:3], v0 offset1:1
	s_add_i32 s13, s8, 0xfffffe08
	s_add_i32 s15, s6, -5
	s_waitcnt lgkmcnt(1)
	v_fma_f64 v[38:39], -v[32:33], v[42:43], v[38:39]
	v_mov_b32_e32 v42, s13
	ds_read_b64 v[42:43], v42
	s_add_i32 s13, s15, s9
	v_fma_f64 v[34:35], -v[30:31], v[36:37], v[34:35]
	s_lshl_b32 s13, s13, 3
	v_fma_f64 v[44:45], -v[32:33], v[40:41], v[34:35]
	v_mov_b32_e32 v34, s13
	s_add_i32 s13, s15, s12
	s_lshl_b32 s13, s13, 3
	global_store_dwordx2 v[28:29], v[32:33], off offset:-8
	s_waitcnt lgkmcnt(1)
	v_mul_f64 v[2:3], v[2:3], v[38:39]
	v_mov_b32_e32 v38, s13
	ds_read2_b64 v[34:37], v34 offset1:1
	ds_read2_b64 v[38:41], v38 offset1:1
	s_add_i32 s13, s15, s7
	s_lshl_b32 s13, s13, 3
	v_fma_f64 v[0:1], -v[2:3], v[0:1], v[44:45]
	s_waitcnt lgkmcnt(1)
	v_fma_f64 v[6:7], -v[30:31], v[36:37], v[6:7]
	v_mov_b32_e32 v36, s13
	s_sub_i32 s13, s9, 60
	s_add_i32 s14, s15, s13
	s_lshl_b32 s14, s14, 3
	v_mul_f64 v[0:1], v[42:43], v[0:1]
	s_waitcnt lgkmcnt(0)
	v_fma_f64 v[6:7], -v[32:33], v[40:41], v[6:7]
	ds_read2_b64 v[40:43], v36 offset1:1
	v_mov_b32_e32 v36, s14
	s_add_i32 s14, s9, 0xffffffb0
	s_add_i32 s15, s15, s14
	s_lshl_b32 s15, s15, 3
	ds_read2_b64 v[44:47], v36 offset1:1
	v_mov_b32_e32 v36, s15
	s_add_i32 s15, s8, 0xfffffcb8
	s_add_i32 s19, s6, -7
	ds_read2_b64 v[48:51], v36 offset1:1
	v_mov_b32_e32 v36, s15
	s_add_i32 s15, s19, s9
	s_lshl_b32 s15, s15, 3
	v_fma_f64 v[4:5], -v[30:31], v[34:35], v[4:5]
	v_mov_b32_e32 v34, s15
	s_add_i32 s15, s19, s12
	s_lshl_b32 s15, s15, 3
	global_store_dwordx4 v[28:29], v[0:3], off offset:-24
	v_fma_f64 v[4:5], -v[32:33], v[38:39], v[4:5]
	v_mov_b32_e32 v38, s15
	s_waitcnt lgkmcnt(2)
	v_fma_f64 v[6:7], -v[2:3], v[42:43], v[6:7]
	ds_read_b64 v[42:43], v36
	v_fma_f64 v[4:5], -v[2:3], v[40:41], v[4:5]
	ds_read2_b64 v[34:37], v34 offset1:1
	ds_read2_b64 v[38:41], v38 offset1:1
	s_add_i32 s15, s19, s7
	s_waitcnt lgkmcnt(4)
	v_fma_f64 v[6:7], -v[0:1], v[46:47], v[6:7]
	s_lshl_b32 s15, s15, 3
	s_waitcnt lgkmcnt(3)
	v_mul_f64 v[6:7], v[50:51], v[6:7]
	v_fma_f64 v[4:5], -v[0:1], v[44:45], v[4:5]
	s_waitcnt lgkmcnt(1)
	v_fma_f64 v[10:11], -v[30:31], v[36:37], v[10:11]
	v_mov_b32_e32 v36, s15
	s_add_i32 s15, s19, s13
	v_fma_f64 v[4:5], -v[6:7], v[48:49], v[4:5]
	s_lshl_b32 s15, s15, 3
	v_mul_f64 v[4:5], v[42:43], v[4:5]
	v_mov_b32_e32 v37, s15
	s_add_i32 s15, s19, s14
	global_store_dwordx4 v[28:29], v[4:7], off offset:-40
	s_lshl_b32 s15, s15, 3
	s_waitcnt lgkmcnt(0)
	v_fma_f64 v[10:11], -v[32:33], v[40:41], v[10:11]
	ds_read2_b64 v[40:43], v36 offset1:1
	ds_read2_b64 v[44:47], v37 offset1:1
	v_mov_b32_e32 v36, s15
	s_add_i32 s15, s9, 0xffffff9c
	s_add_i32 s17, s19, s15
	s_lshl_b32 s17, s17, 3
	v_mov_b32_e32 v37, s17
	s_add_i32 s17, s8, 0xfffffc10
	ds_read2_b64 v[48:51], v36 offset1:1
	ds_read2_b64 v[52:55], v37 offset1:1
	v_mov_b32_e32 v36, s17
	ds_read_b64 v[36:37], v36
	s_waitcnt lgkmcnt(4)
	v_fma_f64 v[10:11], -v[2:3], v[42:43], v[10:11]
	s_add_i32 s17, s9, 0xffffff88
	s_waitcnt lgkmcnt(3)
	v_fma_f64 v[10:11], -v[0:1], v[46:47], v[10:11]
	s_add_i32 s19, s19, s17
	s_waitcnt lgkmcnt(2)
	v_fma_f64 v[10:11], -v[6:7], v[50:51], v[10:11]
	s_lshl_b32 s19, s19, 3
	s_waitcnt lgkmcnt(1)
	v_fma_f64 v[10:11], -v[4:5], v[54:55], v[10:11]
	v_fma_f64 v[8:9], -v[30:31], v[34:35], v[8:9]
	v_mov_b32_e32 v34, s19
	s_add_i32 s19, s8, 0xfffffb68
	s_waitcnt lgkmcnt(0)
	v_mul_f64 v[10:11], v[36:37], v[10:11]
	v_fma_f64 v[8:9], -v[32:33], v[38:39], v[8:9]
	v_mov_b32_e32 v36, s19
	v_fma_f64 v[8:9], -v[2:3], v[40:41], v[8:9]
	ds_read_b64 v[34:35], v34
	ds_read_b64 v[36:37], v36
	v_fma_f64 v[8:9], -v[0:1], v[44:45], v[8:9]
	s_add_i32 s21, s6, -9
	v_fma_f64 v[8:9], -v[6:7], v[48:49], v[8:9]
	s_add_i32 s19, s21, s9
	v_fma_f64 v[8:9], -v[4:5], v[52:53], v[8:9]
	s_lshl_b32 s19, s19, 3
	s_waitcnt lgkmcnt(1)
	v_fma_f64 v[8:9], -v[10:11], v[34:35], v[8:9]
	v_mov_b32_e32 v34, s19
	s_waitcnt lgkmcnt(0)
	v_mul_f64 v[8:9], v[36:37], v[8:9]
	ds_read2_b64 v[34:37], v34 offset1:1
	s_add_i32 s19, s21, s12
	s_lshl_b32 s19, s19, 3
	v_mov_b32_e32 v38, s19
	ds_read2_b64 v[38:41], v38 offset1:1
	s_add_i32 s19, s21, s7
	s_lshl_b32 s19, s19, 3
	s_waitcnt lgkmcnt(1)
	v_fma_f64 v[14:15], -v[30:31], v[36:37], v[14:15]
	v_mov_b32_e32 v36, s19
	s_add_i32 s19, s21, s13
	s_lshl_b32 s19, s19, 3
	v_mov_b32_e32 v37, s19
	s_add_i32 s19, s21, s14
	global_store_dwordx4 v[28:29], v[8:11], off offset:-56
	s_lshl_b32 s19, s19, 3
	ds_read2_b64 v[42:45], v36 offset1:1
	ds_read2_b64 v[46:49], v37 offset1:1
	v_mov_b32_e32 v36, s19
	s_add_i32 s19, s21, s15
	s_lshl_b32 s19, s19, 3
	v_mov_b32_e32 v37, s19
	ds_read2_b64 v[50:53], v36 offset1:1
	ds_read2_b64 v[60:63], v37 offset1:1
	s_add_i32 s19, s21, s17
	s_waitcnt lgkmcnt(4)
	v_fma_f64 v[14:15], -v[32:33], v[40:41], v[14:15]
	s_lshl_b32 s19, s19, 3
	s_add_i32 s20, s9, 0xffffff74
	s_waitcnt lgkmcnt(3)
	v_fma_f64 v[14:15], -v[2:3], v[44:45], v[14:15]
	v_mov_b32_e32 v36, s19
	s_add_i32 s19, s21, s20
	s_waitcnt lgkmcnt(2)
	v_fma_f64 v[14:15], -v[0:1], v[48:49], v[14:15]
	s_lshl_b32 s19, s19, 3
	s_waitcnt lgkmcnt(1)
	v_fma_f64 v[14:15], -v[6:7], v[52:53], v[14:15]
	ds_read2_b64 v[52:55], v36 offset1:1
	v_mov_b32_e32 v36, s19
	s_add_i32 s19, s9, 0xffffff60
	s_add_i32 s21, s21, s19
	s_lshl_b32 s21, s21, 3
	s_waitcnt lgkmcnt(1)
	v_fma_f64 v[14:15], -v[4:5], v[62:63], v[14:15]
	ds_read2_b64 v[62:65], v36 offset1:1
	v_mov_b32_e32 v36, s21
	s_add_i32 s21, s8, 0xfffffa18
	s_add_i32 s23, s6, -11
	ds_read2_b64 v[66:69], v36 offset1:1
	v_mov_b32_e32 v36, s21
	s_add_i32 s21, s23, s9
	s_lshl_b32 s21, s21, 3
	v_fma_f64 v[12:13], -v[30:31], v[34:35], v[12:13]
	v_mov_b32_e32 v34, s21
	s_add_i32 s21, s23, s12
	s_lshl_b32 s21, s21, 3
	v_fma_f64 v[12:13], -v[32:33], v[38:39], v[12:13]
	v_mov_b32_e32 v38, s21
	ds_read_b64 v[44:45], v36
	ds_read2_b64 v[34:37], v34 offset1:1
	ds_read2_b64 v[38:41], v38 offset1:1
	v_fma_f64 v[12:13], -v[2:3], v[42:43], v[12:13]
	v_fma_f64 v[12:13], -v[0:1], v[46:47], v[12:13]
	s_add_i32 s21, s23, s7
	v_fma_f64 v[12:13], -v[6:7], v[50:51], v[12:13]
	s_lshl_b32 s21, s21, 3
	s_waitcnt lgkmcnt(5)
	v_fma_f64 v[14:15], -v[10:11], v[54:55], v[14:15]
	v_fma_f64 v[12:13], -v[4:5], v[60:61], v[12:13]
	s_waitcnt lgkmcnt(1)
	v_fma_f64 v[18:19], -v[30:31], v[36:37], v[18:19]
	v_mov_b32_e32 v36, s21
	s_add_i32 s21, s23, s13
	v_fma_f64 v[14:15], -v[8:9], v[64:65], v[14:15]
	v_fma_f64 v[12:13], -v[10:11], v[52:53], v[12:13]
	s_lshl_b32 s21, s21, 3
	v_mul_f64 v[14:15], v[68:69], v[14:15]
	v_fma_f64 v[12:13], -v[8:9], v[62:63], v[12:13]
	s_waitcnt lgkmcnt(0)
	v_fma_f64 v[18:19], -v[32:33], v[40:41], v[18:19]
	ds_read2_b64 v[40:43], v36 offset1:1
	v_mov_b32_e32 v36, s21
	s_add_i32 s21, s23, s14
	v_fma_f64 v[12:13], -v[14:15], v[66:67], v[12:13]
	s_lshl_b32 s21, s21, 3
	v_mul_f64 v[12:13], v[44:45], v[12:13]
	ds_read2_b64 v[44:47], v36 offset1:1
	v_mov_b32_e32 v36, s21
	s_add_i32 s21, s23, s15
	s_lshl_b32 s21, s21, 3
	v_mov_b32_e32 v37, s21
	s_add_i32 s21, s23, s17
	global_store_dwordx4 v[28:29], v[12:15], off offset:-72
	s_lshl_b32 s21, s21, 3
	ds_read2_b64 v[48:51], v36 offset1:1
	ds_read2_b64 v[52:55], v37 offset1:1
	v_mov_b32_e32 v36, s21
	s_add_i32 s21, s23, s20
	s_lshl_b32 s21, s21, 3
	s_waitcnt lgkmcnt(3)
	v_fma_f64 v[18:19], -v[2:3], v[42:43], v[18:19]
	v_mov_b32_e32 v37, s21
	ds_read2_b64 v[60:63], v36 offset1:1
	ds_read2_b64 v[64:67], v37 offset1:1
	s_add_i32 s21, s23, s19
	s_waitcnt lgkmcnt(4)
	v_fma_f64 v[18:19], -v[0:1], v[46:47], v[18:19]
	s_lshl_b32 s21, s21, 3
	s_waitcnt lgkmcnt(3)
	v_fma_f64 v[18:19], -v[6:7], v[50:51], v[18:19]
	v_mov_b32_e32 v36, s21
	s_add_i32 s21, s9, 0xffffff4c
	s_waitcnt lgkmcnt(2)
	v_fma_f64 v[18:19], -v[4:5], v[54:55], v[18:19]
	s_add_i32 s22, s23, s21
	s_waitcnt lgkmcnt(1)
	v_fma_f64 v[18:19], -v[10:11], v[62:63], v[18:19]
	s_lshl_b32 s22, s22, 3
	s_waitcnt lgkmcnt(0)
	v_fma_f64 v[18:19], -v[8:9], v[66:67], v[18:19]
	ds_read2_b64 v[66:69], v36 offset1:1
	v_mov_b32_e32 v36, s22
	s_add_i32 s22, s9, 0xffffff38
	v_fma_f64 v[16:17], -v[30:31], v[34:35], v[16:17]
	s_add_i32 s23, s23, s22
	v_fma_f64 v[16:17], -v[32:33], v[38:39], v[16:17]
	s_lshl_b32 s23, s23, 3
	v_fma_f64 v[16:17], -v[2:3], v[40:41], v[16:17]
	ds_read2_b64 v[70:73], v36 offset1:1
	v_mov_b32_e32 v36, s23
	s_add_i32 s23, s8, 0xfffff8c8
	v_fma_f64 v[16:17], -v[0:1], v[44:45], v[16:17]
	s_add_i32 s25, s6, -13
	ds_read2_b64 v[74:77], v36 offset1:1
	v_mov_b32_e32 v36, s23
	v_fma_f64 v[16:17], -v[6:7], v[48:49], v[16:17]
	s_add_i32 s23, s25, s9
	v_fma_f64 v[16:17], -v[4:5], v[52:53], v[16:17]
	s_lshl_b32 s23, s23, 3
	ds_read_b64 v[36:37], v36
	v_fma_f64 v[16:17], -v[10:11], v[60:61], v[16:17]
	v_mov_b32_e32 v34, s23
	s_add_i32 s23, s25, s12
	s_waitcnt lgkmcnt(3)
	v_fma_f64 v[18:19], -v[14:15], v[68:69], v[18:19]
	v_fma_f64 v[16:17], -v[8:9], v[64:65], v[16:17]
	s_lshl_b32 s23, s23, 3
	s_waitcnt lgkmcnt(2)
	v_fma_f64 v[18:19], -v[12:13], v[72:73], v[18:19]
	v_fma_f64 v[16:17], -v[14:15], v[66:67], v[16:17]
	v_mov_b32_e32 v38, s23
	s_add_i32 s23, s25, s7
	s_waitcnt lgkmcnt(1)
	v_mul_f64 v[18:19], v[76:77], v[18:19]
	v_fma_f64 v[16:17], -v[12:13], v[70:71], v[16:17]
	s_lshl_b32 s23, s23, 3
	v_fma_f64 v[16:17], -v[18:19], v[74:75], v[16:17]
	v_mov_b32_e32 v42, s23
	s_add_i32 s23, s25, s13
	s_waitcnt lgkmcnt(0)
	v_mul_f64 v[16:17], v[36:37], v[16:17]
	ds_read2_b64 v[34:37], v34 offset1:1
	ds_read2_b64 v[38:41], v38 offset1:1
	s_lshl_b32 s23, s23, 3
	v_mov_b32_e32 v46, s23
	ds_read2_b64 v[42:45], v42 offset1:1
	ds_read2_b64 v[46:49], v46 offset1:1
	s_add_i32 s23, s25, s14
	s_waitcnt lgkmcnt(3)
	v_fma_f64 v[22:23], -v[30:31], v[36:37], v[22:23]
	s_lshl_b32 s23, s23, 3
	s_waitcnt lgkmcnt(2)
	v_fma_f64 v[22:23], -v[32:33], v[40:41], v[22:23]
	v_mov_b32_e32 v36, s23
	s_add_i32 s23, s25, s15
	s_waitcnt lgkmcnt(1)
	v_fma_f64 v[22:23], -v[2:3], v[44:45], v[22:23]
	s_lshl_b32 s23, s23, 3
	s_waitcnt lgkmcnt(0)
	v_fma_f64 v[22:23], -v[0:1], v[48:49], v[22:23]
	ds_read2_b64 v[48:51], v36 offset1:1
	v_mov_b32_e32 v36, s23
	s_add_i32 s23, s25, s17
	s_lshl_b32 s23, s23, 3
	ds_read2_b64 v[52:55], v36 offset1:1
	v_mov_b32_e32 v36, s23
	s_add_i32 s23, s25, s20
	s_lshl_b32 s23, s23, 3
	v_mov_b32_e32 v37, s23
	s_add_i32 s23, s25, s19
	global_store_dwordx4 v[28:29], v[16:19], off offset:-88
	s_lshl_b32 s23, s23, 3
	ds_read2_b64 v[60:63], v36 offset1:1
	ds_read2_b64 v[64:67], v37 offset1:1
	v_mov_b32_e32 v36, s23
	s_add_i32 s23, s25, s21
	s_lshl_b32 s23, s23, 3
	s_waitcnt lgkmcnt(3)
	v_fma_f64 v[22:23], -v[6:7], v[50:51], v[22:23]
	v_mov_b32_e32 v37, s23
	ds_read2_b64 v[68:71], v36 offset1:1
	ds_read2_b64 v[72:75], v37 offset1:1
	s_add_i32 s23, s25, s22
	s_waitcnt lgkmcnt(4)
	v_fma_f64 v[22:23], -v[4:5], v[54:55], v[22:23]
	s_lshl_b32 s23, s23, 3
	s_waitcnt lgkmcnt(3)
	v_fma_f64 v[22:23], -v[10:11], v[62:63], v[22:23]
	v_mov_b32_e32 v36, s23
	s_add_i32 s23, s9, 0xffffff24
	s_waitcnt lgkmcnt(2)
	v_fma_f64 v[22:23], -v[8:9], v[66:67], v[22:23]
	s_add_i32 s24, s25, s23
	s_waitcnt lgkmcnt(1)
	v_fma_f64 v[22:23], -v[14:15], v[70:71], v[22:23]
	s_lshl_b32 s24, s24, 3
	s_waitcnt lgkmcnt(0)
	v_fma_f64 v[22:23], -v[12:13], v[74:75], v[22:23]
	ds_read2_b64 v[74:77], v36 offset1:1
	v_mov_b32_e32 v36, s24
	s_add_i32 s24, s9, 0xffffff10
	s_add_i32 s25, s25, s24
	s_lshl_b32 s25, s25, 3
	ds_read2_b64 v[78:81], v36 offset1:1
	v_mov_b32_e32 v36, s25
	s_add_i32 s25, s8, 0xfffff778
	ds_read2_b64 v[82:85], v36 offset1:1
	v_mov_b32_e32 v36, s25
	s_add_i32 s25, s6, -15
	v_fma_f64 v[20:21], -v[30:31], v[34:35], v[20:21]
	s_add_i32 s9, s25, s9
	v_fma_f64 v[20:21], -v[32:33], v[38:39], v[20:21]
	s_lshl_b32 s9, s9, 3
	v_fma_f64 v[20:21], -v[2:3], v[42:43], v[20:21]
	v_mov_b32_e32 v34, s9
	s_add_i32 s9, s25, s12
	v_fma_f64 v[20:21], -v[0:1], v[46:47], v[20:21]
	s_lshl_b32 s9, s9, 3
	v_fma_f64 v[20:21], -v[6:7], v[48:49], v[20:21]
	v_mov_b32_e32 v38, s9
	ds_read_b64 v[44:45], v36
	v_fma_f64 v[20:21], -v[4:5], v[52:53], v[20:21]
	ds_read2_b64 v[34:37], v34 offset1:1
	ds_read2_b64 v[38:41], v38 offset1:1
	v_fma_f64 v[20:21], -v[10:11], v[60:61], v[20:21]
	v_fma_f64 v[20:21], -v[8:9], v[64:65], v[20:21]
	s_add_i32 s7, s25, s7
	v_fma_f64 v[20:21], -v[14:15], v[68:69], v[20:21]
	s_lshl_b32 s7, s7, 3
	s_waitcnt lgkmcnt(5)
	v_fma_f64 v[22:23], -v[18:19], v[76:77], v[22:23]
	v_fma_f64 v[20:21], -v[12:13], v[72:73], v[20:21]
	s_waitcnt lgkmcnt(1)
	v_fma_f64 v[26:27], -v[30:31], v[36:37], v[26:27]
	v_mov_b32_e32 v36, s7
	s_add_i32 s7, s25, s13
	v_fma_f64 v[22:23], -v[16:17], v[80:81], v[22:23]
	v_fma_f64 v[20:21], -v[18:19], v[74:75], v[20:21]
	s_lshl_b32 s7, s7, 3
	v_mul_f64 v[22:23], v[84:85], v[22:23]
	v_fma_f64 v[20:21], -v[16:17], v[78:79], v[20:21]
	s_waitcnt lgkmcnt(0)
	v_fma_f64 v[26:27], -v[32:33], v[40:41], v[26:27]
	ds_read2_b64 v[40:43], v36 offset1:1
	v_mov_b32_e32 v36, s7
	s_add_i32 s7, s25, s14
	v_fma_f64 v[20:21], -v[22:23], v[82:83], v[20:21]
	s_lshl_b32 s7, s7, 3
	v_mul_f64 v[20:21], v[44:45], v[20:21]
	ds_read2_b64 v[44:47], v36 offset1:1
	v_mov_b32_e32 v36, s7
	s_add_i32 s7, s25, s15
	s_lshl_b32 s7, s7, 3
	v_mov_b32_e32 v37, s7
	s_add_i32 s7, s25, s17
	global_store_dwordx4 v[28:29], v[20:23], off offset:-104
	s_lshl_b32 s7, s7, 3
	ds_read2_b64 v[48:51], v36 offset1:1
	ds_read2_b64 v[52:55], v37 offset1:1
	v_mov_b32_e32 v36, s7
	s_add_i32 s7, s25, s20
	s_lshl_b32 s7, s7, 3
	s_waitcnt lgkmcnt(3)
	v_fma_f64 v[26:27], -v[2:3], v[42:43], v[26:27]
	v_mov_b32_e32 v37, s7
	ds_read2_b64 v[60:63], v36 offset1:1
	ds_read2_b64 v[64:67], v37 offset1:1
	s_waitcnt lgkmcnt(4)
	v_fma_f64 v[26:27], -v[0:1], v[46:47], v[26:27]
	s_add_i32 s7, s25, s19
	s_waitcnt lgkmcnt(3)
	v_fma_f64 v[26:27], -v[6:7], v[50:51], v[26:27]
	s_lshl_b32 s7, s7, 3
	s_waitcnt lgkmcnt(2)
	v_fma_f64 v[26:27], -v[4:5], v[54:55], v[26:27]
	v_mov_b32_e32 v36, s7
	s_add_i32 s7, s25, s21
	s_waitcnt lgkmcnt(1)
	v_fma_f64 v[26:27], -v[10:11], v[62:63], v[26:27]
	s_lshl_b32 s7, s7, 3
	s_waitcnt lgkmcnt(0)
	v_fma_f64 v[26:27], -v[8:9], v[66:67], v[26:27]
	ds_read2_b64 v[66:69], v36 offset1:1
	v_mov_b32_e32 v36, s7
	s_add_i32 s7, s25, s22
	s_lshl_b32 s7, s7, 3
	ds_read2_b64 v[70:73], v36 offset1:1
	v_mov_b32_e32 v36, s7
	s_add_i32 s7, s25, s23
	s_lshl_b32 s7, s7, 3
	s_add_i32 s25, s25, s24
	v_fma_f64 v[30:31], -v[30:31], v[34:35], v[24:25]
	v_mov_b32_e32 v37, s7
	ds_read2_b64 v[74:77], v36 offset1:1
	ds_read2_b64 v[78:81], v37 offset1:1
	s_lshl_b32 s7, s25, 3
	v_fma_f64 v[30:31], -v[32:33], v[38:39], v[30:31]
	v_mov_b32_e32 v36, s7
	s_add_i32 s9, s7, 0xffffff60
	v_fma_f64 v[2:3], -v[2:3], v[40:41], v[30:31]
	s_waitcnt lgkmcnt(3)
	v_fma_f64 v[26:27], -v[14:15], v[68:69], v[26:27]
	v_mov_b32_e32 v37, s9
	ds_read2_b64 v[82:85], v36 offset1:1
	ds_read2_b64 v[86:89], v37 offset1:1
	v_fma_f64 v[0:1], -v[0:1], v[44:45], v[2:3]
	s_waitcnt lgkmcnt(4)
	v_fma_f64 v[26:27], -v[12:13], v[72:73], v[26:27]
	v_fma_f64 v[0:1], -v[6:7], v[48:49], v[0:1]
	s_waitcnt lgkmcnt(3)
	v_fma_f64 v[26:27], -v[18:19], v[76:77], v[26:27]
	;; [unrolled: 3-line block ×3, first 2 shown]
	s_addk_i32 s7, 0xfec0
	v_fma_f64 v[0:1], -v[10:11], v[60:61], v[0:1]
	s_waitcnt lgkmcnt(1)
	v_fma_f64 v[26:27], -v[22:23], v[84:85], v[26:27]
	v_mov_b32_e32 v24, s7
	v_fma_f64 v[0:1], -v[8:9], v[64:65], v[0:1]
	s_waitcnt lgkmcnt(0)
	v_fma_f64 v[36:37], -v[20:21], v[88:89], v[26:27]
	ds_read2_b64 v[24:27], v24 offset1:1
	s_add_i32 s7, s8, 0xfffff628
	v_fma_f64 v[0:1], -v[14:15], v[66:67], v[0:1]
	v_mov_b32_e32 v32, s7
	ds_read_b64 v[32:33], v32
	v_fma_f64 v[0:1], -v[12:13], v[70:71], v[0:1]
	v_fma_f64 v[0:1], -v[18:19], v[74:75], v[0:1]
	;; [unrolled: 1-line block ×4, first 2 shown]
	s_waitcnt lgkmcnt(1)
	v_mul_f64 v[26:27], v[26:27], v[36:37]
	v_fma_f64 v[0:1], -v[20:21], v[86:87], v[0:1]
	v_fma_f64 v[0:1], -v[26:27], v[24:25], v[0:1]
	s_waitcnt lgkmcnt(0)
	v_mul_f64 v[24:25], v[32:33], v[0:1]
	s_add_i32 s6, s6, -16
	global_store_dwordx4 v[28:29], v[24:27], off offset:-120
.LBB88_44:
	s_cmp_lt_i32 s6, 0
	s_cbranch_scc1 .LBB88_57
; %bb.45:
	s_bitcmp1_b32 s6, 0
	s_cselect_b64 s[8:9], -1, 0
	s_and_b64 vcc, exec, s[8:9]
	s_mov_b32 s8, s6
	s_cbranch_vccnz .LBB88_50
; %bb.46:
	s_mov_b32 s7, 0
	s_lshl_b64 s[8:9], s[6:7], 3
	v_mov_b32_e32 v1, s9
	v_add_co_u32_e32 v0, vcc, s8, v56
	v_addc_co_u32_e32 v1, vcc, v57, v1, vcc
	global_load_dwordx2 v[2:3], v[0:1], off
	s_cmp_le_i32 s18, s6
	s_waitcnt vmcnt(0)
	v_mul_f64 v[2:3], v[2:3], s[0:1]
	s_cbranch_scc1 .LBB88_49
; %bb.47:
	s_mul_i32 s7, s16, 0xa0
	s_lshl_b32 s8, s6, 3
	s_add_i32 s7, s7, s8
	s_ashr_i32 s19, s18, 31
	s_addk_i32 s7, 0xff60
	s_lshl_b64 s[8:9], s[18:19], 3
	s_add_u32 s8, s10, s8
	s_addc_u32 s9, s11, s9
	s_add_u32 s8, s8, s4
	s_addc_u32 s9, s9, s5
	;; [unrolled: 2-line block ×3, first 2 shown]
	v_mov_b32_e32 v5, s9
	v_add_co_u32_e32 v4, vcc, s8, v58
	v_addc_co_u32_e32 v5, vcc, v5, v59, vcc
	s_mov_b32 s8, s18
.LBB88_48:                              ; =>This Inner Loop Header: Depth=1
	global_load_dwordx2 v[6:7], v[4:5], off
	v_mov_b32_e32 v8, s7
	ds_read_b64 v[8:9], v8
	s_add_i32 s8, s8, -1
	s_addk_i32 s7, 0xff60
	v_add_co_u32_e32 v4, vcc, -8, v4
	v_addc_co_u32_e32 v5, vcc, -1, v5, vcc
	s_cmp_gt_i32 s8, s6
	s_waitcnt vmcnt(0) lgkmcnt(0)
	v_fma_f64 v[2:3], -v[6:7], v[8:9], v[2:3]
	s_cbranch_scc1 .LBB88_48
.LBB88_49:
	s_mul_i32 s7, s6, 0xa8
	v_mov_b32_e32 v4, s7
	ds_read_b64 v[4:5], v4
	s_add_i32 s8, s6, -1
	s_waitcnt lgkmcnt(0)
	v_mul_f64 v[2:3], v[4:5], v[2:3]
	global_store_dwordx2 v[0:1], v[2:3], off
.LBB88_50:
	s_cmp_eq_u32 s6, 0
	s_mov_b32 s9, 0
	s_cbranch_scc1 .LBB88_57
; %bb.51:
	s_mul_i32 s6, s16, 0xa0
	s_lshl_b32 s7, s8, 3
	s_add_i32 s7, s6, s7
	s_ashr_i32 s19, s18, 31
	s_add_i32 s6, s7, 0xffffff60
	s_lshl_b64 s[12:13], s[18:19], 3
	s_add_u32 s10, s10, s12
	s_addc_u32 s11, s11, s13
	s_add_u32 s4, s10, s4
	s_addc_u32 s5, s11, s5
	;; [unrolled: 2-line block ×3, first 2 shown]
	v_mov_b32_e32 v1, s3
	v_add_co_u32_e32 v0, vcc, s2, v58
	v_addc_co_u32_e32 v1, vcc, v1, v59, vcc
	s_add_i32 s2, s7, 0xffffff58
	s_branch .LBB88_53
.LBB88_52:                              ;   in Loop: Header=BB88_53 Depth=1
	s_addk_i32 s3, 0xff58
	v_mov_b32_e32 v6, s3
	ds_read_b64 v[6:7], v6
	s_add_i32 s3, s8, -2
	s_add_i32 s6, s6, -16
	;; [unrolled: 1-line block ×3, first 2 shown]
	s_cmp_lt_i32 s8, 2
	s_waitcnt lgkmcnt(0)
	v_mul_f64 v[2:3], v[6:7], v[2:3]
	s_mov_b32 s8, s3
	global_store_dwordx2 v[4:5], v[2:3], off offset:-8
	s_cbranch_scc1 .LBB88_57
.LBB88_53:                              ; =>This Loop Header: Depth=1
                                        ;     Child Loop BB88_54 Depth 2
                                        ;     Child Loop BB88_56 Depth 2
	s_lshl_b64 s[4:5], s[8:9], 3
	v_mov_b32_e32 v3, s5
	v_add_co_u32_e32 v2, vcc, s4, v56
	v_addc_co_u32_e32 v3, vcc, v57, v3, vcc
	global_load_dwordx2 v[2:3], v[2:3], off
	v_pk_mov_b32 v[4:5], v[0:1], v[0:1] op_sel:[0,1]
	s_mov_b32 s3, s6
	s_cmp_le_i32 s18, s8
	s_mov_b32 s4, s18
	s_waitcnt vmcnt(0)
	v_mul_f64 v[2:3], v[2:3], s[0:1]
	s_cbranch_scc1 .LBB88_55
.LBB88_54:                              ;   Parent Loop BB88_53 Depth=1
                                        ; =>  This Inner Loop Header: Depth=2
	global_load_dwordx2 v[6:7], v[4:5], off
	v_mov_b32_e32 v8, s3
	ds_read_b64 v[8:9], v8
	s_add_i32 s4, s4, -1
	s_addk_i32 s3, 0xff60
	v_add_co_u32_e32 v4, vcc, -8, v4
	v_addc_co_u32_e32 v5, vcc, -1, v5, vcc
	s_cmp_gt_i32 s4, s8
	s_waitcnt vmcnt(0) lgkmcnt(0)
	v_fma_f64 v[2:3], -v[6:7], v[8:9], v[2:3]
	s_cbranch_scc1 .LBB88_54
.LBB88_55:                              ;   in Loop: Header=BB88_53 Depth=1
	s_add_i32 s4, s8, -1
	s_mov_b32 s5, s9
	s_lshl_b64 s[4:5], s[4:5], 3
	v_mov_b32_e32 v5, s5
	v_add_co_u32_e32 v4, vcc, s4, v56
	v_addc_co_u32_e32 v5, vcc, v57, v5, vcc
	global_load_dwordx2 v[8:9], v[4:5], off
	s_mul_i32 s3, s8, 0xa8
	v_mov_b32_e32 v4, s3
	ds_read_b64 v[10:11], v4
	s_ashr_i32 s11, s8, 31
	s_mov_b32 s10, s8
	s_lshl_b64 s[10:11], s[10:11], 3
	v_mov_b32_e32 v5, s11
	v_add_co_u32_e32 v4, vcc, s10, v56
	v_addc_co_u32_e32 v5, vcc, v57, v5, vcc
	s_waitcnt lgkmcnt(0)
	v_mul_f64 v[2:3], v[10:11], v[2:3]
	v_pk_mov_b32 v[6:7], v[0:1], v[0:1] op_sel:[0,1]
	s_mov_b32 s4, s2
	s_cmp_lt_i32 s18, s8
	global_store_dwordx2 v[4:5], v[2:3], off
	s_mov_b32 s5, s16
	s_waitcnt vmcnt(1)
	v_mul_f64 v[2:3], v[8:9], s[0:1]
	s_cbranch_scc1 .LBB88_52
.LBB88_56:                              ;   Parent Loop BB88_53 Depth=1
                                        ; =>  This Inner Loop Header: Depth=2
	global_load_dwordx2 v[8:9], v[6:7], off
	v_mov_b32_e32 v10, s4
	ds_read_b64 v[10:11], v10
	s_add_i32 s5, s5, -1
	s_addk_i32 s4, 0xff60
	v_add_co_u32_e32 v6, vcc, -8, v6
	v_addc_co_u32_e32 v7, vcc, -1, v7, vcc
	s_cmp_gt_i32 s5, s8
	s_waitcnt vmcnt(0) lgkmcnt(0)
	v_fma_f64 v[2:3], -v[8:9], v[10:11], v[2:3]
	s_cbranch_scc1 .LBB88_56
	s_branch .LBB88_52
.LBB88_57:
	s_endpgm
	.section	.rodata,"a",@progbits
	.p2align	6, 0x0
	.amdhsa_kernel _ZL30rocblas_trsm_small_left_deviceILi20ELi20ELb0EddPKdPdEv13rocblas_fill_18rocblas_operation_17rocblas_diagonal_iiT3_T4_lilT5_lili
		.amdhsa_group_segment_fixed_size 3200
		.amdhsa_private_segment_fixed_size 0
		.amdhsa_kernarg_size 360
		.amdhsa_user_sgpr_count 6
		.amdhsa_user_sgpr_private_segment_buffer 1
		.amdhsa_user_sgpr_dispatch_ptr 0
		.amdhsa_user_sgpr_queue_ptr 0
		.amdhsa_user_sgpr_kernarg_segment_ptr 1
		.amdhsa_user_sgpr_dispatch_id 0
		.amdhsa_user_sgpr_flat_scratch_init 0
		.amdhsa_user_sgpr_kernarg_preload_length 0
		.amdhsa_user_sgpr_kernarg_preload_offset 0
		.amdhsa_user_sgpr_private_segment_size 0
		.amdhsa_uses_dynamic_stack 0
		.amdhsa_system_sgpr_private_segment_wavefront_offset 0
		.amdhsa_system_sgpr_workgroup_id_x 1
		.amdhsa_system_sgpr_workgroup_id_y 0
		.amdhsa_system_sgpr_workgroup_id_z 1
		.amdhsa_system_sgpr_workgroup_info 0
		.amdhsa_system_vgpr_workitem_id 0
		.amdhsa_next_free_vgpr 92
		.amdhsa_next_free_sgpr 37
		.amdhsa_accum_offset 92
		.amdhsa_reserve_vcc 1
		.amdhsa_reserve_flat_scratch 0
		.amdhsa_float_round_mode_32 0
		.amdhsa_float_round_mode_16_64 0
		.amdhsa_float_denorm_mode_32 3
		.amdhsa_float_denorm_mode_16_64 3
		.amdhsa_dx10_clamp 1
		.amdhsa_ieee_mode 1
		.amdhsa_fp16_overflow 0
		.amdhsa_tg_split 0
		.amdhsa_exception_fp_ieee_invalid_op 0
		.amdhsa_exception_fp_denorm_src 0
		.amdhsa_exception_fp_ieee_div_zero 0
		.amdhsa_exception_fp_ieee_overflow 0
		.amdhsa_exception_fp_ieee_underflow 0
		.amdhsa_exception_fp_ieee_inexact 0
		.amdhsa_exception_int_div_zero 0
	.end_amdhsa_kernel
	.section	.text._ZL30rocblas_trsm_small_left_deviceILi20ELi20ELb0EddPKdPdEv13rocblas_fill_18rocblas_operation_17rocblas_diagonal_iiT3_T4_lilT5_lili,"axG",@progbits,_ZL30rocblas_trsm_small_left_deviceILi20ELi20ELb0EddPKdPdEv13rocblas_fill_18rocblas_operation_17rocblas_diagonal_iiT3_T4_lilT5_lili,comdat
.Lfunc_end88:
	.size	_ZL30rocblas_trsm_small_left_deviceILi20ELi20ELb0EddPKdPdEv13rocblas_fill_18rocblas_operation_17rocblas_diagonal_iiT3_T4_lilT5_lili, .Lfunc_end88-_ZL30rocblas_trsm_small_left_deviceILi20ELi20ELb0EddPKdPdEv13rocblas_fill_18rocblas_operation_17rocblas_diagonal_iiT3_T4_lilT5_lili
                                        ; -- End function
	.section	.AMDGPU.csdata,"",@progbits
; Kernel info:
; codeLenInByte = 16640
; NumSgprs: 41
; NumVgprs: 92
; NumAgprs: 0
; TotalNumVgprs: 92
; ScratchSize: 0
; MemoryBound: 1
; FloatMode: 240
; IeeeMode: 1
; LDSByteSize: 3200 bytes/workgroup (compile time only)
; SGPRBlocks: 5
; VGPRBlocks: 11
; NumSGPRsForWavesPerEU: 41
; NumVGPRsForWavesPerEU: 92
; AccumOffset: 92
; Occupancy: 5
; WaveLimiterHint : 1
; COMPUTE_PGM_RSRC2:SCRATCH_EN: 0
; COMPUTE_PGM_RSRC2:USER_SGPR: 6
; COMPUTE_PGM_RSRC2:TRAP_HANDLER: 0
; COMPUTE_PGM_RSRC2:TGID_X_EN: 1
; COMPUTE_PGM_RSRC2:TGID_Y_EN: 0
; COMPUTE_PGM_RSRC2:TGID_Z_EN: 1
; COMPUTE_PGM_RSRC2:TIDIG_COMP_CNT: 0
; COMPUTE_PGM_RSRC3_GFX90A:ACCUM_OFFSET: 22
; COMPUTE_PGM_RSRC3_GFX90A:TG_SPLIT: 0
	.section	.text._ZL38rocblas_trsm_small_left_device_sharedBILi20ELi20ELb1EddPKdPdEv13rocblas_fill_18rocblas_operation_17rocblas_diagonal_iiT3_T4_lilT5_lili,"axG",@progbits,_ZL38rocblas_trsm_small_left_device_sharedBILi20ELi20ELb1EddPKdPdEv13rocblas_fill_18rocblas_operation_17rocblas_diagonal_iiT3_T4_lilT5_lili,comdat
	.globl	_ZL38rocblas_trsm_small_left_device_sharedBILi20ELi20ELb1EddPKdPdEv13rocblas_fill_18rocblas_operation_17rocblas_diagonal_iiT3_T4_lilT5_lili ; -- Begin function _ZL38rocblas_trsm_small_left_device_sharedBILi20ELi20ELb1EddPKdPdEv13rocblas_fill_18rocblas_operation_17rocblas_diagonal_iiT3_T4_lilT5_lili
	.p2align	8
	.type	_ZL38rocblas_trsm_small_left_device_sharedBILi20ELi20ELb1EddPKdPdEv13rocblas_fill_18rocblas_operation_17rocblas_diagonal_iiT3_T4_lilT5_lili,@function
_ZL38rocblas_trsm_small_left_device_sharedBILi20ELi20ELb1EddPKdPdEv13rocblas_fill_18rocblas_operation_17rocblas_diagonal_iiT3_T4_lilT5_lili: ; @_ZL38rocblas_trsm_small_left_device_sharedBILi20ELi20ELb1EddPKdPdEv13rocblas_fill_18rocblas_operation_17rocblas_diagonal_iiT3_T4_lilT5_lili
; %bb.0:
	s_load_dwordx4 s[8:11], s[4:5], 0x4
	s_load_dwordx4 s[12:15], s[4:5], 0x18
	s_load_dwordx2 s[20:21], s[4:5], 0x28
	s_load_dwordx4 s[0:3], s[4:5], 0x38
	s_load_dwordx2 s[16:17], s[4:5], 0x48
	s_waitcnt lgkmcnt(0)
	s_min_i32 s30, s10, 20
	s_mov_b32 s33, 0
	s_add_i32 s31, s30, -1
	v_cmp_gt_i32_e32 vcc, s30, v0
	s_and_saveexec_b64 s[18:19], vcc
	s_cbranch_execz .LBB89_10
; %bb.1:
	s_load_dword s22, s[4:5], 0x30
	s_mul_i32 s1, s7, s1
	s_mul_hi_u32 s24, s7, s0
	s_add_i32 s1, s24, s1
	s_mul_i32 s0, s7, s0
	s_waitcnt lgkmcnt(0)
	s_ashr_i32 s23, s22, 31
	s_cmp_lt_u32 s31, 3
	s_cbranch_scc1 .LBB89_4
; %bb.2:
	s_lshl_b64 s[24:25], s[0:1], 3
	s_add_u32 s26, s14, s24
	s_addc_u32 s27, s15, s25
	s_lshl_b64 s[24:25], s[20:21], 3
	s_add_u32 s24, s26, s24
	s_addc_u32 s25, s27, s25
	v_lshlrev_b32_e32 v1, 3, v0
	v_mov_b32_e32 v3, s25
	v_add_co_u32_e32 v2, vcc, s24, v1
	s_mul_hi_i32 s36, s22, 24
	s_lshl_b64 s[24:25], s[22:23], 5
	s_lshl_b64 s[26:27], s[22:23], 4
	;; [unrolled: 1-line block ×3, first 2 shown]
	v_addc_co_u32_e32 v3, vcc, 0, v3, vcc
	s_and_b32 s33, s30, -4
	s_mul_i32 s34, s22, 24
	s_mov_b32 s35, 0
	v_mov_b32_e32 v4, s29
	v_mov_b32_e32 v5, s27
	;; [unrolled: 1-line block ×4, first 2 shown]
.LBB89_3:                               ; =>This Inner Loop Header: Depth=1
	v_add_co_u32_e32 v10, vcc, s28, v2
	v_addc_co_u32_e32 v11, vcc, v3, v4, vcc
	v_add_co_u32_e32 v12, vcc, s26, v2
	v_addc_co_u32_e32 v13, vcc, v3, v5, vcc
	v_add_co_u32_e32 v14, vcc, s34, v2
	global_load_dwordx2 v[8:9], v[2:3], off
	v_addc_co_u32_e32 v15, vcc, v3, v6, vcc
	global_load_dwordx2 v[16:17], v[10:11], off
	global_load_dwordx2 v[18:19], v[12:13], off
	global_load_dwordx2 v[20:21], v[14:15], off
	s_add_i32 s35, s35, 4
	v_add_co_u32_e32 v2, vcc, s24, v2
	v_addc_co_u32_e32 v3, vcc, v3, v7, vcc
	s_cmp_eq_u32 s33, s35
	s_waitcnt vmcnt(2)
	ds_write2_b64 v1, v[8:9], v[16:17] offset1:20
	s_waitcnt vmcnt(0)
	ds_write2_b64 v1, v[18:19], v[20:21] offset0:40 offset1:60
	v_add_u32_e32 v1, 0x280, v1
	s_cbranch_scc0 .LBB89_3
.LBB89_4:
	s_and_b32 s24, s30, 3
	s_cmp_eq_u32 s24, 0
	s_cbranch_scc1 .LBB89_7
; %bb.5:
	s_mul_i32 s25, s33, 0xa0
	v_lshl_add_u32 v1, v0, 3, s25
	s_mul_i32 s25, s23, s33
	s_mul_hi_u32 s26, s22, s33
	s_add_i32 s27, s26, s25
	s_mul_i32 s26, s22, s33
	s_lshl_b64 s[0:1], s[0:1], 3
	s_lshl_b64 s[26:27], s[26:27], 3
	s_add_u32 s25, s0, s26
	s_addc_u32 s26, s1, s27
	s_lshl_b64 s[0:1], s[20:21], 3
	s_add_u32 s0, s25, s0
	s_addc_u32 s1, s26, s1
	s_add_u32 s0, s14, s0
	v_lshlrev_b32_e32 v2, 3, v0
	s_addc_u32 s1, s15, s1
	v_mov_b32_e32 v3, s1
	v_add_co_u32_e32 v2, vcc, s0, v2
	s_lshl_b64 s[0:1], s[22:23], 3
	v_addc_co_u32_e32 v3, vcc, 0, v3, vcc
	v_mov_b32_e32 v4, s1
.LBB89_6:                               ; =>This Inner Loop Header: Depth=1
	global_load_dwordx2 v[6:7], v[2:3], off
	v_add_co_u32_e32 v2, vcc, s0, v2
	s_add_i32 s24, s24, -1
	v_addc_co_u32_e32 v3, vcc, v3, v4, vcc
	s_cmp_lg_u32 s24, 0
	s_waitcnt vmcnt(0)
	ds_write_b64 v1, v[6:7]
	v_add_u32_e32 v1, 0xa0, v1
	s_cbranch_scc1 .LBB89_6
.LBB89_7:
	v_mul_u32_u24_e32 v1, 21, v0
	v_mov_b32_e32 v2, 0
	s_cmpk_lg_i32 s9, 0x84
	v_lshlrev_b32_e32 v1, 3, v1
	v_mov_b32_e32 v3, 0x3ff00000
	s_cbranch_scc0 .LBB89_9
; %bb.8:
	ds_read_b64 v[2:3], v1
	s_waitcnt lgkmcnt(0)
	v_div_scale_f64 v[4:5], s[0:1], v[2:3], v[2:3], 1.0
	v_rcp_f64_e32 v[6:7], v[4:5]
	v_div_scale_f64 v[8:9], vcc, 1.0, v[2:3], 1.0
	v_fma_f64 v[10:11], -v[4:5], v[6:7], 1.0
	v_fmac_f64_e32 v[6:7], v[6:7], v[10:11]
	v_fma_f64 v[10:11], -v[4:5], v[6:7], 1.0
	v_fmac_f64_e32 v[6:7], v[6:7], v[10:11]
	v_mul_f64 v[10:11], v[8:9], v[6:7]
	v_fma_f64 v[4:5], -v[4:5], v[10:11], v[8:9]
	v_div_fmas_f64 v[4:5], v[4:5], v[6:7], v[10:11]
	v_div_fixup_f64 v[2:3], v[4:5], v[2:3], 1.0
.LBB89_9:
	ds_write_b64 v1, v[2:3]
.LBB89_10:
	s_or_b64 exec, exec, s[18:19]
	s_load_dword s9, s[4:5], 0x68
	s_load_dword s22, s[4:5], 0x50
	s_load_dwordx2 s[0:1], s[4:5], 0x58
	s_mov_b32 s18, 0
	s_waitcnt lgkmcnt(0)
	s_ashr_i32 s23, s22, 31
	s_mul_i32 s1, s7, s1
	s_mul_hi_u32 s4, s7, s0
	s_mul_i32 s0, s7, s0
	s_add_i32 s1, s4, s1
	s_lshl_b64 s[0:1], s[0:1], 3
	s_add_u32 s7, s2, s0
	s_addc_u32 s14, s3, s1
	s_lshl_b64 s[4:5], s[16:17], 3
	s_add_u32 s16, s7, s4
	s_mul_i32 s7, s6, 0xffffffec
	s_addc_u32 s17, s14, s5
	s_add_i32 s9, s9, -1
	s_add_i32 s7, s7, s11
	s_cmp_ge_u32 s6, s9
	s_mul_i32 s6, s6, 20
	s_mul_hi_i32 s15, s22, s6
	s_mul_i32 s14, s22, s6
	s_cselect_b32 s9, s7, 20
	s_ashr_i32 s7, s6, 31
	s_lshl_b64 s[14:15], s[14:15], 3
	s_add_u32 s11, s16, s14
	s_addc_u32 s24, s17, s15
	s_cmp_gt_i32 s10, 0
	v_cmp_gt_i32_e32 vcc, s9, v0
	s_cselect_b64 s[14:15], -1, 0
	s_and_b64 s[14:15], vcc, s[14:15]
	s_and_saveexec_b64 s[16:17], s[14:15]
	s_cbranch_execz .LBB89_17
; %bb.11:
	s_cmp_lt_i32 s10, 8
	s_cbranch_scc1 .LBB89_14
; %bb.12:
	v_mad_i64_i32 v[2:3], s[18:19], s22, v0, 0
	v_lshlrev_b64 v[2:3], 3, v[2:3]
	v_mov_b32_e32 v4, s24
	v_add_co_u32_e32 v1, vcc, s11, v2
	v_addc_co_u32_e32 v2, vcc, v4, v3, vcc
	v_mov_b32_e32 v3, 0xc80
	s_lshl_b32 s9, s30, 3
	v_lshl_add_u32 v3, v0, 3, v3
	s_and_b32 s9, s9, 0xc0
	s_mov_b32 s18, 0
	s_mov_b64 s[20:21], 0
.LBB89_13:                              ; =>This Inner Loop Header: Depth=1
	v_mov_b32_e32 v4, s21
	v_add_co_u32_e32 v20, vcc, s20, v1
	v_addc_co_u32_e32 v21, vcc, v2, v4, vcc
	global_load_dwordx4 v[4:7], v[20:21], off
	global_load_dwordx4 v[8:11], v[20:21], off offset:16
	global_load_dwordx4 v[12:15], v[20:21], off offset:32
	;; [unrolled: 1-line block ×3, first 2 shown]
	s_add_i32 s18, s18, 8
	s_add_u32 s20, s20, 64
	s_addc_u32 s21, s21, 0
	s_cmp_lg_u32 s9, s20
	s_waitcnt vmcnt(3)
	v_mul_f64 v[4:5], v[4:5], s[12:13]
	v_mul_f64 v[6:7], v[6:7], s[12:13]
	s_waitcnt vmcnt(2)
	v_mul_f64 v[8:9], v[8:9], s[12:13]
	v_mul_f64 v[10:11], v[10:11], s[12:13]
	;; [unrolled: 3-line block ×4, first 2 shown]
	ds_write2_b64 v3, v[4:5], v[6:7] offset1:20
	ds_write2_b64 v3, v[8:9], v[10:11] offset0:40 offset1:60
	ds_write2_b64 v3, v[12:13], v[14:15] offset0:80 offset1:100
	;; [unrolled: 1-line block ×3, first 2 shown]
	v_add_u32_e32 v3, 0x500, v3
	s_cbranch_scc1 .LBB89_13
.LBB89_14:
	s_and_b32 s9, s30, 7
	s_cmp_eq_u32 s9, 0
	s_mov_b32 s19, 0
	s_cbranch_scc1 .LBB89_17
; %bb.15:
	s_mul_i32 s20, s18, 0xa0
	v_lshl_add_u32 v1, v0, 3, s20
	s_lshl_b64 s[20:21], s[6:7], 3
	s_lshl_b64 s[18:19], s[18:19], 3
	s_add_u32 s18, s2, s18
	s_addc_u32 s19, s3, s19
	s_add_u32 s18, s18, s4
	s_addc_u32 s19, s19, s5
	v_lshlrev_b32_e32 v2, 3, v0
	s_add_u32 s18, s18, s0
	v_mov_b32_e32 v3, s21
	v_add_co_u32_e32 v4, vcc, s20, v2
	s_addc_u32 s19, s19, s1
	v_addc_co_u32_e32 v5, vcc, 0, v3, vcc
	v_pk_mov_b32 v[2:3], s[18:19], s[18:19] op_sel:[0,1]
	v_mad_u64_u32 v[2:3], s[18:19], v4, s22, v[2:3]
	v_mul_lo_u32 v4, v4, s23
	v_mul_lo_u32 v5, v5, s22
	v_add_u32_e32 v1, 0xc80, v1
	v_add3_u32 v3, v5, v3, v4
.LBB89_16:                              ; =>This Inner Loop Header: Depth=1
	global_load_dwordx2 v[4:5], v[2:3], off
	v_add_co_u32_e32 v2, vcc, 8, v2
	s_add_i32 s9, s9, -1
	v_addc_co_u32_e32 v3, vcc, 0, v3, vcc
	s_cmp_lg_u32 s9, 0
	s_waitcnt vmcnt(0)
	v_mul_f64 v[4:5], v[4:5], s[12:13]
	ds_write_b64 v1, v[4:5]
	v_add_u32_e32 v1, 0xa0, v1
	s_cbranch_scc1 .LBB89_16
.LBB89_17:
	s_or_b64 exec, exec, s[16:17]
	s_cmpk_eq_i32 s8, 0x6f
	s_mov_b64 s[8:9], -1
	s_waitcnt lgkmcnt(0)
	; wave barrier
	s_waitcnt lgkmcnt(0)
	s_cbranch_scc1 .LBB89_40
; %bb.18:
	s_cmp_gt_i32 s10, 19
	s_mov_b32 s8, s31
	s_cbranch_scc0 .LBB89_20
; %bb.19:
	s_mul_i32 s8, s31, 20
	s_mul_i32 s33, s30, 20
	v_add_lshl_u32 v1, s8, v0, 3
	s_sub_i32 s8, s33, 40
	s_add_i32 s36, s33, 0xffffff9c
	s_add_i32 s27, s33, 0xffffff4c
	;; [unrolled: 1-line block ×4, first 2 shown]
	s_mul_i32 s25, s31, 0xa8
	v_add_lshl_u32 v51, s8, v0, 3
	s_sub_i32 s34, s33, 60
	s_add_i32 s35, s33, 0xffffffb0
	v_add_lshl_u32 v61, s36, v0, 3
	s_add_i32 s37, s33, 0xffffff88
	s_add_i32 s29, s33, 0xffffff74
	s_add_i32 s28, s33, 0xffffff60
	v_add_lshl_u32 v71, s27, v0, 3
	s_add_i32 s26, s33, 0xffffff38
	s_add_i32 s13, s33, 0xffffff24
	;; [unrolled: 4-line block ×4, first 2 shown]
	s_add_i32 s8, s33, 0xfffffe70
	v_mov_b32_e32 v6, s25
	v_add_lshl_u32 v54, s34, v0, 3
	v_add_lshl_u32 v60, s35, v0, 3
	ds_read_b64 v[4:5], v1 offset:3200
	ds_read_b64 v[14:15], v51 offset:3200
	ds_read_b64 v[18:19], v54 offset:3200
	ds_read_b64 v[56:57], v60 offset:3200
	v_add_lshl_u32 v68, s37, v0, 3
	v_add_lshl_u32 v69, s29, v0, 3
	v_add_lshl_u32 v70, s28, v0, 3
	ds_read_b64 v[58:59], v61 offset:3200
	ds_read_b64 v[64:65], v68 offset:3200
	ds_read_b64 v[66:67], v69 offset:3200
	ds_read_b64 v[20:21], v70 offset:3200
	v_add_lshl_u32 v72, s26, v0, 3
	;; [unrolled: 7-line block ×4, first 2 shown]
	v_add_lshl_u32 v42, s9, v0, 3
	v_add_lshl_u32 v1, s8, v0, 3
	ds_read_b64 v[28:29], v44 offset:3200
	ds_read_b64 v[22:23], v43 offset:3200
	;; [unrolled: 1-line block ×4, first 2 shown]
	ds_read_b64 v[10:11], v6
	s_sub_i32 s33, s33, 20
	s_add_i32 s38, s25, 0xffffff58
	s_add_i32 s34, s34, s31
	v_mov_b32_e32 v6, s38
	s_waitcnt lgkmcnt(0)
	v_mul_f64 v[4:5], v[10:11], v[4:5]
	v_add_lshl_u32 v10, s33, v0, 3
	s_lshl_b32 s33, s34, 3
	ds_read2_b64 v[6:9], v6 offset1:1
	ds_write_b64 v10, v[4:5] offset:3200
	v_mov_b32_e32 v10, s33
	s_add_i32 s33, s25, 0xfffffeb0
	v_mov_b32_e32 v11, s33
	ds_read_b64 v[52:53], v10
	ds_read2_b64 v[10:13], v11 offset1:1
	s_waitcnt lgkmcnt(3)
	v_fma_f64 v[8:9], -v[4:5], v[8:9], v[14:15]
	s_add_i32 s35, s35, s31
	v_mul_f64 v[6:7], v[6:7], v[8:9]
	s_waitcnt lgkmcnt(1)
	v_fma_f64 v[8:9], -v[4:5], v[52:53], v[18:19]
	s_lshl_b32 s33, s35, 3
	s_waitcnt lgkmcnt(0)
	v_fma_f64 v[8:9], -v[6:7], v[12:13], v[8:9]
	s_add_i32 s33, s33, -8
	v_mul_f64 v[8:9], v[10:11], v[8:9]
	v_mov_b32_e32 v10, s33
	ds_read2_b64 v[10:13], v10 offset1:1
	s_add_i32 s33, s25, 0xfffffe08
	v_mov_b32_e32 v14, s33
	s_add_i32 s36, s36, s31
	ds_write_b64 v54, v[8:9] offset:3200
	ds_read2_b64 v[52:55], v14 offset1:1
	s_waitcnt lgkmcnt(2)
	v_fma_f64 v[12:13], -v[4:5], v[12:13], v[56:57]
	s_lshl_b32 s33, s36, 3
	v_fma_f64 v[10:11], -v[6:7], v[10:11], v[12:13]
	v_mov_b32_e32 v12, s33
	s_add_i32 s33, s33, -16
	ds_write_b64 v51, v[6:7] offset:3200
	v_mov_b32_e32 v13, s33
	ds_read_b64 v[18:19], v12
	ds_read2_b64 v[12:15], v13 offset1:1
	s_add_i32 s33, s25, 0xfffffd60
	s_add_i32 s37, s37, s31
	s_waitcnt lgkmcnt(3)
	v_fma_f64 v[10:11], -v[8:9], v[54:55], v[10:11]
	s_waitcnt lgkmcnt(1)
	v_fma_f64 v[18:19], -v[4:5], v[18:19], v[58:59]
	;; [unrolled: 2-line block ×3, first 2 shown]
	v_fma_f64 v[18:19], -v[8:9], v[12:13], v[14:15]
	v_mov_b32_e32 v12, s33
	ds_read2_b64 v[12:15], v12 offset1:1
	s_lshl_b32 s33, s37, 3
	s_add_i32 s34, s33, -8
	v_mul_f64 v[10:11], v[52:53], v[10:11]
	v_mov_b32_e32 v51, s34
	ds_read2_b64 v[52:55], v51 offset1:1
	s_waitcnt lgkmcnt(1)
	v_fma_f64 v[14:15], -v[10:11], v[14:15], v[18:19]
	s_sub_i32 s33, s33, 24
	v_mul_f64 v[12:13], v[12:13], v[14:15]
	v_mov_b32_e32 v14, s33
	s_add_i32 s33, s25, 0xfffffcb8
	ds_read2_b64 v[56:59], v14 offset1:1
	v_mov_b32_e32 v14, s33
	ds_write_b64 v60, v[10:11] offset:3200
	ds_write_b64 v61, v[12:13] offset:3200
	ds_read2_b64 v[60:63], v14 offset1:1
	s_waitcnt lgkmcnt(4)
	v_fma_f64 v[14:15], -v[4:5], v[54:55], v[64:65]
	v_fma_f64 v[14:15], -v[6:7], v[52:53], v[14:15]
	s_waitcnt lgkmcnt(3)
	v_fma_f64 v[14:15], -v[8:9], v[58:59], v[14:15]
	v_fma_f64 v[14:15], -v[10:11], v[56:57], v[14:15]
	s_add_i32 s29, s29, s31
	s_waitcnt lgkmcnt(0)
	v_fma_f64 v[14:15], -v[12:13], v[62:63], v[14:15]
	s_lshl_b32 s29, s29, 3
	v_mul_f64 v[14:15], v[60:61], v[14:15]
	s_add_i32 s33, s29, -8
	ds_write_b64 v68, v[14:15] offset:3200
	v_mov_b32_e32 v18, s33
	s_sub_i32 s33, s29, 24
	v_mov_b32_e32 v19, s33
	ds_read2_b64 v[52:55], v18 offset1:1
	ds_read2_b64 v[56:59], v19 offset1:1
	s_sub_i32 s29, s29, 40
	v_mov_b32_e32 v18, s29
	ds_read2_b64 v[60:63], v18 offset1:1
	s_waitcnt lgkmcnt(2)
	v_fma_f64 v[18:19], -v[4:5], v[54:55], v[66:67]
	s_add_i32 s28, s28, s31
	v_fma_f64 v[18:19], -v[6:7], v[52:53], v[18:19]
	s_add_i32 s29, s25, 0xfffffc10
	s_lshl_b32 s28, s28, 3
	s_waitcnt lgkmcnt(1)
	v_fma_f64 v[18:19], -v[8:9], v[58:59], v[18:19]
	v_mov_b32_e32 v51, s29
	s_add_i32 s29, s28, -16
	v_fma_f64 v[18:19], -v[10:11], v[56:57], v[18:19]
	ds_read_b64 v[56:57], v51
	v_mov_b32_e32 v51, s28
	v_mov_b32_e32 v52, s29
	ds_read_b64 v[58:59], v51
	ds_read2_b64 v[52:55], v52 offset1:1
	s_waitcnt lgkmcnt(3)
	v_fma_f64 v[18:19], -v[12:13], v[62:63], v[18:19]
	v_fma_f64 v[18:19], -v[14:15], v[60:61], v[18:19]
	s_waitcnt lgkmcnt(2)
	v_mul_f64 v[18:19], v[56:57], v[18:19]
	s_waitcnt lgkmcnt(1)
	v_fma_f64 v[20:21], -v[4:5], v[58:59], v[20:21]
	s_sub_i32 s29, s28, 32
	s_sub_i32 s28, s28, 48
	ds_write_b64 v69, v[18:19] offset:3200
	s_waitcnt lgkmcnt(1)
	v_fma_f64 v[20:21], -v[6:7], v[54:55], v[20:21]
	v_mov_b32_e32 v51, s29
	v_mov_b32_e32 v56, s28
	v_fma_f64 v[20:21], -v[8:9], v[52:53], v[20:21]
	ds_read2_b64 v[52:55], v51 offset1:1
	ds_read2_b64 v[56:59], v56 offset1:1
	s_add_i32 s27, s27, s31
	s_add_i32 s28, s25, 0xfffffb68
	s_lshl_b32 s27, s27, 3
	v_mov_b32_e32 v51, s28
	s_add_i32 s28, s27, -8
	ds_read_b64 v[60:61], v51
	s_waitcnt lgkmcnt(2)
	v_fma_f64 v[20:21], -v[10:11], v[54:55], v[20:21]
	v_mov_b32_e32 v51, s28
	v_fma_f64 v[20:21], -v[12:13], v[52:53], v[20:21]
	ds_read2_b64 v[52:55], v51 offset1:1
	s_sub_i32 s28, s27, 24
	s_waitcnt lgkmcnt(2)
	v_fma_f64 v[20:21], -v[14:15], v[58:59], v[20:21]
	v_mov_b32_e32 v51, s28
	v_fma_f64 v[20:21], -v[18:19], v[56:57], v[20:21]
	ds_read2_b64 v[56:59], v51 offset1:1
	s_sub_i32 s28, s27, 40
	;; [unrolled: 6-line block ×3, first 2 shown]
	v_mov_b32_e32 v51, s27
	s_waitcnt lgkmcnt(1)
	v_fma_f64 v[24:25], -v[8:9], v[58:59], v[24:25]
	s_add_i32 s26, s26, s31
	v_mul_f64 v[20:21], v[60:61], v[20:21]
	ds_read2_b64 v[60:63], v51 offset1:1
	v_fma_f64 v[24:25], -v[10:11], v[56:57], v[24:25]
	s_add_i32 s27, s25, 0xfffffac0
	s_lshl_b32 s26, s26, 3
	s_waitcnt lgkmcnt(1)
	v_fma_f64 v[24:25], -v[12:13], v[54:55], v[24:25]
	v_mov_b32_e32 v51, s27
	s_add_i32 s27, s26, -16
	ds_write_b64 v70, v[20:21] offset:3200
	v_fma_f64 v[24:25], -v[14:15], v[52:53], v[24:25]
	ds_read_b64 v[56:57], v51
	v_mov_b32_e32 v51, s26
	v_mov_b32_e32 v52, s27
	ds_read_b64 v[58:59], v51
	ds_read2_b64 v[52:55], v52 offset1:1
	s_waitcnt lgkmcnt(4)
	v_fma_f64 v[24:25], -v[18:19], v[62:63], v[24:25]
	v_fma_f64 v[24:25], -v[20:21], v[60:61], v[24:25]
	s_sub_i32 s27, s26, 32
	s_waitcnt lgkmcnt(2)
	v_mul_f64 v[24:25], v[56:57], v[24:25]
	s_waitcnt lgkmcnt(1)
	v_fma_f64 v[26:27], -v[4:5], v[58:59], v[26:27]
	v_mov_b32_e32 v51, s27
	s_sub_i32 s27, s26, 48
	ds_write_b64 v71, v[24:25] offset:3200
	s_waitcnt lgkmcnt(1)
	v_fma_f64 v[26:27], -v[6:7], v[54:55], v[26:27]
	v_mov_b32_e32 v56, s27
	v_fma_f64 v[26:27], -v[8:9], v[52:53], v[26:27]
	ds_read2_b64 v[52:55], v51 offset1:1
	ds_read2_b64 v[56:59], v56 offset1:1
	s_sub_i32 s26, s26, 64
	s_add_i32 s13, s13, s31
	v_mov_b32_e32 v51, s26
	s_waitcnt lgkmcnt(1)
	v_fma_f64 v[26:27], -v[10:11], v[54:55], v[26:27]
	v_fma_f64 v[26:27], -v[12:13], v[52:53], v[26:27]
	s_addk_i32 s25, 0xfa18
	s_lshl_b32 s13, s13, 3
	ds_read2_b64 v[60:63], v51 offset1:1
	s_waitcnt lgkmcnt(1)
	v_fma_f64 v[26:27], -v[14:15], v[58:59], v[26:27]
	v_mov_b32_e32 v51, s25
	s_add_i32 s25, s13, -16
	v_fma_f64 v[26:27], -v[18:19], v[56:57], v[26:27]
	ds_read_b64 v[56:57], v51
	v_mov_b32_e32 v51, s13
	v_mov_b32_e32 v52, s25
	ds_read_b64 v[58:59], v51
	ds_read2_b64 v[52:55], v52 offset1:1
	s_waitcnt lgkmcnt(3)
	v_fma_f64 v[26:27], -v[20:21], v[62:63], v[26:27]
	s_sub_i32 s25, s13, 32
	v_fma_f64 v[26:27], -v[24:25], v[60:61], v[26:27]
	s_waitcnt lgkmcnt(1)
	v_fma_f64 v[30:31], -v[4:5], v[58:59], v[30:31]
	v_mov_b32_e32 v51, s25
	v_mul_f64 v[26:27], v[56:57], v[26:27]
	s_waitcnt lgkmcnt(0)
	v_fma_f64 v[30:31], -v[6:7], v[54:55], v[30:31]
	ds_read2_b64 v[54:57], v51 offset1:1
	s_sub_i32 s25, s13, 48
	v_mov_b32_e32 v51, s25
	v_fma_f64 v[30:31], -v[8:9], v[52:53], v[30:31]
	ds_read2_b64 v[58:61], v51 offset1:1
	s_sub_i32 s13, s13, 64
	s_waitcnt lgkmcnt(1)
	v_fma_f64 v[30:31], -v[10:11], v[56:57], v[30:31]
	v_mov_b32_e32 v51, s13
	s_mul_i32 s13, s30, 0xa8
	v_fma_f64 v[30:31], -v[12:13], v[54:55], v[30:31]
	s_add_i32 s25, s13, 0xfffff8c8
	ds_read2_b64 v[52:55], v51 offset1:1
	v_mov_b32_e32 v51, s25
	ds_read2_b64 v[62:65], v51 offset1:1
	s_add_i32 s21, s21, s31
	s_waitcnt lgkmcnt(2)
	v_fma_f64 v[30:31], -v[14:15], v[60:61], v[30:31]
	s_lshl_b32 s21, s21, 3
	v_fma_f64 v[30:31], -v[18:19], v[58:59], v[30:31]
	s_add_i32 s25, s21, -8
	s_waitcnt lgkmcnt(1)
	v_fma_f64 v[30:31], -v[20:21], v[54:55], v[30:31]
	v_mov_b32_e32 v51, s25
	v_fma_f64 v[30:31], -v[24:25], v[52:53], v[30:31]
	ds_read2_b64 v[52:55], v51 offset1:1
	s_waitcnt lgkmcnt(1)
	v_fma_f64 v[30:31], -v[26:27], v[64:65], v[30:31]
	v_mul_f64 v[30:31], v[62:63], v[30:31]
	s_sub_i32 s25, s21, 24
	ds_write_b64 v72, v[26:27] offset:3200
	ds_write_b64 v50, v[30:31] offset:3200
	v_mov_b32_e32 v50, s25
	ds_read2_b64 v[56:59], v50 offset1:1
	s_sub_i32 s25, s21, 40
	s_waitcnt lgkmcnt(3)
	v_fma_f64 v[34:35], -v[4:5], v[54:55], v[34:35]
	v_mov_b32_e32 v50, s25
	v_fma_f64 v[34:35], -v[6:7], v[52:53], v[34:35]
	ds_read2_b64 v[50:53], v50 offset1:1
	s_sub_i32 s25, s21, 56
	s_waitcnt lgkmcnt(1)
	v_fma_f64 v[34:35], -v[8:9], v[58:59], v[34:35]
	v_mov_b32_e32 v54, s25
	ds_read2_b64 v[60:63], v54 offset1:1
	v_fma_f64 v[34:35], -v[10:11], v[56:57], v[34:35]
	s_waitcnt lgkmcnt(1)
	v_fma_f64 v[34:35], -v[12:13], v[52:53], v[34:35]
	s_addk_i32 s21, 0xffb8
	v_fma_f64 v[34:35], -v[14:15], v[50:51], v[34:35]
	v_mov_b32_e32 v50, s21
	ds_read2_b64 v[50:53], v50 offset1:1
	s_add_i32 s21, s13, 0xfffff820
	s_waitcnt lgkmcnt(1)
	v_fma_f64 v[34:35], -v[18:19], v[62:63], v[34:35]
	v_mov_b32_e32 v54, s21
	ds_read2_b64 v[54:57], v54 offset1:1
	s_add_i32 s20, s20, s31
	v_fma_f64 v[34:35], -v[20:21], v[60:61], v[34:35]
	s_lshl_b32 s20, s20, 3
	s_waitcnt lgkmcnt(1)
	v_fma_f64 v[34:35], -v[24:25], v[52:53], v[34:35]
	s_add_i32 s21, s20, -16
	v_fma_f64 v[34:35], -v[26:27], v[50:51], v[34:35]
	v_mov_b32_e32 v50, s20
	v_mov_b32_e32 v51, s21
	ds_read_b64 v[58:59], v50
	ds_read2_b64 v[50:53], v51 offset1:1
	s_waitcnt lgkmcnt(2)
	v_fma_f64 v[34:35], -v[30:31], v[56:57], v[34:35]
	v_mul_f64 v[34:35], v[54:55], v[34:35]
	s_sub_i32 s21, s20, 32
	ds_write_b64 v49, v[34:35] offset:3200
	s_waitcnt lgkmcnt(2)
	v_fma_f64 v[36:37], -v[4:5], v[58:59], v[36:37]
	v_mov_b32_e32 v49, s21
	s_waitcnt lgkmcnt(1)
	v_fma_f64 v[36:37], -v[6:7], v[52:53], v[36:37]
	ds_read2_b64 v[52:55], v49 offset1:1
	s_sub_i32 s21, s20, 48
	v_mov_b32_e32 v49, s21
	v_fma_f64 v[36:37], -v[8:9], v[50:51], v[36:37]
	ds_read2_b64 v[56:59], v49 offset1:1
	s_sub_i32 s21, s20, 64
	s_waitcnt lgkmcnt(1)
	v_fma_f64 v[36:37], -v[10:11], v[54:55], v[36:37]
	v_mov_b32_e32 v49, s21
	v_fma_f64 v[36:37], -v[12:13], v[52:53], v[36:37]
	ds_read2_b64 v[50:53], v49 offset1:1
	s_addk_i32 s20, 0xffb0
	v_mov_b32_e32 v49, s20
	s_waitcnt lgkmcnt(1)
	v_fma_f64 v[36:37], -v[14:15], v[58:59], v[36:37]
	ds_read2_b64 v[60:63], v49 offset1:1
	v_fma_f64 v[36:37], -v[18:19], v[56:57], v[36:37]
	s_add_i32 s20, s13, 0xfffff778
	s_waitcnt lgkmcnt(1)
	v_fma_f64 v[36:37], -v[20:21], v[52:53], v[36:37]
	v_mov_b32_e32 v49, s20
	v_fma_f64 v[36:37], -v[24:25], v[50:51], v[36:37]
	ds_read2_b64 v[50:53], v49 offset1:1
	s_add_i32 s19, s19, s31
	s_waitcnt lgkmcnt(1)
	v_fma_f64 v[36:37], -v[26:27], v[62:63], v[36:37]
	s_lshl_b32 s19, s19, 3
	v_fma_f64 v[36:37], -v[30:31], v[60:61], v[36:37]
	s_add_i32 s20, s19, -8
	v_mov_b32_e32 v49, s20
	s_waitcnt lgkmcnt(0)
	v_fma_f64 v[36:37], -v[34:35], v[52:53], v[36:37]
	ds_read2_b64 v[54:57], v49 offset1:1
	v_mul_f64 v[36:37], v[50:51], v[36:37]
	s_sub_i32 s20, s19, 24
	ds_write_b64 v48, v[36:37] offset:3200
	v_mov_b32_e32 v48, s20
	ds_read2_b64 v[48:51], v48 offset1:1
	s_sub_i32 s20, s19, 40
	s_waitcnt lgkmcnt(2)
	v_fma_f64 v[40:41], -v[4:5], v[56:57], v[40:41]
	v_mov_b32_e32 v52, s20
	ds_read2_b64 v[58:61], v52 offset1:1
	v_fma_f64 v[40:41], -v[6:7], v[54:55], v[40:41]
	s_waitcnt lgkmcnt(1)
	v_fma_f64 v[40:41], -v[8:9], v[50:51], v[40:41]
	s_sub_i32 s20, s19, 56
	v_fma_f64 v[40:41], -v[10:11], v[48:49], v[40:41]
	v_mov_b32_e32 v48, s20
	ds_read2_b64 v[48:51], v48 offset1:1
	s_waitcnt lgkmcnt(1)
	v_fma_f64 v[40:41], -v[12:13], v[60:61], v[40:41]
	s_add_i32 s20, s19, 0xffffffb8
	v_fma_f64 v[40:41], -v[14:15], v[58:59], v[40:41]
	v_mov_b32_e32 v52, s20
	ds_read2_b64 v[52:55], v52 offset1:1
	s_waitcnt lgkmcnt(1)
	v_fma_f64 v[40:41], -v[18:19], v[50:51], v[40:41]
	s_addk_i32 s19, 0xffa8
	v_fma_f64 v[40:41], -v[20:21], v[48:49], v[40:41]
	v_mov_b32_e32 v48, s19
	s_add_i32 s19, s13, 0xfffff6d0
	ds_read2_b64 v[48:51], v48 offset1:1
	v_mov_b32_e32 v56, s19
	ds_read2_b64 v[56:59], v56 offset1:1
	s_waitcnt lgkmcnt(2)
	v_fma_f64 v[40:41], -v[24:25], v[54:55], v[40:41]
	v_fma_f64 v[40:41], -v[26:27], v[52:53], v[40:41]
	s_add_i32 s18, s18, s31
	s_waitcnt lgkmcnt(1)
	v_fma_f64 v[40:41], -v[30:31], v[50:51], v[40:41]
	s_lshl_b32 s18, s18, 3
	v_fma_f64 v[40:41], -v[34:35], v[48:49], v[40:41]
	v_mov_b32_e32 v48, s18
	s_waitcnt lgkmcnt(0)
	v_fma_f64 v[40:41], -v[36:37], v[58:59], v[40:41]
	ds_read_b64 v[52:53], v48
	v_mul_f64 v[40:41], v[56:57], v[40:41]
	s_add_i32 s19, s18, -16
	ds_write_b64 v47, v[40:41] offset:3200
	v_mov_b32_e32 v47, s19
	ds_read2_b64 v[48:51], v47 offset1:1
	s_sub_i32 s19, s18, 32
	v_mov_b32_e32 v47, s19
	s_waitcnt lgkmcnt(2)
	v_fma_f64 v[38:39], -v[4:5], v[52:53], v[38:39]
	s_sub_i32 s19, s18, 48
	ds_read2_b64 v[52:55], v47 offset1:1
	v_mov_b32_e32 v47, s19
	ds_read2_b64 v[56:59], v47 offset1:1
	s_sub_i32 s19, s18, 64
	s_waitcnt lgkmcnt(2)
	v_fma_f64 v[38:39], -v[6:7], v[50:51], v[38:39]
	v_mov_b32_e32 v47, s19
	v_fma_f64 v[38:39], -v[8:9], v[48:49], v[38:39]
	ds_read2_b64 v[48:51], v47 offset1:1
	s_waitcnt lgkmcnt(2)
	v_fma_f64 v[38:39], -v[10:11], v[54:55], v[38:39]
	v_fma_f64 v[38:39], -v[12:13], v[52:53], v[38:39]
	s_add_i32 s19, s18, 0xffffffb0
	s_waitcnt lgkmcnt(1)
	v_fma_f64 v[38:39], -v[14:15], v[58:59], v[38:39]
	v_mov_b32_e32 v47, s19
	v_fma_f64 v[38:39], -v[18:19], v[56:57], v[38:39]
	ds_read2_b64 v[52:55], v47 offset1:1
	s_addk_i32 s18, 0xffa0
	s_waitcnt lgkmcnt(1)
	v_fma_f64 v[38:39], -v[20:21], v[50:51], v[38:39]
	v_mov_b32_e32 v47, s18
	v_fma_f64 v[38:39], -v[24:25], v[48:49], v[38:39]
	s_add_i32 s18, s13, 0xfffff628
	ds_read2_b64 v[48:51], v47 offset1:1
	v_mov_b32_e32 v47, s18
	ds_read2_b64 v[56:59], v47 offset1:1
	s_add_i32 s17, s17, s31
	s_waitcnt lgkmcnt(2)
	v_fma_f64 v[38:39], -v[26:27], v[54:55], v[38:39]
	s_lshl_b32 s17, s17, 3
	v_fma_f64 v[38:39], -v[30:31], v[52:53], v[38:39]
	s_add_i32 s18, s17, -8
	s_waitcnt lgkmcnt(1)
	v_fma_f64 v[38:39], -v[34:35], v[50:51], v[38:39]
	v_mov_b32_e32 v47, s18
	v_fma_f64 v[38:39], -v[36:37], v[48:49], v[38:39]
	ds_read2_b64 v[48:51], v47 offset1:1
	s_waitcnt lgkmcnt(1)
	v_fma_f64 v[38:39], -v[40:41], v[58:59], v[38:39]
	v_mul_f64 v[38:39], v[56:57], v[38:39]
	s_sub_i32 s18, s17, 24
	ds_write_b64 v46, v[38:39] offset:3200
	v_mov_b32_e32 v46, s18
	ds_read2_b64 v[52:55], v46 offset1:1
	s_sub_i32 s18, s17, 40
	s_waitcnt lgkmcnt(2)
	v_fma_f64 v[32:33], -v[4:5], v[50:51], v[32:33]
	v_mov_b32_e32 v46, s18
	v_fma_f64 v[32:33], -v[6:7], v[48:49], v[32:33]
	ds_read2_b64 v[46:49], v46 offset1:1
	s_sub_i32 s18, s17, 56
	s_waitcnt lgkmcnt(1)
	v_fma_f64 v[32:33], -v[8:9], v[54:55], v[32:33]
	v_mov_b32_e32 v50, s18
	ds_read2_b64 v[56:59], v50 offset1:1
	v_fma_f64 v[32:33], -v[10:11], v[52:53], v[32:33]
	s_waitcnt lgkmcnt(1)
	v_fma_f64 v[32:33], -v[12:13], v[48:49], v[32:33]
	s_add_i32 s18, s17, 0xffffffb8
	v_fma_f64 v[32:33], -v[14:15], v[46:47], v[32:33]
	v_mov_b32_e32 v46, s18
	ds_read2_b64 v[46:49], v46 offset1:1
	s_waitcnt lgkmcnt(1)
	v_fma_f64 v[32:33], -v[18:19], v[58:59], v[32:33]
	s_add_i32 s18, s17, 0xffffffa8
	v_fma_f64 v[32:33], -v[20:21], v[56:57], v[32:33]
	v_mov_b32_e32 v50, s18
	ds_read2_b64 v[50:53], v50 offset1:1
	s_waitcnt lgkmcnt(1)
	v_fma_f64 v[32:33], -v[24:25], v[48:49], v[32:33]
	s_addk_i32 s17, 0xff98
	v_fma_f64 v[32:33], -v[26:27], v[46:47], v[32:33]
	v_mov_b32_e32 v46, s17
	s_add_i32 s17, s13, 0xfffff580
	ds_read2_b64 v[46:49], v46 offset1:1
	v_mov_b32_e32 v54, s17
	ds_read2_b64 v[54:57], v54 offset1:1
	s_waitcnt lgkmcnt(2)
	v_fma_f64 v[32:33], -v[30:31], v[52:53], v[32:33]
	v_fma_f64 v[32:33], -v[34:35], v[50:51], v[32:33]
	s_add_i32 s16, s16, s31
	s_waitcnt lgkmcnt(1)
	v_fma_f64 v[32:33], -v[36:37], v[48:49], v[32:33]
	s_lshl_b32 s16, s16, 3
	v_fma_f64 v[32:33], -v[40:41], v[46:47], v[32:33]
	v_mov_b32_e32 v46, s16
	s_waitcnt lgkmcnt(0)
	v_fma_f64 v[32:33], -v[38:39], v[56:57], v[32:33]
	ds_read_b64 v[50:51], v46
	v_mul_f64 v[32:33], v[54:55], v[32:33]
	s_add_i32 s17, s16, -16
	ds_write_b64 v45, v[32:33] offset:3200
	v_mov_b32_e32 v45, s17
	ds_read2_b64 v[46:49], v45 offset1:1
	s_sub_i32 s17, s16, 32
	v_mov_b32_e32 v45, s17
	s_waitcnt lgkmcnt(2)
	v_fma_f64 v[28:29], -v[4:5], v[50:51], v[28:29]
	s_sub_i32 s17, s16, 48
	ds_read2_b64 v[50:53], v45 offset1:1
	v_mov_b32_e32 v45, s17
	ds_read2_b64 v[54:57], v45 offset1:1
	s_sub_i32 s17, s16, 64
	s_waitcnt lgkmcnt(2)
	v_fma_f64 v[28:29], -v[6:7], v[48:49], v[28:29]
	v_mov_b32_e32 v45, s17
	v_fma_f64 v[28:29], -v[8:9], v[46:47], v[28:29]
	ds_read2_b64 v[46:49], v45 offset1:1
	s_waitcnt lgkmcnt(2)
	v_fma_f64 v[28:29], -v[10:11], v[52:53], v[28:29]
	v_fma_f64 v[28:29], -v[12:13], v[50:51], v[28:29]
	s_add_i32 s17, s16, 0xffffffb0
	s_waitcnt lgkmcnt(1)
	v_fma_f64 v[28:29], -v[14:15], v[56:57], v[28:29]
	v_mov_b32_e32 v45, s17
	v_fma_f64 v[28:29], -v[18:19], v[54:55], v[28:29]
	ds_read2_b64 v[50:53], v45 offset1:1
	s_add_i32 s17, s16, 0xffffffa0
	s_waitcnt lgkmcnt(1)
	v_fma_f64 v[28:29], -v[20:21], v[48:49], v[28:29]
	v_mov_b32_e32 v45, s17
	v_fma_f64 v[28:29], -v[24:25], v[46:47], v[28:29]
	ds_read2_b64 v[46:49], v45 offset1:1
	s_addk_i32 s16, 0xff90
	v_mov_b32_e32 v45, s16
	s_waitcnt lgkmcnt(1)
	v_fma_f64 v[28:29], -v[26:27], v[52:53], v[28:29]
	ds_read2_b64 v[54:57], v45 offset1:1
	v_fma_f64 v[28:29], -v[30:31], v[50:51], v[28:29]
	s_add_i32 s16, s13, 0xfffff4d8
	s_waitcnt lgkmcnt(1)
	v_fma_f64 v[28:29], -v[34:35], v[48:49], v[28:29]
	v_mov_b32_e32 v45, s16
	v_fma_f64 v[28:29], -v[36:37], v[46:47], v[28:29]
	ds_read2_b64 v[46:49], v45 offset1:1
	s_add_i32 s12, s12, s31
	s_waitcnt lgkmcnt(1)
	v_fma_f64 v[28:29], -v[40:41], v[56:57], v[28:29]
	s_lshl_b32 s12, s12, 3
	v_fma_f64 v[28:29], -v[38:39], v[54:55], v[28:29]
	s_add_i32 s16, s12, -8
	v_mov_b32_e32 v45, s16
	s_waitcnt lgkmcnt(0)
	v_fma_f64 v[28:29], -v[32:33], v[48:49], v[28:29]
	ds_read2_b64 v[50:53], v45 offset1:1
	v_mul_f64 v[28:29], v[46:47], v[28:29]
	s_sub_i32 s16, s12, 24
	ds_write_b64 v44, v[28:29] offset:3200
	v_mov_b32_e32 v44, s16
	ds_read2_b64 v[44:47], v44 offset1:1
	s_sub_i32 s16, s12, 40
	s_waitcnt lgkmcnt(2)
	v_fma_f64 v[22:23], -v[4:5], v[52:53], v[22:23]
	v_mov_b32_e32 v48, s16
	ds_read2_b64 v[54:57], v48 offset1:1
	v_fma_f64 v[22:23], -v[6:7], v[50:51], v[22:23]
	s_waitcnt lgkmcnt(1)
	v_fma_f64 v[22:23], -v[8:9], v[46:47], v[22:23]
	s_sub_i32 s16, s12, 56
	v_fma_f64 v[22:23], -v[10:11], v[44:45], v[22:23]
	v_mov_b32_e32 v44, s16
	ds_read2_b64 v[44:47], v44 offset1:1
	s_waitcnt lgkmcnt(1)
	v_fma_f64 v[22:23], -v[12:13], v[56:57], v[22:23]
	s_add_i32 s16, s12, 0xffffffb8
	v_fma_f64 v[22:23], -v[14:15], v[54:55], v[22:23]
	v_mov_b32_e32 v48, s16
	ds_read2_b64 v[48:51], v48 offset1:1
	s_waitcnt lgkmcnt(1)
	v_fma_f64 v[22:23], -v[18:19], v[46:47], v[22:23]
	s_add_i32 s16, s12, 0xffffffa8
	v_fma_f64 v[22:23], -v[20:21], v[44:45], v[22:23]
	v_mov_b32_e32 v44, s16
	ds_read2_b64 v[44:47], v44 offset1:1
	s_add_i32 s16, s12, 0xffffff98
	s_waitcnt lgkmcnt(1)
	v_fma_f64 v[22:23], -v[24:25], v[50:51], v[22:23]
	v_mov_b32_e32 v52, s16
	ds_read2_b64 v[52:55], v52 offset1:1
	v_fma_f64 v[22:23], -v[26:27], v[48:49], v[22:23]
	s_waitcnt lgkmcnt(1)
	v_fma_f64 v[22:23], -v[30:31], v[46:47], v[22:23]
	s_addk_i32 s12, 0xff88
	v_fma_f64 v[22:23], -v[34:35], v[44:45], v[22:23]
	v_mov_b32_e32 v44, s12
	ds_read2_b64 v[44:47], v44 offset1:1
	s_add_i32 s12, s13, 0xfffff430
	s_waitcnt lgkmcnt(1)
	v_fma_f64 v[22:23], -v[36:37], v[54:55], v[22:23]
	v_mov_b32_e32 v48, s12
	ds_read2_b64 v[48:51], v48 offset1:1
	s_add_i32 s9, s9, s31
	v_fma_f64 v[22:23], -v[40:41], v[52:53], v[22:23]
	s_lshl_b32 s9, s9, 3
	s_waitcnt lgkmcnt(1)
	v_fma_f64 v[22:23], -v[38:39], v[46:47], v[22:23]
	s_add_i32 s12, s9, -16
	v_fma_f64 v[22:23], -v[32:33], v[44:45], v[22:23]
	v_mov_b32_e32 v44, s9
	v_mov_b32_e32 v45, s12
	ds_read_b64 v[52:53], v44
	ds_read2_b64 v[44:47], v45 offset1:1
	s_waitcnt lgkmcnt(2)
	v_fma_f64 v[22:23], -v[28:29], v[50:51], v[22:23]
	v_mul_f64 v[22:23], v[48:49], v[22:23]
	s_sub_i32 s12, s9, 32
	ds_write_b64 v43, v[22:23] offset:3200
	s_waitcnt lgkmcnt(2)
	v_fma_f64 v[16:17], -v[4:5], v[52:53], v[16:17]
	v_mov_b32_e32 v43, s12
	s_waitcnt lgkmcnt(1)
	v_fma_f64 v[16:17], -v[6:7], v[46:47], v[16:17]
	ds_read2_b64 v[46:49], v43 offset1:1
	s_sub_i32 s12, s9, 48
	v_mov_b32_e32 v43, s12
	v_fma_f64 v[16:17], -v[8:9], v[44:45], v[16:17]
	ds_read2_b64 v[50:53], v43 offset1:1
	s_sub_i32 s12, s9, 64
	s_waitcnt lgkmcnt(1)
	v_fma_f64 v[16:17], -v[10:11], v[48:49], v[16:17]
	v_mov_b32_e32 v43, s12
	v_fma_f64 v[16:17], -v[12:13], v[46:47], v[16:17]
	ds_read2_b64 v[44:47], v43 offset1:1
	s_add_i32 s12, s9, 0xffffffb0
	v_mov_b32_e32 v43, s12
	s_waitcnt lgkmcnt(1)
	v_fma_f64 v[16:17], -v[14:15], v[52:53], v[16:17]
	ds_read2_b64 v[54:57], v43 offset1:1
	v_fma_f64 v[16:17], -v[18:19], v[50:51], v[16:17]
	s_add_i32 s12, s9, 0xffffffa0
	s_waitcnt lgkmcnt(1)
	v_fma_f64 v[16:17], -v[20:21], v[46:47], v[16:17]
	v_mov_b32_e32 v43, s12
	v_fma_f64 v[16:17], -v[24:25], v[44:45], v[16:17]
	ds_read2_b64 v[44:47], v43 offset1:1
	s_add_i32 s12, s9, 0xffffff90
	s_waitcnt lgkmcnt(1)
	v_fma_f64 v[16:17], -v[26:27], v[56:57], v[16:17]
	v_mov_b32_e32 v43, s12
	v_fma_f64 v[16:17], -v[30:31], v[54:55], v[16:17]
	ds_read2_b64 v[48:51], v43 offset1:1
	s_addk_i32 s9, 0xff80
	s_waitcnt lgkmcnt(1)
	v_fma_f64 v[16:17], -v[34:35], v[46:47], v[16:17]
	v_mov_b32_e32 v43, s9
	v_fma_f64 v[16:17], -v[36:37], v[44:45], v[16:17]
	ds_read2_b64 v[44:47], v43 offset1:1
	s_add_i32 s8, s8, s31
	s_add_i32 s9, s13, 0xfffff388
	s_waitcnt lgkmcnt(1)
	v_fma_f64 v[16:17], -v[40:41], v[50:51], v[16:17]
	s_lshl_b32 s8, s8, 3
	v_mov_b32_e32 v43, s9
	v_fma_f64 v[16:17], -v[38:39], v[48:49], v[16:17]
	s_add_i32 s9, s8, -8
	ds_read2_b64 v[52:55], v43 offset1:1
	s_waitcnt lgkmcnt(1)
	v_fma_f64 v[16:17], -v[32:33], v[46:47], v[16:17]
	v_mov_b32_e32 v43, s9
	v_fma_f64 v[16:17], -v[28:29], v[44:45], v[16:17]
	s_sub_i32 s9, s8, 24
	ds_read2_b64 v[44:47], v43 offset1:1
	v_mov_b32_e32 v43, s9
	ds_read2_b64 v[48:51], v43 offset1:1
	s_sub_i32 s9, s8, 40
	s_waitcnt lgkmcnt(2)
	v_fma_f64 v[16:17], -v[22:23], v[54:55], v[16:17]
	s_waitcnt lgkmcnt(1)
	v_fma_f64 v[2:3], -v[4:5], v[46:47], v[2:3]
	v_fma_f64 v[2:3], -v[6:7], v[44:45], v[2:3]
	s_waitcnt lgkmcnt(0)
	v_fma_f64 v[6:7], -v[8:9], v[50:51], v[2:3]
	v_mov_b32_e32 v2, s9
	ds_read2_b64 v[2:5], v2 offset1:1
	s_sub_i32 s9, s8, 56
	v_fma_f64 v[10:11], -v[10:11], v[48:49], v[6:7]
	v_mov_b32_e32 v6, s9
	ds_read2_b64 v[6:9], v6 offset1:1
	s_waitcnt lgkmcnt(1)
	v_fma_f64 v[4:5], -v[12:13], v[4:5], v[10:11]
	s_add_i32 s9, s8, 0xffffffb8
	v_fma_f64 v[14:15], -v[14:15], v[2:3], v[4:5]
	v_mov_b32_e32 v2, s9
	s_add_i32 s9, s8, 0xffffffa8
	ds_read2_b64 v[2:5], v2 offset1:1
	v_mov_b32_e32 v10, s9
	ds_read2_b64 v[10:13], v10 offset1:1
	s_waitcnt lgkmcnt(2)
	v_fma_f64 v[8:9], -v[18:19], v[8:9], v[14:15]
	v_fma_f64 v[6:7], -v[20:21], v[6:7], v[8:9]
	s_waitcnt lgkmcnt(1)
	v_fma_f64 v[4:5], -v[24:25], v[4:5], v[6:7]
	v_fma_f64 v[2:3], -v[26:27], v[2:3], v[4:5]
	s_add_i32 s9, s8, 0xffffff98
	s_waitcnt lgkmcnt(0)
	v_fma_f64 v[6:7], -v[30:31], v[12:13], v[2:3]
	v_mov_b32_e32 v2, s9
	ds_read2_b64 v[2:5], v2 offset1:1
	s_add_i32 s9, s8, 0xffffff88
	v_fma_f64 v[10:11], -v[34:35], v[10:11], v[6:7]
	v_mov_b32_e32 v6, s9
	ds_read2_b64 v[6:9], v6 offset1:1
	s_waitcnt lgkmcnt(1)
	v_fma_f64 v[4:5], -v[36:37], v[4:5], v[10:11]
	s_addk_i32 s8, 0xff78
	v_fma_f64 v[14:15], -v[40:41], v[2:3], v[4:5]
	v_mov_b32_e32 v2, s8
	s_add_i32 s8, s13, 0xfffff2e0
	ds_read2_b64 v[2:5], v2 offset1:1
	v_mov_b32_e32 v10, s8
	ds_read2_b64 v[10:13], v10 offset1:1
	s_waitcnt lgkmcnt(2)
	v_fma_f64 v[8:9], -v[38:39], v[8:9], v[14:15]
	v_fma_f64 v[6:7], -v[32:33], v[6:7], v[8:9]
	s_waitcnt lgkmcnt(1)
	v_fma_f64 v[4:5], -v[28:29], v[4:5], v[6:7]
	v_mul_f64 v[16:17], v[52:53], v[16:17]
	v_fma_f64 v[2:3], -v[22:23], v[2:3], v[4:5]
	s_waitcnt lgkmcnt(0)
	v_fma_f64 v[2:3], -v[16:17], v[12:13], v[2:3]
	v_mul_f64 v[2:3], v[10:11], v[2:3]
	s_sub_i32 s8, s30, 21
	ds_write_b64 v42, v[16:17] offset:3200
	ds_write_b64 v1, v[2:3] offset:3200
.LBB89_20:
	s_cmp_gt_i32 s8, -1
	s_cbranch_scc0 .LBB89_39
; %bb.21:
	s_cmp_lt_u32 s8, 15
	s_cbranch_scc1 .LBB89_26
; %bb.22:
	s_mul_i32 s9, s8, 20
	s_sub_i32 s12, s9, 40
	v_add_lshl_u32 v1, s12, v0, 3
	s_sub_i32 s12, s9, 60
	v_add_lshl_u32 v38, s9, v0, 3
	;; [unrolled: 2-line block ×3, first 2 shown]
	s_add_i32 s12, s9, 0xffffffb0
	v_add_lshl_u32 v39, s19, v0, 3
	ds_read_b64 v[10:11], v38 offset:3200
	ds_read_b64 v[12:13], v39 offset:3200
	;; [unrolled: 1-line block ×4, first 2 shown]
	v_add_lshl_u32 v1, s12, v0, 3
	s_add_i32 s12, s9, 0xffffff9c
	v_add_lshl_u32 v2, s12, v0, 3
	s_add_i32 s12, s9, 0xffffff88
	;; [unrolled: 2-line block ×4, first 2 shown]
	ds_read_b64 v[16:17], v1 offset:3200
	ds_read_b64 v[20:21], v2 offset:3200
	;; [unrolled: 1-line block ×4, first 2 shown]
	v_add_lshl_u32 v1, s12, v0, 3
	s_add_i32 s12, s9, 0xffffff4c
	v_add_lshl_u32 v2, s12, v0, 3
	s_add_i32 s12, s9, 0xffffff38
	s_add_i32 s17, s9, 0xffffff10
	v_add_lshl_u32 v3, s12, v0, 3
	s_add_i32 s18, s9, 0xffffff24
	v_add_lshl_u32 v36, s17, v0, 3
	s_add_i32 s16, s9, 0xfffffefc
	s_add_i32 s13, s9, 0xfffffee8
	s_addk_i32 s9, 0xfed4
	v_add_lshl_u32 v37, s18, v0, 3
	ds_read_b64 v[30:31], v1 offset:3200
	ds_read_b64 v[32:33], v2 offset:3200
	;; [unrolled: 1-line block ×4, first 2 shown]
	v_add_lshl_u32 v35, s16, v0, 3
	v_add_lshl_u32 v34, s13, v0, 3
	;; [unrolled: 1-line block ×3, first 2 shown]
	ds_read_b64 v[18:19], v36 offset:3200
	ds_read_b64 v[6:7], v35 offset:3200
	;; [unrolled: 1-line block ×4, first 2 shown]
	s_cmp_le_i32 s31, s8
	s_cbranch_scc1 .LBB89_25
; %bb.23:
	s_mul_i32 s12, s8, 0xa0
	s_lshl_b32 s20, s30, 3
	s_add_i32 s12, s12, s20
	s_mul_i32 s20, s30, 0xa0
	v_lshl_add_u32 v40, v0, 3, s20
	s_addk_i32 s12, 0xf698
	v_add_u32_e32 v40, 0xbe0, v40
	s_mov_b32 s20, s31
.LBB89_24:                              ; =>This Inner Loop Header: Depth=1
	v_mov_b32_e32 v41, s12
	v_add_u32_e32 v66, 0x800, v41
	v_add_u32_e32 v70, 0x400, v41
	ds_read_b64 v[74:75], v40
	ds_read2_b64 v[42:45], v41 offset0:200 offset1:220
	ds_read2_b64 v[46:49], v41 offset0:160 offset1:180
	;; [unrolled: 1-line block ×5, first 2 shown]
	ds_read2_b64 v[62:65], v41 offset1:20
	ds_read2_b64 v[66:69], v66 offset0:24 offset1:44
	ds_read2_b64 v[70:73], v70 offset0:112 offset1:132
	s_add_i32 s20, s20, -1
	s_add_i32 s12, s12, -8
	v_add_u32_e32 v40, 0xffffff60, v40
	s_cmp_gt_i32 s20, s8
	s_waitcnt lgkmcnt(7)
	v_fma_f64 v[16:17], -v[74:75], v[44:45], v[16:17]
	v_fma_f64 v[20:21], -v[74:75], v[42:43], v[20:21]
	s_waitcnt lgkmcnt(6)
	v_fma_f64 v[22:23], -v[74:75], v[48:49], v[22:23]
	v_fma_f64 v[26:27], -v[74:75], v[46:47], v[26:27]
	;; [unrolled: 3-line block ×8, first 2 shown]
	s_cbranch_scc1 .LBB89_24
.LBB89_25:
	s_mul_i32 s12, s8, 0xa8
	v_add_u32_e32 v40, 0xc80, v38
	v_add_u32_e32 v38, 0xc80, v39
	v_mov_b32_e32 v39, s12
	ds_read_b64 v[46:47], v39
	s_add_i32 s21, s12, 0xffffff58
	s_sub_i32 s20, s19, 20
	v_mov_b32_e32 v39, s21
	ds_read2_b64 v[42:45], v39 offset1:1
	s_add_i32 s21, s20, s8
	s_lshl_b32 s21, s21, 3
	s_waitcnt lgkmcnt(1)
	v_mul_f64 v[10:11], v[46:47], v[10:11]
	v_mov_b32_e32 v39, s21
	s_add_i32 s21, s12, 0xfffffeb0
	ds_write_b64 v40, v[10:11]
	v_mov_b32_e32 v46, s21
	s_sub_i32 s21, s19, 40
	ds_read_b64 v[40:41], v39
	ds_read2_b64 v[46:49], v46 offset1:1
	s_add_i32 s25, s21, s8
	s_waitcnt lgkmcnt(3)
	v_fma_f64 v[12:13], -v[10:11], v[44:45], v[12:13]
	s_lshl_b32 s25, s25, 3
	v_mul_f64 v[12:13], v[42:43], v[12:13]
	s_add_i32 s25, s25, -8
	ds_write_b64 v38, v[12:13]
	v_mov_b32_e32 v38, s25
	s_waitcnt lgkmcnt(2)
	v_fma_f64 v[8:9], -v[10:11], v[40:41], v[8:9]
	ds_read2_b64 v[38:41], v38 offset1:1
	s_add_i32 s25, s12, 0xfffffe08
	s_waitcnt lgkmcnt(2)
	v_fma_f64 v[8:9], -v[12:13], v[48:49], v[8:9]
	v_mov_b32_e32 v42, s25
	ds_read2_b64 v[42:45], v42 offset1:1
	v_mul_f64 v[8:9], v[46:47], v[8:9]
	v_add_lshl_u32 v46, s20, v0, 3
	s_sub_i32 s20, s19, 60
	s_add_i32 s25, s20, s8
	s_waitcnt lgkmcnt(1)
	v_fma_f64 v[14:15], -v[10:11], v[40:41], v[14:15]
	s_lshl_b32 s25, s25, 3
	v_fma_f64 v[14:15], -v[12:13], v[38:39], v[14:15]
	v_mov_b32_e32 v38, s25
	s_add_i32 s25, s25, -16
	ds_write_b64 v46, v[8:9] offset:3200
	v_mov_b32_e32 v39, s25
	s_waitcnt lgkmcnt(1)
	v_fma_f64 v[14:15], -v[8:9], v[44:45], v[14:15]
	ds_read_b64 v[44:45], v38
	ds_read2_b64 v[38:41], v39 offset1:1
	v_mul_f64 v[14:15], v[42:43], v[14:15]
	v_add_lshl_u32 v42, s21, v0, 3
	s_add_i32 s21, s12, 0xfffffd60
	s_waitcnt lgkmcnt(1)
	v_fma_f64 v[16:17], -v[10:11], v[44:45], v[16:17]
	s_waitcnt lgkmcnt(0)
	v_fma_f64 v[16:17], -v[12:13], v[40:41], v[16:17]
	v_fma_f64 v[16:17], -v[8:9], v[38:39], v[16:17]
	v_mov_b32_e32 v38, s21
	s_add_i32 s21, s19, 0xffffffb0
	ds_read2_b64 v[38:41], v38 offset1:1
	s_add_i32 s25, s21, s8
	s_lshl_b32 s25, s25, 3
	s_add_i32 s26, s25, -8
	ds_write_b64 v42, v[14:15] offset:3200
	v_mov_b32_e32 v42, s26
	ds_read2_b64 v[42:45], v42 offset1:1
	s_waitcnt lgkmcnt(2)
	v_fma_f64 v[16:17], -v[14:15], v[40:41], v[16:17]
	v_mul_f64 v[16:17], v[38:39], v[16:17]
	v_add_lshl_u32 v38, s20, v0, 3
	s_sub_i32 s20, s25, 24
	ds_write_b64 v38, v[16:17] offset:3200
	v_mov_b32_e32 v38, s20
	s_add_i32 s20, s12, 0xfffffcb8
	ds_read2_b64 v[38:41], v38 offset1:1
	v_mov_b32_e32 v46, s20
	ds_read2_b64 v[46:49], v46 offset1:1
	s_waitcnt lgkmcnt(3)
	v_fma_f64 v[20:21], -v[10:11], v[44:45], v[20:21]
	v_fma_f64 v[20:21], -v[12:13], v[42:43], v[20:21]
	s_waitcnt lgkmcnt(1)
	v_fma_f64 v[20:21], -v[8:9], v[40:41], v[20:21]
	s_add_i32 s20, s19, 0xffffff9c
	v_fma_f64 v[20:21], -v[14:15], v[38:39], v[20:21]
	v_add_lshl_u32 v38, s21, v0, 3
	s_add_i32 s21, s20, s8
	s_waitcnt lgkmcnt(0)
	v_fma_f64 v[20:21], -v[16:17], v[48:49], v[20:21]
	s_lshl_b32 s21, s21, 3
	v_mul_f64 v[20:21], v[46:47], v[20:21]
	s_add_i32 s25, s21, -8
	ds_write_b64 v38, v[20:21] offset:3200
	v_mov_b32_e32 v38, s25
	s_sub_i32 s25, s21, 24
	v_mov_b32_e32 v42, s25
	ds_read2_b64 v[38:41], v38 offset1:1
	ds_read2_b64 v[42:45], v42 offset1:1
	s_sub_i32 s21, s21, 40
	v_mov_b32_e32 v46, s21
	s_add_i32 s21, s12, 0xfffffc10
	s_waitcnt lgkmcnt(1)
	v_fma_f64 v[22:23], -v[10:11], v[40:41], v[22:23]
	v_fma_f64 v[22:23], -v[12:13], v[38:39], v[22:23]
	v_mov_b32_e32 v38, s21
	s_add_i32 s21, s19, 0xffffff88
	s_add_i32 s25, s21, s8
	s_lshl_b32 s25, s25, 3
	ds_read2_b64 v[46:49], v46 offset1:1
	s_waitcnt lgkmcnt(1)
	v_fma_f64 v[22:23], -v[8:9], v[44:45], v[22:23]
	s_add_i32 s26, s25, -16
	v_fma_f64 v[22:23], -v[14:15], v[42:43], v[22:23]
	ds_read_b64 v[42:43], v38
	v_mov_b32_e32 v38, s25
	v_mov_b32_e32 v39, s26
	ds_read_b64 v[44:45], v38
	ds_read2_b64 v[38:41], v39 offset1:1
	s_waitcnt lgkmcnt(3)
	v_fma_f64 v[22:23], -v[16:17], v[48:49], v[22:23]
	v_fma_f64 v[22:23], -v[20:21], v[46:47], v[22:23]
	s_waitcnt lgkmcnt(2)
	v_mul_f64 v[22:23], v[42:43], v[22:23]
	s_waitcnt lgkmcnt(1)
	v_fma_f64 v[26:27], -v[10:11], v[44:45], v[26:27]
	v_add_lshl_u32 v42, s20, v0, 3
	s_waitcnt lgkmcnt(0)
	v_fma_f64 v[26:27], -v[12:13], v[40:41], v[26:27]
	s_sub_i32 s20, s25, 32
	v_fma_f64 v[26:27], -v[8:9], v[38:39], v[26:27]
	v_mov_b32_e32 v38, s20
	s_sub_i32 s20, s25, 48
	ds_write_b64 v42, v[22:23] offset:3200
	v_mov_b32_e32 v42, s20
	ds_read2_b64 v[38:41], v38 offset1:1
	ds_read2_b64 v[42:45], v42 offset1:1
	s_add_i32 s20, s12, 0xfffffb68
	v_mov_b32_e32 v46, s20
	s_add_i32 s20, s19, 0xffffff74
	s_waitcnt lgkmcnt(1)
	v_fma_f64 v[26:27], -v[14:15], v[40:41], v[26:27]
	v_fma_f64 v[26:27], -v[16:17], v[38:39], v[26:27]
	s_waitcnt lgkmcnt(0)
	v_fma_f64 v[26:27], -v[20:21], v[44:45], v[26:27]
	v_fma_f64 v[26:27], -v[22:23], v[42:43], v[26:27]
	v_add_lshl_u32 v42, s21, v0, 3
	s_add_i32 s21, s20, s8
	s_lshl_b32 s21, s21, 3
	ds_read_b64 v[46:47], v46
	s_add_i32 s25, s21, -8
	v_mov_b32_e32 v38, s25
	ds_read2_b64 v[38:41], v38 offset1:1
	s_sub_i32 s25, s21, 24
	s_waitcnt lgkmcnt(1)
	v_mul_f64 v[26:27], v[46:47], v[26:27]
	ds_write_b64 v42, v[26:27] offset:3200
	v_mov_b32_e32 v42, s25
	ds_read2_b64 v[42:45], v42 offset1:1
	s_waitcnt lgkmcnt(2)
	v_fma_f64 v[30:31], -v[10:11], v[40:41], v[30:31]
	s_sub_i32 s25, s21, 40
	v_fma_f64 v[30:31], -v[12:13], v[38:39], v[30:31]
	v_mov_b32_e32 v38, s25
	ds_read2_b64 v[38:41], v38 offset1:1
	s_sub_i32 s21, s21, 56
	s_waitcnt lgkmcnt(1)
	v_fma_f64 v[30:31], -v[8:9], v[44:45], v[30:31]
	v_mov_b32_e32 v46, s21
	ds_read2_b64 v[46:49], v46 offset1:1
	v_fma_f64 v[30:31], -v[14:15], v[42:43], v[30:31]
	s_waitcnt lgkmcnt(1)
	v_fma_f64 v[30:31], -v[16:17], v[40:41], v[30:31]
	s_add_i32 s21, s12, 0xfffffac0
	v_fma_f64 v[30:31], -v[20:21], v[38:39], v[30:31]
	v_mov_b32_e32 v38, s21
	s_add_i32 s21, s19, 0xffffff60
	s_add_i32 s25, s21, s8
	s_lshl_b32 s25, s25, 3
	s_add_i32 s26, s25, -16
	ds_read_b64 v[42:43], v38
	v_mov_b32_e32 v38, s25
	v_mov_b32_e32 v39, s26
	ds_read_b64 v[44:45], v38
	ds_read2_b64 v[38:41], v39 offset1:1
	s_waitcnt lgkmcnt(3)
	v_fma_f64 v[30:31], -v[22:23], v[48:49], v[30:31]
	v_fma_f64 v[30:31], -v[26:27], v[46:47], v[30:31]
	s_waitcnt lgkmcnt(2)
	v_mul_f64 v[30:31], v[42:43], v[30:31]
	s_waitcnt lgkmcnt(1)
	v_fma_f64 v[32:33], -v[10:11], v[44:45], v[32:33]
	v_add_lshl_u32 v42, s20, v0, 3
	s_waitcnt lgkmcnt(0)
	v_fma_f64 v[32:33], -v[12:13], v[40:41], v[32:33]
	s_sub_i32 s20, s25, 32
	v_fma_f64 v[32:33], -v[8:9], v[38:39], v[32:33]
	v_mov_b32_e32 v38, s20
	s_sub_i32 s20, s25, 48
	ds_write_b64 v42, v[30:31] offset:3200
	v_mov_b32_e32 v42, s20
	ds_read2_b64 v[38:41], v38 offset1:1
	ds_read2_b64 v[42:45], v42 offset1:1
	s_sub_i32 s20, s25, 64
	v_mov_b32_e32 v46, s20
	s_add_i32 s20, s12, 0xfffffa18
	s_waitcnt lgkmcnt(1)
	v_fma_f64 v[32:33], -v[14:15], v[40:41], v[32:33]
	s_addk_i32 s19, 0xff4c
	v_fma_f64 v[32:33], -v[16:17], v[38:39], v[32:33]
	v_mov_b32_e32 v38, s20
	s_add_i32 s20, s19, s8
	ds_read2_b64 v[46:49], v46 offset1:1
	s_lshl_b32 s20, s20, 3
	s_waitcnt lgkmcnt(1)
	v_fma_f64 v[32:33], -v[20:21], v[44:45], v[32:33]
	s_add_i32 s25, s20, -16
	v_fma_f64 v[32:33], -v[22:23], v[42:43], v[32:33]
	ds_read_b64 v[42:43], v38
	v_mov_b32_e32 v38, s20
	v_mov_b32_e32 v39, s25
	ds_read_b64 v[44:45], v38
	ds_read2_b64 v[38:41], v39 offset1:1
	s_waitcnt lgkmcnt(3)
	v_fma_f64 v[32:33], -v[26:27], v[48:49], v[32:33]
	v_fma_f64 v[32:33], -v[30:31], v[46:47], v[32:33]
	s_waitcnt lgkmcnt(2)
	v_mul_f64 v[32:33], v[42:43], v[32:33]
	v_add_lshl_u32 v42, s21, v0, 3
	s_waitcnt lgkmcnt(1)
	v_fma_f64 v[28:29], -v[10:11], v[44:45], v[28:29]
	s_sub_i32 s21, s20, 32
	s_waitcnt lgkmcnt(0)
	v_fma_f64 v[28:29], -v[12:13], v[40:41], v[28:29]
	v_mov_b32_e32 v40, s21
	ds_write_b64 v42, v[32:33] offset:3200
	ds_read2_b64 v[40:43], v40 offset1:1
	s_sub_i32 s21, s20, 48
	v_fma_f64 v[28:29], -v[8:9], v[38:39], v[28:29]
	v_mov_b32_e32 v38, s21
	ds_read2_b64 v[44:47], v38 offset1:1
	s_sub_i32 s20, s20, 64
	s_waitcnt lgkmcnt(1)
	v_fma_f64 v[28:29], -v[14:15], v[42:43], v[28:29]
	v_mov_b32_e32 v38, s20
	v_fma_f64 v[28:29], -v[16:17], v[40:41], v[28:29]
	ds_read2_b64 v[38:41], v38 offset1:1
	s_add_i32 s20, s12, 0xfffff970
	v_mov_b32_e32 v42, s20
	ds_read2_b64 v[48:51], v42 offset1:1
	s_waitcnt lgkmcnt(2)
	v_fma_f64 v[28:29], -v[20:21], v[46:47], v[28:29]
	s_add_i32 s18, s18, s8
	v_fma_f64 v[28:29], -v[22:23], v[44:45], v[28:29]
	s_lshl_b32 s18, s18, 3
	s_waitcnt lgkmcnt(1)
	v_fma_f64 v[28:29], -v[26:27], v[40:41], v[28:29]
	v_add_lshl_u32 v42, s19, v0, 3
	s_add_i32 s19, s18, -8
	v_fma_f64 v[28:29], -v[30:31], v[38:39], v[28:29]
	v_mov_b32_e32 v38, s19
	ds_read2_b64 v[38:41], v38 offset1:1
	s_waitcnt lgkmcnt(1)
	v_fma_f64 v[28:29], -v[32:33], v[50:51], v[28:29]
	v_mul_f64 v[28:29], v[48:49], v[28:29]
	s_sub_i32 s19, s18, 24
	ds_write_b64 v42, v[28:29] offset:3200
	v_mov_b32_e32 v42, s19
	ds_read2_b64 v[42:45], v42 offset1:1
	s_waitcnt lgkmcnt(2)
	v_fma_f64 v[24:25], -v[10:11], v[40:41], v[24:25]
	s_sub_i32 s19, s18, 40
	v_fma_f64 v[24:25], -v[12:13], v[38:39], v[24:25]
	v_mov_b32_e32 v38, s19
	ds_read2_b64 v[38:41], v38 offset1:1
	s_sub_i32 s19, s18, 56
	s_waitcnt lgkmcnt(1)
	v_fma_f64 v[24:25], -v[8:9], v[44:45], v[24:25]
	v_mov_b32_e32 v46, s19
	ds_read2_b64 v[46:49], v46 offset1:1
	v_fma_f64 v[24:25], -v[14:15], v[42:43], v[24:25]
	s_waitcnt lgkmcnt(1)
	v_fma_f64 v[24:25], -v[16:17], v[40:41], v[24:25]
	s_addk_i32 s18, 0xffb8
	v_fma_f64 v[24:25], -v[20:21], v[38:39], v[24:25]
	v_mov_b32_e32 v38, s18
	ds_read2_b64 v[38:41], v38 offset1:1
	s_add_i32 s18, s12, 0xfffff8c8
	s_waitcnt lgkmcnt(1)
	v_fma_f64 v[24:25], -v[22:23], v[48:49], v[24:25]
	v_mov_b32_e32 v42, s18
	ds_read2_b64 v[42:45], v42 offset1:1
	s_add_i32 s17, s17, s8
	v_fma_f64 v[24:25], -v[26:27], v[46:47], v[24:25]
	s_lshl_b32 s17, s17, 3
	s_waitcnt lgkmcnt(1)
	v_fma_f64 v[24:25], -v[30:31], v[40:41], v[24:25]
	s_add_i32 s18, s17, -16
	v_fma_f64 v[24:25], -v[32:33], v[38:39], v[24:25]
	v_mov_b32_e32 v38, s17
	v_mov_b32_e32 v39, s18
	ds_read_b64 v[46:47], v38
	ds_read2_b64 v[38:41], v39 offset1:1
	s_waitcnt lgkmcnt(2)
	v_fma_f64 v[24:25], -v[28:29], v[44:45], v[24:25]
	v_mul_f64 v[24:25], v[42:43], v[24:25]
	s_sub_i32 s18, s17, 32
	ds_write_b64 v37, v[24:25] offset:3200
	s_waitcnt lgkmcnt(2)
	v_fma_f64 v[18:19], -v[10:11], v[46:47], v[18:19]
	v_mov_b32_e32 v37, s18
	s_waitcnt lgkmcnt(1)
	v_fma_f64 v[18:19], -v[12:13], v[40:41], v[18:19]
	ds_read2_b64 v[40:43], v37 offset1:1
	s_sub_i32 s18, s17, 48
	v_mov_b32_e32 v37, s18
	v_fma_f64 v[18:19], -v[8:9], v[38:39], v[18:19]
	ds_read2_b64 v[44:47], v37 offset1:1
	s_sub_i32 s18, s17, 64
	s_waitcnt lgkmcnt(1)
	v_fma_f64 v[18:19], -v[14:15], v[42:43], v[18:19]
	v_mov_b32_e32 v37, s18
	v_fma_f64 v[18:19], -v[16:17], v[40:41], v[18:19]
	ds_read2_b64 v[38:41], v37 offset1:1
	s_addk_i32 s17, 0xffb0
	v_mov_b32_e32 v37, s17
	s_waitcnt lgkmcnt(1)
	v_fma_f64 v[18:19], -v[20:21], v[46:47], v[18:19]
	ds_read2_b64 v[48:51], v37 offset1:1
	v_fma_f64 v[18:19], -v[22:23], v[44:45], v[18:19]
	s_add_i32 s17, s12, 0xfffff820
	s_waitcnt lgkmcnt(1)
	v_fma_f64 v[18:19], -v[26:27], v[40:41], v[18:19]
	v_mov_b32_e32 v37, s17
	v_fma_f64 v[18:19], -v[30:31], v[38:39], v[18:19]
	ds_read2_b64 v[38:41], v37 offset1:1
	s_add_i32 s16, s16, s8
	s_waitcnt lgkmcnt(1)
	v_fma_f64 v[18:19], -v[32:33], v[50:51], v[18:19]
	s_lshl_b32 s16, s16, 3
	v_fma_f64 v[18:19], -v[28:29], v[48:49], v[18:19]
	s_add_i32 s17, s16, -8
	v_mov_b32_e32 v37, s17
	s_waitcnt lgkmcnt(0)
	v_fma_f64 v[18:19], -v[24:25], v[40:41], v[18:19]
	ds_read2_b64 v[42:45], v37 offset1:1
	v_mul_f64 v[18:19], v[38:39], v[18:19]
	s_sub_i32 s17, s16, 24
	ds_write_b64 v36, v[18:19] offset:3200
	v_mov_b32_e32 v36, s17
	ds_read2_b64 v[36:39], v36 offset1:1
	s_sub_i32 s17, s16, 40
	s_waitcnt lgkmcnt(2)
	v_fma_f64 v[6:7], -v[10:11], v[44:45], v[6:7]
	v_mov_b32_e32 v40, s17
	ds_read2_b64 v[46:49], v40 offset1:1
	v_fma_f64 v[6:7], -v[12:13], v[42:43], v[6:7]
	s_waitcnt lgkmcnt(1)
	v_fma_f64 v[6:7], -v[8:9], v[38:39], v[6:7]
	s_sub_i32 s17, s16, 56
	v_fma_f64 v[6:7], -v[14:15], v[36:37], v[6:7]
	v_mov_b32_e32 v36, s17
	ds_read2_b64 v[36:39], v36 offset1:1
	s_waitcnt lgkmcnt(1)
	v_fma_f64 v[6:7], -v[16:17], v[48:49], v[6:7]
	s_add_i32 s17, s16, 0xffffffb8
	v_fma_f64 v[6:7], -v[20:21], v[46:47], v[6:7]
	v_mov_b32_e32 v40, s17
	ds_read2_b64 v[40:43], v40 offset1:1
	s_waitcnt lgkmcnt(1)
	v_fma_f64 v[6:7], -v[22:23], v[38:39], v[6:7]
	s_addk_i32 s16, 0xffa8
	v_fma_f64 v[6:7], -v[26:27], v[36:37], v[6:7]
	v_mov_b32_e32 v36, s16
	s_add_i32 s16, s12, 0xfffff778
	ds_read2_b64 v[36:39], v36 offset1:1
	v_mov_b32_e32 v44, s16
	ds_read2_b64 v[44:47], v44 offset1:1
	s_waitcnt lgkmcnt(2)
	v_fma_f64 v[6:7], -v[30:31], v[42:43], v[6:7]
	v_fma_f64 v[6:7], -v[32:33], v[40:41], v[6:7]
	s_waitcnt lgkmcnt(1)
	v_fma_f64 v[6:7], -v[28:29], v[38:39], v[6:7]
	v_fma_f64 v[6:7], -v[24:25], v[36:37], v[6:7]
	s_add_i32 s13, s13, s8
	s_waitcnt lgkmcnt(0)
	v_fma_f64 v[6:7], -v[18:19], v[46:47], v[6:7]
	s_lshl_b32 s13, s13, 3
	v_mul_f64 v[44:45], v[44:45], v[6:7]
	v_mov_b32_e32 v6, s13
	ds_read_b64 v[6:7], v6
	s_add_i32 s16, s13, -16
	ds_write_b64 v35, v[44:45] offset:3200
	v_mov_b32_e32 v35, s16
	ds_read2_b64 v[36:39], v35 offset1:1
	s_sub_i32 s16, s13, 32
	s_waitcnt lgkmcnt(2)
	v_fma_f64 v[46:47], -v[10:11], v[6:7], v[4:5]
	v_mov_b32_e32 v4, s16
	ds_read2_b64 v[4:7], v4 offset1:1
	s_sub_i32 s16, s13, 48
	v_mov_b32_e32 v35, s16
	ds_read2_b64 v[40:43], v35 offset1:1
	s_waitcnt lgkmcnt(2)
	v_fma_f64 v[38:39], -v[12:13], v[38:39], v[46:47]
	v_fma_f64 v[36:37], -v[8:9], v[36:37], v[38:39]
	s_waitcnt lgkmcnt(1)
	v_fma_f64 v[6:7], -v[14:15], v[6:7], v[36:37]
	v_fma_f64 v[4:5], -v[16:17], v[4:5], v[6:7]
	s_sub_i32 s16, s13, 64
	s_waitcnt lgkmcnt(0)
	v_fma_f64 v[36:37], -v[20:21], v[42:43], v[4:5]
	v_mov_b32_e32 v4, s16
	ds_read2_b64 v[4:7], v4 offset1:1
	s_add_i32 s16, s13, 0xffffffb0
	v_fma_f64 v[40:41], -v[22:23], v[40:41], v[36:37]
	v_mov_b32_e32 v35, s16
	ds_read2_b64 v[36:39], v35 offset1:1
	s_waitcnt lgkmcnt(1)
	v_fma_f64 v[6:7], -v[26:27], v[6:7], v[40:41]
	s_addk_i32 s13, 0xffa0
	v_fma_f64 v[46:47], -v[30:31], v[4:5], v[6:7]
	v_mov_b32_e32 v4, s13
	s_add_i32 s13, s12, 0xfffff6d0
	ds_read2_b64 v[4:7], v4 offset1:1
	v_mov_b32_e32 v35, s13
	ds_read2_b64 v[40:43], v35 offset1:1
	s_waitcnt lgkmcnt(2)
	v_fma_f64 v[38:39], -v[32:33], v[38:39], v[46:47]
	v_fma_f64 v[36:37], -v[28:29], v[36:37], v[38:39]
	s_waitcnt lgkmcnt(1)
	v_fma_f64 v[6:7], -v[24:25], v[6:7], v[36:37]
	s_add_i32 s9, s9, s8
	v_fma_f64 v[4:5], -v[18:19], v[4:5], v[6:7]
	s_lshl_b32 s9, s9, 3
	s_waitcnt lgkmcnt(0)
	v_fma_f64 v[4:5], -v[44:45], v[42:43], v[4:5]
	s_add_i32 s13, s9, -8
	v_mul_f64 v[38:39], v[40:41], v[4:5]
	v_mov_b32_e32 v4, s13
	ds_read2_b64 v[4:7], v4 offset1:1
	s_sub_i32 s13, s9, 24
	ds_write_b64 v34, v[38:39] offset:3200
	v_mov_b32_e32 v34, s13
	ds_read2_b64 v[34:37], v34 offset1:1
	s_waitcnt lgkmcnt(2)
	v_fma_f64 v[2:3], -v[10:11], v[6:7], v[2:3]
	s_sub_i32 s13, s9, 40
	v_fma_f64 v[6:7], -v[12:13], v[4:5], v[2:3]
	v_mov_b32_e32 v2, s13
	s_sub_i32 s13, s9, 56
	ds_read2_b64 v[2:5], v2 offset1:1
	v_mov_b32_e32 v10, s13
	ds_read2_b64 v[10:13], v10 offset1:1
	s_waitcnt lgkmcnt(2)
	v_fma_f64 v[6:7], -v[8:9], v[36:37], v[6:7]
	v_fma_f64 v[6:7], -v[14:15], v[34:35], v[6:7]
	s_waitcnt lgkmcnt(1)
	v_fma_f64 v[4:5], -v[16:17], v[4:5], v[6:7]
	v_fma_f64 v[2:3], -v[20:21], v[2:3], v[4:5]
	s_add_i32 s13, s9, 0xffffffb8
	s_waitcnt lgkmcnt(0)
	v_fma_f64 v[6:7], -v[22:23], v[12:13], v[2:3]
	v_mov_b32_e32 v2, s13
	ds_read2_b64 v[2:5], v2 offset1:1
	s_add_i32 s13, s9, 0xffffffa8
	v_fma_f64 v[10:11], -v[26:27], v[10:11], v[6:7]
	v_mov_b32_e32 v6, s13
	ds_read2_b64 v[6:9], v6 offset1:1
	s_waitcnt lgkmcnt(1)
	v_fma_f64 v[4:5], -v[30:31], v[4:5], v[10:11]
	s_addk_i32 s9, 0xff98
	v_fma_f64 v[14:15], -v[32:33], v[2:3], v[4:5]
	v_mov_b32_e32 v2, s9
	s_add_i32 s9, s12, 0xfffff628
	ds_read2_b64 v[2:5], v2 offset1:1
	v_mov_b32_e32 v10, s9
	ds_read2_b64 v[10:13], v10 offset1:1
	s_waitcnt lgkmcnt(2)
	v_fma_f64 v[8:9], -v[28:29], v[8:9], v[14:15]
	v_fma_f64 v[6:7], -v[24:25], v[6:7], v[8:9]
	s_waitcnt lgkmcnt(1)
	v_fma_f64 v[4:5], -v[18:19], v[4:5], v[6:7]
	v_fma_f64 v[2:3], -v[44:45], v[2:3], v[4:5]
	s_waitcnt lgkmcnt(0)
	v_fma_f64 v[2:3], -v[38:39], v[12:13], v[2:3]
	v_mul_f64 v[2:3], v[10:11], v[2:3]
	s_add_i32 s8, s8, -16
	ds_write_b64 v1, v[2:3] offset:3200
.LBB89_26:
	s_cmp_lt_i32 s8, 0
	s_cbranch_scc1 .LBB89_39
; %bb.27:
	s_bitcmp1_b32 s8, 0
	s_cselect_b64 s[12:13], -1, 0
	s_and_b64 vcc, exec, s[12:13]
	s_mov_b32 s9, s8
	s_cbranch_vccnz .LBB89_32
; %bb.28:
	s_mul_i32 s9, s8, 20
	v_add_lshl_u32 v1, s9, v0, 3
	ds_read_b64 v[2:3], v1 offset:3200
	s_cmp_le_i32 s31, s8
	s_cbranch_scc1 .LBB89_31
; %bb.29:
	s_mul_i32 s9, s8, 0xa0
	s_lshl_b32 s12, s30, 3
	s_add_i32 s9, s9, s12
	s_mul_i32 s12, s30, 0xa0
	v_lshl_add_u32 v4, v0, 3, s12
	s_add_i32 s9, s9, -8
	v_add_u32_e32 v4, 0xbe0, v4
	s_mov_b32 s12, s31
.LBB89_30:                              ; =>This Inner Loop Header: Depth=1
	v_mov_b32_e32 v5, s9
	ds_read_b64 v[6:7], v4
	ds_read_b64 v[8:9], v5
	s_add_i32 s12, s12, -1
	s_add_i32 s9, s9, -8
	v_add_u32_e32 v4, 0xffffff60, v4
	s_cmp_gt_i32 s12, s8
	s_waitcnt lgkmcnt(0)
	v_fma_f64 v[2:3], -v[6:7], v[8:9], v[2:3]
	s_cbranch_scc1 .LBB89_30
.LBB89_31:
	s_mul_i32 s9, s8, 0xa8
	v_mov_b32_e32 v4, s9
	ds_read_b64 v[4:5], v4
	v_add_u32_e32 v1, 0xc80, v1
	s_add_i32 s9, s8, -1
	s_waitcnt lgkmcnt(0)
	v_mul_f64 v[2:3], v[4:5], v[2:3]
	ds_write_b64 v1, v[2:3]
.LBB89_32:
	s_cmp_eq_u32 s8, 0
	s_cbranch_scc1 .LBB89_39
; %bb.33:
	s_mul_i32 s8, s9, 0xa0
	s_lshl_b32 s12, s30, 3
	s_mul_i32 s13, s30, 0xa0
	s_add_i32 s12, s8, s12
	v_lshl_add_u32 v1, v0, 3, s13
	s_add_i32 s8, s12, -8
	v_add_u32_e32 v1, 0xbe0, v1
	s_addk_i32 s12, 0xff58
	s_branch .LBB89_35
.LBB89_34:                              ;   in Loop: Header=BB89_35 Depth=1
	s_addk_i32 s13, 0xff58
	v_mov_b32_e32 v3, s13
	v_add_u32_e32 v2, 0xc80, v6
	ds_read_b64 v[6:7], v3
	s_add_i32 s13, s9, -2
	s_addk_i32 s8, 0xfec0
	s_addk_i32 s12, 0xfec0
	s_cmp_lt_i32 s9, 2
	s_waitcnt lgkmcnt(0)
	v_mul_f64 v[4:5], v[6:7], v[4:5]
	s_mov_b32 s9, s13
	ds_write_b64 v2, v[4:5]
	s_cbranch_scc1 .LBB89_39
.LBB89_35:                              ; =>This Loop Header: Depth=1
                                        ;     Child Loop BB89_36 Depth 2
                                        ;     Child Loop BB89_38 Depth 2
	s_mul_i32 s16, s9, 20
	v_add_lshl_u32 v4, s16, v0, 3
	ds_read_b64 v[2:3], v4 offset:3200
	s_cmp_le_i32 s31, s9
	v_mov_b32_e32 v5, v1
	s_mov_b32 s13, s8
	s_mov_b32 s17, s31
	s_cbranch_scc1 .LBB89_37
.LBB89_36:                              ;   Parent Loop BB89_35 Depth=1
                                        ; =>  This Inner Loop Header: Depth=2
	v_mov_b32_e32 v8, s13
	ds_read_b64 v[6:7], v5
	ds_read_b64 v[8:9], v8
	s_add_i32 s17, s17, -1
	s_add_i32 s13, s13, -8
	v_add_u32_e32 v5, 0xffffff60, v5
	s_cmp_gt_i32 s17, s9
	s_waitcnt lgkmcnt(0)
	v_fma_f64 v[2:3], -v[6:7], v[8:9], v[2:3]
	s_cbranch_scc1 .LBB89_36
.LBB89_37:                              ;   in Loop: Header=BB89_35 Depth=1
	s_mul_i32 s13, s9, 0xa8
	v_add_u32_e32 v7, 0xc80, v4
	v_mov_b32_e32 v4, s13
	ds_read_b64 v[8:9], v4
	s_sub_i32 s16, s16, 20
	v_add_lshl_u32 v6, s16, v0, 3
	ds_read_b64 v[4:5], v6 offset:3200
	s_cmp_lt_i32 s31, s9
	s_waitcnt lgkmcnt(1)
	v_mul_f64 v[2:3], v[8:9], v[2:3]
	ds_write_b64 v7, v[2:3]
	v_mov_b32_e32 v2, v1
	s_mov_b32 s16, s12
	s_mov_b32 s17, s30
	s_cbranch_scc1 .LBB89_34
.LBB89_38:                              ;   Parent Loop BB89_35 Depth=1
                                        ; =>  This Inner Loop Header: Depth=2
	v_mov_b32_e32 v3, s16
	ds_read_b64 v[8:9], v2
	ds_read_b64 v[10:11], v3
	s_add_i32 s17, s17, -1
	s_add_i32 s16, s16, -8
	v_add_u32_e32 v2, 0xffffff60, v2
	s_cmp_gt_i32 s17, s9
	s_waitcnt lgkmcnt(0)
	v_fma_f64 v[4:5], -v[8:9], v[10:11], v[4:5]
	s_cbranch_scc1 .LBB89_38
	s_branch .LBB89_34
.LBB89_39:
	s_mov_b64 s[8:9], 0
.LBB89_40:
	s_and_b64 vcc, exec, s[8:9]
	s_cbranch_vccz .LBB89_65
; %bb.41:
	s_cmp_gt_i32 s10, 19
	s_cselect_b64 s[8:9], -1, 0
	s_mov_b32 s12, 0
	s_and_b64 vcc, exec, s[8:9]
	s_cbranch_vccz .LBB89_43
; %bb.42:
	v_lshlrev_b32_e32 v1, 3, v0
	v_add_u32_e32 v60, 0x800, v1
	v_add_u32_e32 v59, 0x1000, v1
	v_mov_b32_e32 v58, 0
	ds_read2_b64 v[42:45], v60 offset0:144 offset1:164
	ds_read2_b64 v[34:37], v60 offset0:184 offset1:204
	;; [unrolled: 1-line block ×9, first 2 shown]
	ds_read_b128 v[46:49], v58
	v_add_u32_e32 v1, 0x1400, v1
	ds_read2_b64 v[2:5], v1 offset0:120 offset1:140
	ds_read2_b64 v[50:53], v58 offset0:21 offset1:22
	ds_read_b128 v[38:41], v58 offset:16
	s_movk_i32 s12, 0x800
	s_waitcnt lgkmcnt(3)
	v_mul_f64 v[54:55], v[46:47], v[42:43]
	v_fma_f64 v[46:47], -v[54:55], v[48:49], v[44:45]
	ds_read2_b64 v[42:45], v58 offset0:23 offset1:24
	s_waitcnt lgkmcnt(2)
	v_mul_f64 v[56:57], v[50:51], v[46:47]
	ds_read_b128 v[46:49], v58 offset:336
	s_waitcnt lgkmcnt(2)
	v_fma_f64 v[34:35], -v[54:55], v[38:39], v[34:35]
	v_fma_f64 v[40:41], -v[54:55], v[40:41], v[36:37]
	ds_read2_b64 v[36:39], v58 offset0:63 offset1:64
	v_fma_f64 v[34:35], -v[56:57], v[52:53], v[34:35]
	ds_write2_b64 v60, v[54:55], v[56:57] offset0:144 offset1:164
	ds_read2_b64 v[50:53], v58 offset0:37 offset1:38
	s_waitcnt lgkmcnt(3)
	v_mul_f64 v[34:35], v[46:47], v[34:35]
	v_fma_f64 v[40:41], -v[56:57], v[42:43], v[40:41]
	v_fma_f64 v[62:63], -v[34:35], v[48:49], v[40:41]
	ds_read2_b64 v[40:43], v58 offset0:65 offset1:66
	ds_read_b128 v[46:49], v58 offset:32
	s_waitcnt lgkmcnt(4)
	v_mul_f64 v[36:37], v[36:37], v[62:63]
	ds_write2_b64 v60, v[34:35], v[36:37] offset0:184 offset1:204
	ds_read_b128 v[62:65], v58 offset:48
	ds_read_b128 v[66:69], v58 offset:352
	s_waitcnt lgkmcnt(3)
	v_fma_f64 v[30:31], -v[54:55], v[46:47], v[30:31]
	v_fma_f64 v[30:31], -v[56:57], v[44:45], v[30:31]
	ds_read_b128 v[44:47], v58 offset:368
	ds_read_b128 v[70:73], v58 offset:672
	ds_read2_b64 v[74:77], v58 offset0:25 offset1:26
	ds_read_b128 v[78:81], v58 offset:688
	s_waitcnt lgkmcnt(4)
	v_fma_f64 v[30:31], -v[34:35], v[66:67], v[30:31]
	v_fma_f64 v[30:31], -v[36:37], v[38:39], v[30:31]
	ds_read2_b64 v[82:85], v58 offset0:27 offset1:28
	s_waitcnt lgkmcnt(3)
	v_mul_f64 v[38:39], v[70:71], v[30:31]
	v_fma_f64 v[30:31], -v[54:55], v[48:49], v[32:33]
	s_waitcnt lgkmcnt(2)
	v_fma_f64 v[48:49], -v[56:57], v[74:75], v[30:31]
	ds_read2_b64 v[30:33], v58 offset0:105 offset1:106
	v_fma_f64 v[26:27], -v[54:55], v[62:63], v[26:27]
	v_fma_f64 v[48:49], -v[34:35], v[68:69], v[48:49]
	;; [unrolled: 1-line block ×8, first 2 shown]
	ds_read2_b64 v[42:45], v58 offset0:67 offset1:68
	s_waitcnt lgkmcnt(2)
	v_fma_f64 v[28:29], -v[56:57], v[82:83], v[28:29]
	v_fma_f64 v[28:29], -v[34:35], v[46:47], v[28:29]
	ds_read2_b64 v[46:49], v58 offset0:69 offset1:70
	s_waitcnt lgkmcnt(2)
	v_mul_f64 v[40:41], v[30:31], v[40:41]
	ds_read2_b64 v[66:69], v58 offset0:107 offset1:108
	ds_write2_b64 v60, v[38:39], v[40:41] offset0:224 offset1:244
	ds_read_b128 v[60:63], v58 offset:1008
	ds_read2_b64 v[70:73], v58 offset0:147 offset1:148
	v_fma_f64 v[26:27], -v[38:39], v[78:79], v[26:27]
	s_waitcnt lgkmcnt(5)
	v_fma_f64 v[28:29], -v[36:37], v[42:43], v[28:29]
	v_fma_f64 v[26:27], -v[40:41], v[32:33], v[26:27]
	v_fma_f64 v[28:29], -v[38:39], v[80:81], v[28:29]
	ds_read2_b64 v[30:33], v58 offset0:117 offset1:118
	s_waitcnt lgkmcnt(2)
	v_mul_f64 v[26:27], v[60:61], v[26:27]
	v_fma_f64 v[28:29], -v[40:41], v[66:67], v[28:29]
	v_fma_f64 v[28:29], -v[26:27], v[62:63], v[28:29]
	ds_read2_b64 v[60:63], v58 offset0:149 offset1:150
	ds_read_b128 v[64:67], v58 offset:64
	s_waitcnt lgkmcnt(3)
	v_mul_f64 v[28:29], v[70:71], v[28:29]
	ds_write2_b64 v59, v[26:27], v[28:29] offset0:8 offset1:28
	ds_read_b128 v[74:77], v58 offset:80
	ds_read_b128 v[78:81], v58 offset:384
	s_waitcnt lgkmcnt(3)
	v_fma_f64 v[22:23], -v[54:55], v[64:65], v[22:23]
	v_fma_f64 v[22:23], -v[56:57], v[84:85], v[22:23]
	ds_read_b128 v[82:85], v58 offset:400
	ds_read_b128 v[86:89], v58 offset:704
	s_waitcnt lgkmcnt(2)
	v_fma_f64 v[22:23], -v[34:35], v[78:79], v[22:23]
	v_fma_f64 v[22:23], -v[36:37], v[44:45], v[22:23]
	ds_read_b128 v[90:93], v58 offset:720
	ds_read_b128 v[42:45], v58 offset:1024
	v_fma_f64 v[18:19], -v[54:55], v[74:75], v[18:19]
	s_waitcnt lgkmcnt(2)
	v_fma_f64 v[22:23], -v[38:39], v[86:87], v[22:23]
	v_fma_f64 v[22:23], -v[40:41], v[68:69], v[22:23]
	ds_read_b128 v[68:71], v58 offset:1040
	ds_read_b128 v[94:97], v58 offset:1344
	ds_read2_b64 v[98:101], v58 offset0:29 offset1:30
	ds_read_b128 v[102:105], v58 offset:1360
	s_waitcnt lgkmcnt(4)
	v_fma_f64 v[22:23], -v[26:27], v[42:43], v[22:23]
	v_fma_f64 v[22:23], -v[28:29], v[72:73], v[22:23]
	;; [unrolled: 1-line block ×3, first 2 shown]
	s_waitcnt lgkmcnt(2)
	v_mul_f64 v[42:43], v[94:95], v[22:23]
	v_fma_f64 v[22:23], -v[54:55], v[66:67], v[24:25]
	s_waitcnt lgkmcnt(1)
	v_fma_f64 v[72:73], -v[56:57], v[98:99], v[22:23]
	ds_read2_b64 v[22:25], v58 offset0:109 offset1:110
	v_fma_f64 v[18:19], -v[56:57], v[100:101], v[18:19]
	v_fma_f64 v[72:73], -v[34:35], v[80:81], v[72:73]
	;; [unrolled: 1-line block ×4, first 2 shown]
	ds_read2_b64 v[72:75], v58 offset0:73 offset1:74
	v_fma_f64 v[18:19], -v[36:37], v[48:49], v[18:19]
	v_fma_f64 v[46:47], -v[38:39], v[88:89], v[46:47]
	;; [unrolled: 1-line block ×3, first 2 shown]
	ds_read2_b64 v[64:67], v58 offset0:31 offset1:32
	s_waitcnt lgkmcnt(2)
	v_fma_f64 v[22:23], -v[40:41], v[22:23], v[46:47]
	v_fma_f64 v[18:19], -v[40:41], v[24:25], v[18:19]
	;; [unrolled: 1-line block ×6, first 2 shown]
	ds_read2_b64 v[60:63], v58 offset0:71 offset1:72
	ds_read2_b64 v[78:81], v58 offset0:111 offset1:112
	s_waitcnt lgkmcnt(2)
	v_fma_f64 v[20:21], -v[56:57], v[64:65], v[20:21]
	ds_read2_b64 v[86:89], v58 offset0:189 offset1:190
	v_fma_f64 v[20:21], -v[34:35], v[84:85], v[20:21]
	ds_read2_b64 v[82:85], v58 offset0:151 offset1:152
	s_waitcnt lgkmcnt(3)
	v_fma_f64 v[20:21], -v[36:37], v[60:61], v[20:21]
	v_fma_f64 v[22:23], -v[42:43], v[96:97], v[22:23]
	ds_read2_b64 v[94:97], v58 offset0:191 offset1:192
	ds_read_b128 v[46:49], v58 offset:1680
	v_fma_f64 v[20:21], -v[38:39], v[92:93], v[20:21]
	s_waitcnt lgkmcnt(4)
	v_fma_f64 v[20:21], -v[40:41], v[78:79], v[20:21]
	ds_read2_b64 v[76:79], v58 offset0:231 offset1:232
	v_fma_f64 v[20:21], -v[26:27], v[70:71], v[20:21]
	v_fma_f64 v[18:19], -v[42:43], v[102:103], v[18:19]
	ds_read2_b64 v[68:71], v58 offset0:153 offset1:154
	s_waitcnt lgkmcnt(5)
	v_mul_f64 v[44:45], v[86:87], v[22:23]
	s_waitcnt lgkmcnt(4)
	v_fma_f64 v[20:21], -v[28:29], v[82:83], v[20:21]
	v_fma_f64 v[18:19], -v[44:45], v[88:89], v[18:19]
	;; [unrolled: 1-line block ×3, first 2 shown]
	ds_read2_b64 v[22:25], v58 offset0:197 offset1:198
	s_waitcnt lgkmcnt(3)
	v_mul_f64 v[18:19], v[46:47], v[18:19]
	v_fma_f64 v[20:21], -v[44:45], v[94:95], v[20:21]
	ds_write2_b64 v59, v[42:43], v[44:45] offset0:48 offset1:68
	v_fma_f64 v[20:21], -v[18:19], v[48:49], v[20:21]
	ds_read2_b64 v[46:49], v58 offset0:233 offset1:234
	ds_read_b128 v[86:89], v58 offset:96
	s_waitcnt lgkmcnt(5)
	v_mul_f64 v[20:21], v[76:77], v[20:21]
	ds_write2_b64 v59, v[18:19], v[20:21] offset0:88 offset1:108
	ds_read_b128 v[90:93], v58 offset:112
	ds_read_b128 v[98:101], v58 offset:416
	s_waitcnt lgkmcnt(3)
	v_fma_f64 v[14:15], -v[54:55], v[86:87], v[14:15]
	v_fma_f64 v[14:15], -v[56:57], v[66:67], v[14:15]
	ds_read_b128 v[64:67], v58 offset:432
	ds_read_b128 v[102:105], v58 offset:736
	s_waitcnt lgkmcnt(2)
	v_fma_f64 v[14:15], -v[34:35], v[98:99], v[14:15]
	v_fma_f64 v[14:15], -v[36:37], v[62:63], v[14:15]
	ds_read_b128 v[60:63], v58 offset:752
	ds_read_b128 v[106:109], v58 offset:1056
	v_fma_f64 v[16:17], -v[54:55], v[88:89], v[16:17]
	s_waitcnt lgkmcnt(2)
	v_fma_f64 v[14:15], -v[38:39], v[102:103], v[14:15]
	v_fma_f64 v[14:15], -v[40:41], v[80:81], v[14:15]
	ds_read_b128 v[80:83], v58 offset:1072
	ds_read_b128 v[110:113], v58 offset:1376
	s_waitcnt lgkmcnt(2)
	v_fma_f64 v[14:15], -v[26:27], v[106:107], v[14:15]
	v_fma_f64 v[14:15], -v[28:29], v[84:85], v[14:15]
	ds_read_b128 v[84:87], v58 offset:1392
	ds_read_b128 v[114:117], v58 offset:1696
	v_fma_f64 v[10:11], -v[54:55], v[90:91], v[10:11]
	s_waitcnt lgkmcnt(2)
	v_fma_f64 v[14:15], -v[42:43], v[110:111], v[14:15]
	v_fma_f64 v[14:15], -v[44:45], v[96:97], v[14:15]
	ds_read_b128 v[94:97], v58 offset:1712
	ds_read_b128 v[118:121], v58 offset:2016
	s_waitcnt lgkmcnt(2)
	v_fma_f64 v[14:15], -v[18:19], v[114:115], v[14:15]
	v_fma_f64 v[14:15], -v[20:21], v[78:79], v[14:15]
	ds_read2_b64 v[76:79], v58 offset0:33 offset1:34
	ds_read_b128 v[122:125], v58 offset:2032
	ds_read2_b64 v[130:133], v58 offset0:113 offset1:114
	ds_read2_b64 v[126:129], v58 offset0:35 offset1:36
	v_fma_f64 v[12:13], -v[54:55], v[92:93], v[12:13]
	s_waitcnt lgkmcnt(3)
	v_fma_f64 v[16:17], -v[56:57], v[76:77], v[16:17]
	v_fma_f64 v[16:17], -v[34:35], v[100:101], v[16:17]
	;; [unrolled: 1-line block ×4, first 2 shown]
	ds_read2_b64 v[102:105], v58 offset0:193 offset1:194
	ds_read2_b64 v[98:101], v58 offset0:115 offset1:116
	s_waitcnt lgkmcnt(3)
	v_fma_f64 v[16:17], -v[40:41], v[130:131], v[16:17]
	v_fma_f64 v[16:17], -v[26:27], v[108:109], v[16:17]
	ds_read2_b64 v[106:109], v58 offset0:195 offset1:196
	v_fma_f64 v[16:17], -v[28:29], v[68:69], v[16:17]
	v_fma_f64 v[10:11], -v[56:57], v[78:79], v[10:11]
	v_fma_f64 v[16:17], -v[42:43], v[112:113], v[16:17]
	v_fma_f64 v[10:11], -v[34:35], v[64:65], v[10:11]
	s_waitcnt lgkmcnt(2)
	v_fma_f64 v[16:17], -v[44:45], v[102:103], v[16:17]
	v_fma_f64 v[10:11], -v[36:37], v[74:75], v[10:11]
	ds_read2_b64 v[72:75], v58 offset0:75 offset1:76
	v_fma_f64 v[16:17], -v[18:19], v[116:117], v[16:17]
	v_fma_f64 v[10:11], -v[38:39], v[60:61], v[10:11]
	;; [unrolled: 1-line block ×3, first 2 shown]
	v_mov_b32_e32 v46, 0x898
	v_fma_f64 v[10:11], -v[40:41], v[132:133], v[10:11]
	v_mov_b32_e32 v68, 0x888
	ds_read2_b64 v[114:117], v46 offset1:1
	v_fma_f64 v[10:11], -v[26:27], v[80:81], v[10:11]
	v_fma_f64 v[12:13], -v[56:57], v[126:127], v[12:13]
	ds_read2_b64 v[110:113], v68 offset1:1
	v_fma_f64 v[10:11], -v[28:29], v[70:71], v[10:11]
	v_fma_f64 v[12:13], -v[34:35], v[66:67], v[12:13]
	ds_read2_b64 v[64:67], v58 offset0:77 offset1:78
	ds_read2_b64 v[76:79], v58 offset0:155 offset1:156
	v_fma_f64 v[10:11], -v[42:43], v[84:85], v[10:11]
	s_waitcnt lgkmcnt(4)
	v_fma_f64 v[12:13], -v[36:37], v[72:73], v[12:13]
	v_fma_f64 v[10:11], -v[44:45], v[104:105], v[10:11]
	ds_read_b128 v[68:71], v58 offset:2352
	v_fma_f64 v[12:13], -v[38:39], v[62:63], v[12:13]
	v_mul_f64 v[14:15], v[118:119], v[14:15]
	v_fma_f64 v[10:11], -v[18:19], v[94:95], v[10:11]
	v_fma_f64 v[12:13], -v[40:41], v[98:99], v[12:13]
	;; [unrolled: 1-line block ×4, first 2 shown]
	ds_read_b128 v[46:49], v58 offset:2368
	v_fma_f64 v[12:13], -v[26:27], v[82:83], v[12:13]
	ds_read2_b64 v[80:83], v58 offset0:235 offset1:236
	s_waitcnt lgkmcnt(5)
	v_mul_f64 v[16:17], v[110:111], v[16:17]
	v_fma_f64 v[10:11], -v[14:15], v[122:123], v[10:11]
	ds_read2_b64 v[60:63], v58 offset0:157 offset1:158
	s_waitcnt lgkmcnt(4)
	v_fma_f64 v[12:13], -v[28:29], v[76:77], v[12:13]
	v_fma_f64 v[10:11], -v[16:17], v[112:113], v[10:11]
	;; [unrolled: 1-line block ×3, first 2 shown]
	ds_read2_b64 v[84:87], v58 offset0:237 offset1:238
	s_waitcnt lgkmcnt(4)
	v_mul_f64 v[10:11], v[68:69], v[10:11]
	v_fma_f64 v[12:13], -v[44:45], v[106:107], v[12:13]
	v_mov_b32_e32 v68, 0x9d8
	v_fma_f64 v[12:13], -v[18:19], v[96:97], v[12:13]
	ds_read2_b64 v[88:91], v68 offset1:1
	s_waitcnt lgkmcnt(3)
	v_fma_f64 v[12:13], -v[20:21], v[80:81], v[12:13]
	v_fma_f64 v[12:13], -v[14:15], v[124:125], v[12:13]
	;; [unrolled: 1-line block ×3, first 2 shown]
	ds_write2_b64 v59, v[14:15], v[16:17] offset0:128 offset1:148
	v_fma_f64 v[12:13], -v[10:11], v[70:71], v[12:13]
	v_mov_b32_e32 v68, 0x8a8
	ds_read2_b64 v[68:71], v68 offset1:1
	ds_read_b128 v[92:95], v58 offset:128
	s_waitcnt lgkmcnt(3)
	v_mul_f64 v[12:13], v[88:89], v[12:13]
	ds_write2_b64 v59, v[10:11], v[12:13] offset0:168 offset1:188
	ds_read_b128 v[96:99], v58 offset:144
	ds_read_b128 v[102:105], v58 offset:448
	;; [unrolled: 1-line block ×4, first 2 shown]
	s_waitcnt lgkmcnt(5)
	v_fma_f64 v[6:7], -v[54:55], v[92:93], v[6:7]
	v_fma_f64 v[6:7], -v[56:57], v[128:129], v[6:7]
	s_waitcnt lgkmcnt(3)
	v_fma_f64 v[2:3], -v[54:55], v[96:97], v[2:3]
	s_waitcnt lgkmcnt(2)
	v_fma_f64 v[6:7], -v[34:35], v[102:103], v[6:7]
	v_fma_f64 v[6:7], -v[36:37], v[74:75], v[6:7]
	ds_read_b128 v[72:75], v58 offset:784
	ds_read_b128 v[122:125], v58 offset:1088
	s_waitcnt lgkmcnt(2)
	v_fma_f64 v[6:7], -v[38:39], v[118:119], v[6:7]
	v_fma_f64 v[6:7], -v[40:41], v[100:101], v[6:7]
	ds_read_b128 v[100:103], v58 offset:1104
	ds_read_b128 v[126:129], v58 offset:1408
	v_fma_f64 v[2:3], -v[56:57], v[52:53], v[2:3]
	s_waitcnt lgkmcnt(2)
	v_fma_f64 v[6:7], -v[26:27], v[122:123], v[6:7]
	v_fma_f64 v[6:7], -v[28:29], v[78:79], v[6:7]
	ds_read_b128 v[76:79], v58 offset:1424
	ds_read_b128 v[130:133], v58 offset:1728
	s_waitcnt lgkmcnt(2)
	v_fma_f64 v[6:7], -v[42:43], v[126:127], v[6:7]
	v_fma_f64 v[6:7], -v[44:45], v[108:109], v[6:7]
	ds_read_b128 v[106:109], v58 offset:2048
	ds_read_b128 v[134:137], v58 offset:1744
	;; [unrolled: 1-line block ×3, first 2 shown]
	s_waitcnt lgkmcnt(3)
	v_fma_f64 v[6:7], -v[18:19], v[130:131], v[6:7]
	v_fma_f64 v[6:7], -v[20:21], v[82:83], v[6:7]
	s_waitcnt lgkmcnt(2)
	v_fma_f64 v[6:7], -v[14:15], v[106:107], v[6:7]
	v_fma_f64 v[6:7], -v[16:17], v[116:117], v[6:7]
	;; [unrolled: 1-line block ×4, first 2 shown]
	s_waitcnt lgkmcnt(0)
	v_mul_f64 v[46:47], v[138:139], v[6:7]
	v_fma_f64 v[6:7], -v[54:55], v[94:95], v[8:9]
	v_fma_f64 v[6:7], -v[56:57], v[50:51], v[6:7]
	;; [unrolled: 1-line block ×17, first 2 shown]
	v_mov_b32_e32 v6, 0x9e8
	v_fma_f64 v[2:3], -v[26:27], v[100:101], v[2:3]
	ds_read_b128 v[80:83], v58 offset:2064
	ds_read_b128 v[88:91], v58 offset:2384
	ds_read2_b64 v[6:9], v6 offset1:1
	v_fma_f64 v[2:3], -v[28:29], v[62:63], v[2:3]
	v_fma_f64 v[2:3], -v[42:43], v[76:77], v[2:3]
	v_mov_b32_e32 v30, 0xb28
	ds_read2_b64 v[92:95], v30 offset1:1
	v_fma_f64 v[2:3], -v[44:45], v[24:25], v[2:3]
	v_fma_f64 v[22:23], -v[16:17], v[68:69], v[22:23]
	;; [unrolled: 1-line block ×5, first 2 shown]
	s_waitcnt lgkmcnt(1)
	v_fma_f64 v[6:7], -v[12:13], v[6:7], v[22:23]
	v_fma_f64 v[2:3], -v[14:15], v[80:81], v[2:3]
	ds_read_b128 v[22:25], v58 offset:2704
	ds_read_b128 v[30:33], v58 offset:3024
	v_fma_f64 v[2:3], -v[16:17], v[70:71], v[2:3]
	v_fma_f64 v[6:7], -v[46:47], v[140:141], v[6:7]
	;; [unrolled: 1-line block ×3, first 2 shown]
	s_waitcnt lgkmcnt(2)
	v_mul_f64 v[48:49], v[92:93], v[6:7]
	v_fma_f64 v[2:3], -v[12:13], v[8:9], v[2:3]
	ds_read2_b64 v[6:9], v58 offset0:39 offset1:79
	s_waitcnt lgkmcnt(2)
	v_fma_f64 v[2:3], -v[46:47], v[22:23], v[2:3]
	v_fma_f64 v[2:3], -v[48:49], v[94:95], v[2:3]
	s_waitcnt lgkmcnt(1)
	v_mul_f64 v[22:23], v[30:31], v[2:3]
	v_fma_f64 v[2:3], -v[54:55], v[98:99], v[4:5]
	s_waitcnt lgkmcnt(0)
	v_fma_f64 v[6:7], -v[56:57], v[6:7], v[2:3]
	ds_read2_b64 v[2:5], v58 offset0:119 offset1:159
	v_fma_f64 v[6:7], -v[34:35], v[112:113], v[6:7]
	v_fma_f64 v[6:7], -v[36:37], v[8:9], v[6:7]
	;; [unrolled: 1-line block ×3, first 2 shown]
	ds_read2_b64 v[6:9], v58 offset0:199 offset1:239
	s_waitcnt lgkmcnt(1)
	v_fma_f64 v[2:3], -v[40:41], v[2:3], v[30:31]
	v_fma_f64 v[2:3], -v[26:27], v[102:103], v[2:3]
	v_fma_f64 v[2:3], -v[28:29], v[4:5], v[2:3]
	v_fma_f64 v[2:3], -v[42:43], v[78:79], v[2:3]
	v_add_u32_e64 v26, s12, 0
	s_waitcnt lgkmcnt(0)
	v_fma_f64 v[6:7], -v[44:45], v[6:7], v[2:3]
	ds_read2_b64 v[2:5], v26 offset0:23 offset1:63
	v_fma_f64 v[6:7], -v[18:19], v[136:137], v[6:7]
	v_fma_f64 v[6:7], -v[20:21], v[8:9], v[6:7]
	;; [unrolled: 1-line block ×3, first 2 shown]
	ds_read2_b64 v[6:9], v26 offset0:103 offset1:143
	s_waitcnt lgkmcnt(1)
	v_fma_f64 v[2:3], -v[16:17], v[2:3], v[14:15]
	v_fma_f64 v[2:3], -v[10:11], v[90:91], v[2:3]
	;; [unrolled: 1-line block ×4, first 2 shown]
	s_waitcnt lgkmcnt(0)
	v_fma_f64 v[2:3], -v[48:49], v[6:7], v[2:3]
	v_fma_f64 v[2:3], -v[22:23], v[32:33], v[2:3]
	v_mul_f64 v[2:3], v[8:9], v[2:3]
	s_mov_b32 s12, 20
	ds_write2_b64 v59, v[46:47], v[48:49] offset0:208 offset1:228
	ds_write2_b64 v1, v[22:23], v[2:3] offset0:120 offset1:140
.LBB89_43:
	s_cmp_lt_i32 s12, s30
	s_cbranch_scc0 .LBB89_65
; %bb.44:
	s_add_i32 s13, s12, 15
	s_cmp_ge_u32 s13, s30
	s_cbranch_scc1 .LBB89_54
; %bb.45:
	s_mul_i32 s16, s12, 20
	v_add_lshl_u32 v1, s16, v0, 3
	v_add_u32_e32 v2, 0x800, v1
	ds_read2_b64 v[30:33], v2 offset0:144 offset1:164
	ds_read2_b64 v[26:29], v2 offset0:184 offset1:204
	;; [unrolled: 1-line block ×3, first 2 shown]
	v_add_u32_e32 v2, 0x1000, v1
	ds_read2_b64 v[18:21], v2 offset0:8 offset1:28
	ds_read2_b64 v[14:17], v2 offset0:48 offset1:68
	;; [unrolled: 1-line block ×5, first 2 shown]
	s_andn2_b64 vcc, exec, s[8:9]
	s_cbranch_vccnz .LBB89_53
; %bb.46:
	s_max_u32 s8, s12, 1
	s_cmp_eq_u32 s8, 1
	s_cbranch_scc1 .LBB89_50
; %bb.47:
	v_mov_b32_e32 v34, 0xc80
	s_and_b32 s9, s8, 20
	s_lshl_b32 s17, s12, 3
	v_lshl_add_u32 v34, v0, 3, v34
	s_mov_b32 s18, 0
.LBB89_48:                              ; =>This Inner Loop Header: Depth=1
	ds_read2_b64 v[36:39], v34 offset1:20
	v_mov_b32_e32 v35, s17
	ds_read_b128 v[40:43], v35
	ds_read_b128 v[44:47], v35 offset:16
	ds_read_b128 v[48:51], v35 offset:32
	;; [unrolled: 1-line block ×15, first 2 shown]
	s_add_i32 s18, s18, 2
	s_addk_i32 s17, 0x140
	s_waitcnt lgkmcnt(14)
	v_fma_f64 v[30:31], -v[36:37], v[40:41], v[30:31]
	v_fma_f64 v[32:33], -v[36:37], v[42:43], v[32:33]
	;; [unrolled: 1-line block ×4, first 2 shown]
	s_waitcnt lgkmcnt(13)
	v_fma_f64 v[22:23], -v[36:37], v[48:49], v[22:23]
	v_fma_f64 v[24:25], -v[36:37], v[50:51], v[24:25]
	s_waitcnt lgkmcnt(12)
	v_fma_f64 v[18:19], -v[36:37], v[52:53], v[18:19]
	v_fma_f64 v[20:21], -v[36:37], v[54:55], v[20:21]
	s_waitcnt lgkmcnt(11)
	v_fma_f64 v[14:15], -v[36:37], v[56:57], v[14:15]
	v_fma_f64 v[16:17], -v[36:37], v[58:59], v[16:17]
	s_waitcnt lgkmcnt(10)
	v_fma_f64 v[10:11], -v[36:37], v[60:61], v[10:11]
	v_fma_f64 v[12:13], -v[36:37], v[62:63], v[12:13]
	s_waitcnt lgkmcnt(9)
	v_fma_f64 v[6:7], -v[36:37], v[64:65], v[6:7]
	v_fma_f64 v[8:9], -v[36:37], v[66:67], v[8:9]
	s_waitcnt lgkmcnt(8)
	v_fma_f64 v[2:3], -v[36:37], v[68:69], v[2:3]
	v_fma_f64 v[4:5], -v[36:37], v[70:71], v[4:5]
	v_add_u32_e32 v34, 0x140, v34
	s_cmp_lg_u32 s9, s18
	s_waitcnt lgkmcnt(7)
	v_fma_f64 v[30:31], -v[38:39], v[72:73], v[30:31]
	v_fma_f64 v[32:33], -v[38:39], v[74:75], v[32:33]
	s_waitcnt lgkmcnt(6)
	v_fma_f64 v[26:27], -v[38:39], v[76:77], v[26:27]
	v_fma_f64 v[28:29], -v[38:39], v[78:79], v[28:29]
	;; [unrolled: 3-line block ×8, first 2 shown]
	s_cbranch_scc1 .LBB89_48
; %bb.49:
	s_mul_i32 s9, s9, 20
	s_branch .LBB89_51
.LBB89_50:
	s_mov_b32 s9, 0
.LBB89_51:
	s_bitcmp0_b32 s8, 0
	s_cbranch_scc1 .LBB89_53
; %bb.52:
	s_add_i32 s8, s9, s12
	v_add_lshl_u32 v34, s9, v0, 3
	s_lshl_b32 s8, s8, 3
	v_mov_b32_e32 v48, s8
	ds_read_b64 v[46:47], v34 offset:3200
	ds_read_b128 v[34:37], v48
	ds_read_b128 v[38:41], v48 offset:16
	ds_read_b128 v[42:45], v48 offset:32
	s_waitcnt lgkmcnt(2)
	v_fma_f64 v[30:31], -v[46:47], v[34:35], v[30:31]
	v_fma_f64 v[32:33], -v[46:47], v[36:37], v[32:33]
	s_waitcnt lgkmcnt(1)
	v_fma_f64 v[26:27], -v[46:47], v[38:39], v[26:27]
	ds_read_b128 v[34:37], v48 offset:48
	v_fma_f64 v[28:29], -v[46:47], v[40:41], v[28:29]
	ds_read_b128 v[38:41], v48 offset:64
	s_waitcnt lgkmcnt(2)
	v_fma_f64 v[22:23], -v[46:47], v[42:43], v[22:23]
	v_fma_f64 v[24:25], -v[46:47], v[44:45], v[24:25]
	s_waitcnt lgkmcnt(1)
	v_fma_f64 v[18:19], -v[46:47], v[34:35], v[18:19]
	v_fma_f64 v[20:21], -v[46:47], v[36:37], v[20:21]
	ds_read_b128 v[34:37], v48 offset:80
	ds_read_b128 v[42:45], v48 offset:96
	s_waitcnt lgkmcnt(2)
	v_fma_f64 v[14:15], -v[46:47], v[38:39], v[14:15]
	v_fma_f64 v[16:17], -v[46:47], v[40:41], v[16:17]
	ds_read_b128 v[38:41], v48 offset:112
	s_waitcnt lgkmcnt(2)
	v_fma_f64 v[10:11], -v[46:47], v[34:35], v[10:11]
	v_fma_f64 v[12:13], -v[46:47], v[36:37], v[12:13]
	s_waitcnt lgkmcnt(1)
	v_fma_f64 v[6:7], -v[46:47], v[42:43], v[6:7]
	v_fma_f64 v[8:9], -v[46:47], v[44:45], v[8:9]
	;; [unrolled: 3-line block ×3, first 2 shown]
.LBB89_53:
	s_mul_i32 s9, s12, 0xa8
	v_add_u32_e32 v38, 0xc80, v1
	v_mov_b32_e32 v1, s9
	ds_read_b128 v[40:43], v1
	ds_read_b128 v[34:37], v1 offset:16
	ds_read2_b64 v[44:47], v1 offset0:21 offset1:22
	s_add_i32 s17, s16, 20
	s_add_i32 s18, s16, 40
	s_waitcnt lgkmcnt(2)
	v_mul_f64 v[50:51], v[40:41], v[30:31]
	ds_write_b64 v38, v[50:51]
	v_fma_f64 v[38:39], -v[50:51], v[42:43], v[32:33]
	s_waitcnt lgkmcnt(1)
	v_mul_f64 v[52:53], v[44:45], v[38:39]
	v_add_lshl_u32 v38, s17, v0, 3
	s_add_i32 s17, s12, s17
	ds_read_b128 v[42:45], v1 offset:336
	s_lshl_b32 s17, s17, 3
	v_mov_b32_e32 v56, s17
	ds_read2_b64 v[58:61], v56 offset0:3 offset1:4
	v_fma_f64 v[26:27], -v[50:51], v[34:35], v[26:27]
	v_fma_f64 v[26:27], -v[52:53], v[46:47], v[26:27]
	ds_write_b64 v38, v[52:53] offset:3200
	ds_read2_b64 v[38:41], v1 offset0:63 offset1:64
	s_waitcnt lgkmcnt(3)
	v_mul_f64 v[54:55], v[42:43], v[26:27]
	v_add_lshl_u32 v26, s18, v0, 3
	ds_write_b64 v26, v[54:55] offset:3200
	v_fma_f64 v[26:27], -v[50:51], v[36:37], v[28:29]
	ds_read2_b64 v[34:37], v56 offset0:5 offset1:6
	s_waitcnt lgkmcnt(4)
	v_fma_f64 v[26:27], -v[52:53], v[58:59], v[26:27]
	ds_read_b128 v[30:33], v1 offset:64
	v_fma_f64 v[26:27], -v[54:55], v[44:45], v[26:27]
	ds_read_b128 v[42:45], v1 offset:32
	s_add_i32 s17, s12, s18
	s_lshl_b32 s18, s17, 3
	s_add_i32 s17, s16, 60
	s_waitcnt lgkmcnt(4)
	v_mul_f64 v[38:39], v[38:39], v[26:27]
	v_add_lshl_u32 v26, s17, v0, 3
	s_add_i32 s17, s12, s17
	ds_write_b64 v26, v[38:39] offset:3200
	v_mov_b32_e32 v57, s18
	s_lshl_b32 s17, s17, 3
	ds_read_b128 v[46:49], v57 offset:32
	ds_read_b128 v[26:29], v1 offset:48
	s_waitcnt lgkmcnt(3)
	v_fma_f64 v[22:23], -v[50:51], v[42:43], v[22:23]
	v_mov_b32_e32 v86, s17
	v_fma_f64 v[22:23], -v[52:53], v[60:61], v[22:23]
	ds_read_b128 v[58:61], v1 offset:672
	ds_read2_b64 v[62:65], v1 offset0:105 offset1:106
	ds_read2_b64 v[66:69], v86 offset0:5 offset1:6
	v_fma_f64 v[24:25], -v[50:51], v[44:45], v[24:25]
	s_waitcnt lgkmcnt(4)
	v_fma_f64 v[22:23], -v[54:55], v[46:47], v[22:23]
	ds_read_b128 v[44:47], v57 offset:112
	v_fma_f64 v[24:25], -v[52:53], v[34:35], v[24:25]
	v_fma_f64 v[22:23], -v[38:39], v[40:41], v[22:23]
	;; [unrolled: 1-line block ×3, first 2 shown]
	s_add_i32 s18, s16, 0x50
	s_waitcnt lgkmcnt(3)
	v_mul_f64 v[22:23], v[58:59], v[22:23]
	s_waitcnt lgkmcnt(1)
	v_fma_f64 v[24:25], -v[38:39], v[66:67], v[24:25]
	v_add_lshl_u32 v40, s18, v0, 3
	s_add_i32 s17, s12, s18
	v_fma_f64 v[24:25], -v[22:23], v[60:61], v[24:25]
	s_add_i32 s18, s16, 0x64
	ds_write_b64 v40, v[22:23] offset:3200
	v_mul_f64 v[40:41], v[62:63], v[24:25]
	v_add_lshl_u32 v24, s18, v0, 3
	ds_read_b64 v[42:43], v56 offset:120
	ds_write_b64 v24, v[40:41] offset:3200
	v_fma_f64 v[18:19], -v[50:51], v[26:27], v[18:19]
	ds_read_b128 v[24:27], v57 offset:48
	s_lshl_b32 s17, s17, 3
	v_mov_b32_e32 v102, s17
	v_fma_f64 v[18:19], -v[52:53], v[36:37], v[18:19]
	ds_read_b128 v[34:37], v102 offset:48
	ds_read_b128 v[58:61], v57 offset:64
	s_waitcnt lgkmcnt(2)
	v_fma_f64 v[18:19], -v[54:55], v[24:25], v[18:19]
	v_fma_f64 v[18:19], -v[38:39], v[68:69], v[18:19]
	ds_read2_b64 v[66:69], v1 offset0:126 offset1:147
	s_waitcnt lgkmcnt(2)
	v_fma_f64 v[18:19], -v[22:23], v[34:35], v[18:19]
	ds_read_b64 v[48:49], v86 offset:120
	v_fma_f64 v[18:19], -v[40:41], v[64:65], v[18:19]
	ds_read2_b64 v[62:65], v56 offset0:7 offset1:8
	s_add_i32 s17, s12, s18
	s_add_i32 s18, s16, 0x78
	s_lshl_b32 s17, s17, 3
	s_waitcnt lgkmcnt(2)
	v_mul_f64 v[90:91], v[66:67], v[18:19]
	v_add_lshl_u32 v18, s18, v0, 3
	ds_write_b64 v18, v[90:91] offset:3200
	v_fma_f64 v[24:25], -v[50:51], v[28:29], v[20:21]
	v_mov_b32_e32 v100, s17
	s_add_i32 s17, s12, s18
	ds_read2_b64 v[18:21], v86 offset0:7 offset1:8
	ds_read2_b64 v[70:73], v56 offset0:9 offset1:10
	s_waitcnt lgkmcnt(3)
	v_fma_f64 v[24:25], -v[52:53], v[62:63], v[24:25]
	s_lshl_b32 s17, s17, 3
	v_fma_f64 v[28:29], -v[54:55], v[26:27], v[24:25]
	ds_read2_b64 v[24:27], v86 offset0:9 offset1:10
	ds_read2_b64 v[74:77], v100 offset0:7 offset1:8
	v_mov_b32_e32 v103, s17
	ds_read2_b64 v[78:81], v103 offset0:7 offset1:8
	s_waitcnt lgkmcnt(4)
	v_fma_f64 v[18:19], -v[38:39], v[18:19], v[28:29]
	v_fma_f64 v[18:19], -v[22:23], v[36:37], v[18:19]
	s_waitcnt lgkmcnt(1)
	v_fma_f64 v[18:19], -v[40:41], v[74:75], v[18:19]
	v_fma_f64 v[14:15], -v[50:51], v[30:31], v[14:15]
	s_waitcnt lgkmcnt(0)
	v_fma_f64 v[18:19], -v[90:91], v[78:79], v[18:19]
	s_add_i32 s17, s16, 0x8c
	v_fma_f64 v[14:15], -v[52:53], v[64:65], v[14:15]
	v_mul_f64 v[94:95], v[68:69], v[18:19]
	v_add_lshl_u32 v18, s17, v0, 3
	v_fma_f64 v[14:15], -v[54:55], v[58:59], v[14:15]
	ds_write_b64 v18, v[94:95] offset:3200
	v_fma_f64 v[14:15], -v[38:39], v[20:21], v[14:15]
	ds_read_b128 v[18:21], v102 offset:64
	s_add_i32 s17, s12, s17
	s_or_b32 s18, s12, 8
	s_lshl_b32 s17, s17, 3
	v_mov_b32_e32 v104, s17
	s_mul_i32 s17, s18, 20
	s_mulk_i32 s18, 0xa8
	ds_read2_b64 v[34:37], v100 offset0:9 offset1:10
	ds_read_b64 v[92:93], v100 offset:120
	ds_read_b128 v[28:31], v102 offset:80
	ds_read_b128 v[62:65], v104 offset:64
	s_waitcnt lgkmcnt(4)
	v_fma_f64 v[14:15], -v[22:23], v[18:19], v[14:15]
	v_mov_b32_e32 v18, s18
	v_fma_f64 v[14:15], -v[40:41], v[76:77], v[14:15]
	ds_read_b128 v[66:69], v104 offset:80
	ds_read_b128 v[74:77], v18
	v_fma_f64 v[14:15], -v[90:91], v[80:81], v[14:15]
	s_waitcnt lgkmcnt(2)
	v_fma_f64 v[14:15], -v[94:95], v[62:63], v[14:15]
	s_or_b32 s18, s12, 9
	s_mul_i32 s19, s18, 0xa8
	s_waitcnt lgkmcnt(0)
	v_mul_f64 v[96:97], v[74:75], v[14:15]
	v_add_lshl_u32 v14, s17, v0, 3
	ds_write_b64 v14, v[96:97] offset:3200
	v_fma_f64 v[14:15], -v[50:51], v[32:33], v[16:17]
	v_mov_b32_e32 v18, s19
	v_fma_f64 v[14:15], -v[52:53], v[70:71], v[14:15]
	ds_read2_b64 v[78:81], v18 offset1:1
	v_fma_f64 v[18:19], -v[54:55], v[60:61], v[14:15]
	ds_read2_b64 v[14:17], v103 offset0:9 offset1:10
	v_fma_f64 v[18:19], -v[38:39], v[24:25], v[18:19]
	v_fma_f64 v[18:19], -v[22:23], v[20:21], v[18:19]
	;; [unrolled: 1-line block ×3, first 2 shown]
	s_add_i32 s19, s12, s16
	s_waitcnt lgkmcnt(0)
	v_fma_f64 v[14:15], -v[90:91], v[14:15], v[24:25]
	v_fma_f64 v[14:15], -v[94:95], v[64:65], v[14:15]
	s_lshl_b32 s19, s19, 3
	v_fma_f64 v[14:15], -v[96:97], v[76:77], v[14:15]
	v_mul_f64 v[98:99], v[78:79], v[14:15]
	v_mov_b32_e32 v15, s19
	ds_read2_b64 v[18:21], v103 offset0:11 offset1:12
	ds_read_b128 v[32:35], v15 offset:80
	s_mul_i32 s18, s18, 20
	v_add_lshl_u32 v14, s18, v0, 3
	ds_write_b64 v14, v[98:99] offset:3200
	ds_read_b128 v[58:61], v57 offset:80
	ds_read_b128 v[62:65], v15 offset:96
	s_add_i32 s17, s12, s17
	s_waitcnt lgkmcnt(3)
	v_fma_f64 v[10:11], -v[50:51], v[32:33], v[10:11]
	s_lshl_b32 s17, s17, 3
	v_fma_f64 v[10:11], -v[52:53], v[72:73], v[10:11]
	s_waitcnt lgkmcnt(1)
	v_fma_f64 v[10:11], -v[54:55], v[58:59], v[10:11]
	v_mov_b32_e32 v105, s17
	v_fma_f64 v[10:11], -v[38:39], v[26:27], v[10:11]
	ds_read_b128 v[24:27], v105 offset:80
	v_fma_f64 v[10:11], -v[22:23], v[28:29], v[10:11]
	v_fma_f64 v[10:11], -v[40:41], v[36:37], v[10:11]
	s_or_b32 s19, s12, 10
	v_fma_f64 v[10:11], -v[90:91], v[16:17], v[10:11]
	v_fma_f64 v[10:11], -v[94:95], v[66:67], v[10:11]
	s_add_i32 s17, s12, s18
	s_mul_i32 s18, s19, 0xa8
	s_waitcnt lgkmcnt(0)
	v_fma_f64 v[10:11], -v[96:97], v[24:25], v[10:11]
	v_mov_b32_e32 v24, s18
	ds_read_b128 v[14:17], v15 offset:112
	ds_read_b128 v[74:77], v24
	v_fma_f64 v[10:11], -v[98:99], v[80:81], v[10:11]
	s_mul_i32 s19, s19, 20
	ds_read_b128 v[70:73], v57 offset:96
	ds_read2_b64 v[82:85], v56 offset0:11 offset1:12
	s_lshl_b32 s17, s17, 3
	s_waitcnt lgkmcnt(2)
	v_mul_f64 v[36:37], v[74:75], v[10:11]
	v_add_lshl_u32 v10, s19, v0, 3
	v_mov_b32_e32 v106, s17
	ds_write_b64 v10, v[36:37] offset:3200
	ds_read2_b64 v[78:81], v106 offset0:11 offset1:12
	v_fma_f64 v[24:25], -v[50:51], v[34:35], v[12:13]
	ds_read2_b64 v[10:13], v56 offset0:13 offset1:14
	ds_read2_b64 v[32:35], v86 offset0:11 offset1:12
	s_waitcnt lgkmcnt(4)
	v_fma_f64 v[24:25], -v[52:53], v[82:83], v[24:25]
	ds_read2_b64 v[56:59], v100 offset0:11 offset1:12
	ds_read2_b64 v[86:89], v86 offset0:13 offset1:14
	v_fma_f64 v[24:25], -v[54:55], v[60:61], v[24:25]
	v_fma_f64 v[6:7], -v[50:51], v[62:63], v[6:7]
	s_waitcnt lgkmcnt(2)
	v_fma_f64 v[24:25], -v[38:39], v[32:33], v[24:25]
	v_fma_f64 v[24:25], -v[22:23], v[30:31], v[24:25]
	s_waitcnt lgkmcnt(1)
	v_fma_f64 v[24:25], -v[40:41], v[56:57], v[24:25]
	ds_read_b128 v[60:63], v102 offset:96
	s_or_b32 s17, s12, 11
	v_fma_f64 v[18:19], -v[90:91], v[18:19], v[24:25]
	v_fma_f64 v[18:19], -v[94:95], v[68:69], v[18:19]
	s_add_i32 s18, s12, s19
	s_mul_i32 s19, s17, 0xa8
	v_fma_f64 v[6:7], -v[52:53], v[84:85], v[6:7]
	v_fma_f64 v[18:19], -v[96:97], v[26:27], v[18:19]
	v_mov_b32_e32 v24, s19
	v_fma_f64 v[6:7], -v[54:55], v[70:71], v[6:7]
	ds_read2_b64 v[28:31], v100 offset0:13 offset1:14
	ds_read2_b64 v[24:27], v24 offset1:1
	v_fma_f64 v[18:19], -v[98:99], v[78:79], v[18:19]
	v_fma_f64 v[6:7], -v[38:39], v[34:35], v[6:7]
	;; [unrolled: 1-line block ×3, first 2 shown]
	ds_read_b128 v[32:35], v102 offset:112
	s_waitcnt lgkmcnt(3)
	v_fma_f64 v[6:7], -v[22:23], v[60:61], v[6:7]
	ds_read_b128 v[74:77], v104 offset:96
	v_fma_f64 v[6:7], -v[40:41], v[58:59], v[6:7]
	ds_read_b128 v[56:59], v105 offset:96
	ds_read_b128 v[82:85], v105 offset:112
	s_lshl_b32 s18, s18, 3
	s_mul_i32 s17, s17, 20
	v_mov_b32_e32 v107, s18
	s_waitcnt lgkmcnt(4)
	v_mul_f64 v[100:101], v[24:25], v[18:19]
	v_add_lshl_u32 v18, s17, v0, 3
	v_fma_f64 v[6:7], -v[90:91], v[20:21], v[6:7]
	ds_read_b128 v[66:69], v107 offset:96
	ds_write_b64 v18, v[100:101] offset:3200
	ds_read_b128 v[18:21], v104 offset:112
	s_waitcnt lgkmcnt(5)
	v_fma_f64 v[6:7], -v[94:95], v[74:75], v[6:7]
	s_waitcnt lgkmcnt(4)
	v_fma_f64 v[6:7], -v[96:97], v[56:57], v[6:7]
	v_fma_f64 v[6:7], -v[98:99], v[80:81], v[6:7]
	ds_read_b128 v[78:81], v1 offset:2016
	s_waitcnt lgkmcnt(3)
	v_fma_f64 v[6:7], -v[36:37], v[66:67], v[6:7]
	v_fma_f64 v[6:7], -v[100:101], v[26:27], v[6:7]
	ds_read_b128 v[24:27], v1 offset:2352
	s_add_i32 s17, s12, s17
	s_waitcnt lgkmcnt(1)
	v_mul_f64 v[74:75], v[78:79], v[6:7]
	v_fma_f64 v[6:7], -v[50:51], v[64:65], v[8:9]
	v_fma_f64 v[6:7], -v[52:53], v[10:11], v[6:7]
	;; [unrolled: 1-line block ×3, first 2 shown]
	ds_read2_b64 v[6:9], v103 offset0:13 offset1:14
	v_fma_f64 v[10:11], -v[38:39], v[86:87], v[10:11]
	v_fma_f64 v[10:11], -v[22:23], v[62:63], v[10:11]
	s_add_i32 s18, s16, 0xf0
	v_fma_f64 v[10:11], -v[40:41], v[28:29], v[10:11]
	ds_read_b64 v[28:29], v103 offset:120
	ds_read2_b64 v[60:63], v106 offset0:13 offset1:14
	s_lshl_b32 s17, s17, 3
	v_add_lshl_u32 v1, s18, v0, 3
	s_waitcnt lgkmcnt(2)
	v_fma_f64 v[6:7], -v[90:91], v[6:7], v[10:11]
	ds_write_b64 v1, v[74:75] offset:3200
	v_fma_f64 v[6:7], -v[94:95], v[76:77], v[6:7]
	v_mov_b32_e32 v1, s17
	v_fma_f64 v[6:7], -v[96:97], v[58:59], v[6:7]
	ds_read2_b64 v[56:59], v1 offset0:13 offset1:14
	ds_read_b64 v[10:11], v106 offset:120
	s_waitcnt lgkmcnt(3)
	v_fma_f64 v[6:7], -v[98:99], v[60:61], v[6:7]
	v_fma_f64 v[6:7], -v[36:37], v[68:69], v[6:7]
	s_addk_i32 s9, 0x888
	s_waitcnt lgkmcnt(1)
	v_fma_f64 v[6:7], -v[100:101], v[56:57], v[6:7]
	v_mov_b32_e32 v56, s9
	ds_read2_b64 v[68:71], v56 offset1:1
	v_fma_f64 v[2:3], -v[50:51], v[14:15], v[2:3]
	v_fma_f64 v[2:3], -v[52:53], v[12:13], v[2:3]
	;; [unrolled: 1-line block ×3, first 2 shown]
	s_add_i32 s17, s12, s18
	v_fma_f64 v[2:3], -v[38:39], v[88:89], v[2:3]
	s_lshl_b32 s9, s17, 3
	v_fma_f64 v[6:7], -v[74:75], v[80:81], v[6:7]
	s_add_i32 s17, s16, 0x104
	v_fma_f64 v[2:3], -v[22:23], v[32:33], v[2:3]
	ds_read_b128 v[64:67], v107 offset:112
	ds_read_b64 v[56:57], v1 offset:120
	s_waitcnt lgkmcnt(2)
	v_mul_f64 v[60:61], v[68:69], v[6:7]
	v_add_lshl_u32 v1, s17, v0, 3
	v_fma_f64 v[2:3], -v[40:41], v[30:31], v[2:3]
	ds_write_b64 v1, v[60:61] offset:3200
	v_fma_f64 v[2:3], -v[90:91], v[8:9], v[2:3]
	v_mov_b32_e32 v1, s9
	ds_read_b128 v[6:9], v1 offset:112
	v_fma_f64 v[4:5], -v[50:51], v[16:17], v[4:5]
	v_fma_f64 v[2:3], -v[94:95], v[18:19], v[2:3]
	;; [unrolled: 1-line block ×7, first 2 shown]
	s_waitcnt lgkmcnt(3)
	v_fma_f64 v[2:3], -v[36:37], v[64:65], v[2:3]
	v_fma_f64 v[4:5], -v[22:23], v[34:35], v[4:5]
	;; [unrolled: 1-line block ×3, first 2 shown]
	s_add_i32 s9, s12, s17
	v_fma_f64 v[4:5], -v[40:41], v[92:93], v[4:5]
	s_lshl_b32 s9, s9, 3
	s_waitcnt lgkmcnt(0)
	v_fma_f64 v[2:3], -v[74:75], v[6:7], v[2:3]
	v_fma_f64 v[4:5], -v[90:91], v[28:29], v[4:5]
	v_mov_b32_e32 v1, s9
	v_fma_f64 v[2:3], -v[60:61], v[70:71], v[2:3]
	s_addk_i32 s16, 0x118
	v_fma_f64 v[4:5], -v[94:95], v[20:21], v[4:5]
	ds_read_b64 v[12:13], v1 offset:120
	v_mul_f64 v[2:3], v[24:25], v[2:3]
	v_add_lshl_u32 v1, s16, v0, 3
	v_fma_f64 v[4:5], -v[96:97], v[84:85], v[4:5]
	s_mul_i32 s9, s13, 0xa8
	ds_write_b64 v1, v[2:3] offset:3200
	v_fma_f64 v[4:5], -v[98:99], v[10:11], v[4:5]
	v_mov_b32_e32 v1, s9
	v_fma_f64 v[4:5], -v[36:37], v[66:67], v[4:5]
	ds_read_b64 v[6:7], v1
	v_fma_f64 v[4:5], -v[100:101], v[56:57], v[4:5]
	v_fma_f64 v[4:5], -v[74:75], v[8:9], v[4:5]
	s_waitcnt lgkmcnt(2)
	v_fma_f64 v[4:5], -v[60:61], v[12:13], v[4:5]
	s_add_i32 s8, s12, 16
	v_fma_f64 v[2:3], -v[2:3], v[26:27], v[4:5]
	s_mul_i32 s13, s13, 20
	s_waitcnt lgkmcnt(0)
	v_mul_f64 v[2:3], v[6:7], v[2:3]
	v_add_lshl_u32 v1, s13, v0, 3
	s_mov_b32 s12, s8
	ds_write_b64 v1, v[2:3] offset:3200
.LBB89_54:
	s_cmp_ge_i32 s12, s30
	s_cbranch_scc1 .LBB89_65
; %bb.55:
	v_mov_b32_e32 v1, 0xc80
	s_add_i32 s8, s12, -1
	s_lshl_b32 s9, s12, 3
	v_lshl_add_u32 v1, v0, 3, v1
	s_mov_b32 s13, 0
	s_mov_b32 s16, s12
	s_branch .LBB89_57
.LBB89_56:                              ;   in Loop: Header=BB89_57 Depth=1
	s_mul_i32 s17, s12, 0xa8
	v_mov_b32_e32 v5, s17
	ds_read_b64 v[6:7], v5
	s_add_i32 s12, s12, 1
	s_add_i32 s13, s13, 1
	;; [unrolled: 1-line block ×3, first 2 shown]
	v_add_u16_e64 v5, s16, 1
	v_add_u32_e32 v4, 0xc80, v4
	s_waitcnt lgkmcnt(0)
	v_mul_f64 v[2:3], v[6:7], v[2:3]
	s_cmp_ge_i32 s12, s30
	v_readfirstlane_b32 s16, v5
	ds_write_b64 v4, v[2:3]
	s_cbranch_scc1 .LBB89_65
.LBB89_57:                              ; =>This Loop Header: Depth=1
                                        ;     Child Loop BB89_60 Depth 2
                                        ;     Child Loop BB89_64 Depth 2
	s_mul_i32 s17, s12, 20
	v_add_lshl_u32 v4, s17, v0, 3
	ds_read_b64 v[2:3], v4 offset:3200
	s_cmp_eq_u32 s12, 0
	s_cbranch_scc1 .LBB89_56
; %bb.58:                               ;   in Loop: Header=BB89_57 Depth=1
	s_add_i32 s17, s8, s13
	s_cmp_lt_u32 s17, 7
	s_cbranch_scc1 .LBB89_62
; %bb.59:                               ;   in Loop: Header=BB89_57 Depth=1
	s_and_b32 s17, s12, -8
	s_mov_b32 s18, 0
	v_mov_b32_e32 v5, v1
	s_mov_b32 s19, s9
.LBB89_60:                              ;   Parent Loop BB89_57 Depth=1
                                        ; =>  This Inner Loop Header: Depth=2
	ds_read2_b64 v[6:9], v5 offset1:20
	v_mov_b32_e32 v34, s19
	ds_read2_b64 v[10:13], v5 offset0:40 offset1:60
	ds_read2_b64 v[14:17], v5 offset0:80 offset1:100
	;; [unrolled: 1-line block ×3, first 2 shown]
	ds_read2_b64 v[22:25], v34 offset1:20
	ds_read2_b64 v[26:29], v34 offset0:40 offset1:60
	ds_read2_b64 v[30:33], v34 offset0:80 offset1:100
	;; [unrolled: 1-line block ×3, first 2 shown]
	s_add_i32 s18, s18, 8
	s_waitcnt lgkmcnt(3)
	v_fma_f64 v[2:3], -v[6:7], v[22:23], v[2:3]
	v_fma_f64 v[2:3], -v[8:9], v[24:25], v[2:3]
	s_waitcnt lgkmcnt(2)
	v_fma_f64 v[2:3], -v[10:11], v[26:27], v[2:3]
	v_fma_f64 v[2:3], -v[12:13], v[28:29], v[2:3]
	;; [unrolled: 3-line block ×3, first 2 shown]
	s_addk_i32 s19, 0x500
	s_waitcnt lgkmcnt(0)
	v_fma_f64 v[2:3], -v[18:19], v[34:35], v[2:3]
	v_add_u32_e32 v5, 0x500, v5
	s_cmp_lg_u32 s17, s18
	v_fma_f64 v[2:3], -v[20:21], v[36:37], v[2:3]
	s_cbranch_scc1 .LBB89_60
; %bb.61:                               ;   in Loop: Header=BB89_57 Depth=1
	s_and_b32 s18, s12, 7
	s_cmp_eq_u32 s18, 0
	s_cbranch_scc0 .LBB89_63
	s_branch .LBB89_56
.LBB89_62:                              ;   in Loop: Header=BB89_57 Depth=1
	s_mov_b32 s17, 0
	s_and_b32 s18, s12, 7
	s_cmp_eq_u32 s18, 0
	s_cbranch_scc1 .LBB89_56
.LBB89_63:                              ;   in Loop: Header=BB89_57 Depth=1
	s_and_b32 s18, s16, 7
	s_mulk_i32 s17, 0xa0
.LBB89_64:                              ;   Parent Loop BB89_57 Depth=1
                                        ; =>  This Inner Loop Header: Depth=2
	v_add_u32_e32 v5, s17, v1
	s_add_i32 s19, s9, s17
	ds_read_b64 v[6:7], v5
	v_mov_b32_e32 v5, s19
	ds_read_b64 v[8:9], v5
	s_addk_i32 s17, 0xa0
	s_add_i32 s18, s18, -1
	s_cmp_lg_u32 s18, 0
	s_waitcnt lgkmcnt(0)
	v_fma_f64 v[2:3], -v[6:7], v[8:9], v[2:3]
	s_cbranch_scc1 .LBB89_64
	s_branch .LBB89_56
.LBB89_65:
	s_waitcnt lgkmcnt(0)
	; wave barrier
	s_waitcnt lgkmcnt(0)
	s_and_saveexec_b64 s[8:9], s[14:15]
	s_cbranch_execz .LBB89_72
; %bb.66:
	s_cmp_lt_i32 s10, 8
	s_mov_b32 s8, 0
	s_cbranch_scc1 .LBB89_69
; %bb.67:
	v_mad_i64_i32 v[2:3], s[8:9], s22, v0, 0
	v_lshlrev_b64 v[2:3], 3, v[2:3]
	v_mov_b32_e32 v4, s24
	v_add_co_u32_e32 v1, vcc, s11, v2
	v_addc_co_u32_e32 v2, vcc, v4, v3, vcc
	v_mov_b32_e32 v3, 0xc80
	s_lshl_b32 s8, s30, 3
	v_lshl_add_u32 v3, v0, 3, v3
	s_and_b32 s9, s8, 0xc0
	s_mov_b32 s8, 0
	s_mov_b64 s[10:11], 0
.LBB89_68:                              ; =>This Inner Loop Header: Depth=1
	ds_read2_b64 v[4:7], v3 offset1:20
	ds_read2_b64 v[8:11], v3 offset0:40 offset1:60
	ds_read2_b64 v[12:15], v3 offset0:80 offset1:100
	;; [unrolled: 1-line block ×3, first 2 shown]
	s_add_i32 s8, s8, 8
	v_add_co_u32_e32 v20, vcc, s10, v1
	s_add_u32 s10, s10, 64
	v_mov_b32_e32 v21, s11
	s_addc_u32 s11, s11, 0
	v_add_u32_e32 v3, 0x500, v3
	v_addc_co_u32_e32 v21, vcc, v2, v21, vcc
	s_cmp_lg_u32 s9, s10
	s_waitcnt lgkmcnt(3)
	global_store_dwordx4 v[20:21], v[4:7], off
	s_waitcnt lgkmcnt(2)
	global_store_dwordx4 v[20:21], v[8:11], off offset:16
	s_waitcnt lgkmcnt(1)
	global_store_dwordx4 v[20:21], v[12:15], off offset:32
	;; [unrolled: 2-line block ×3, first 2 shown]
	s_cbranch_scc1 .LBB89_68
.LBB89_69:
	s_and_b32 s10, s30, 7
	s_cmp_eq_u32 s10, 0
	s_mov_b32 s9, 0
	s_cbranch_scc1 .LBB89_72
; %bb.70:
	s_lshl_b64 s[6:7], s[6:7], 3
	v_lshlrev_b32_e32 v1, 3, v0
	v_mov_b32_e32 v2, s7
	v_add_co_u32_e32 v1, vcc, s6, v1
	s_lshl_b64 s[6:7], s[8:9], 3
	s_add_u32 s2, s2, s6
	s_addc_u32 s3, s3, s7
	s_add_u32 s2, s2, s4
	s_addc_u32 s3, s3, s5
	;; [unrolled: 2-line block ×3, first 2 shown]
	v_addc_co_u32_e32 v4, vcc, 0, v2, vcc
	v_pk_mov_b32 v[2:3], s[0:1], s[0:1] op_sel:[0,1]
	v_mad_u64_u32 v[2:3], s[0:1], v1, s22, v[2:3]
	s_mul_i32 s0, s8, 0xa0
	v_mul_lo_u32 v1, v1, s23
	v_mul_lo_u32 v4, v4, s22
	v_lshl_add_u32 v0, v0, 3, s0
	v_add3_u32 v3, v4, v3, v1
	v_add_u32_e32 v0, 0xc80, v0
.LBB89_71:                              ; =>This Inner Loop Header: Depth=1
	ds_read_b64 v[4:5], v0
	s_add_i32 s10, s10, -1
	v_add_u32_e32 v0, 0xa0, v0
	s_cmp_lg_u32 s10, 0
	s_waitcnt lgkmcnt(0)
	global_store_dwordx2 v[2:3], v[4:5], off
	v_add_co_u32_e32 v2, vcc, 8, v2
	v_addc_co_u32_e32 v3, vcc, 0, v3, vcc
	s_cbranch_scc1 .LBB89_71
.LBB89_72:
	s_endpgm
	.section	.rodata,"a",@progbits
	.p2align	6, 0x0
	.amdhsa_kernel _ZL38rocblas_trsm_small_left_device_sharedBILi20ELi20ELb1EddPKdPdEv13rocblas_fill_18rocblas_operation_17rocblas_diagonal_iiT3_T4_lilT5_lili
		.amdhsa_group_segment_fixed_size 6400
		.amdhsa_private_segment_fixed_size 0
		.amdhsa_kernarg_size 360
		.amdhsa_user_sgpr_count 6
		.amdhsa_user_sgpr_private_segment_buffer 1
		.amdhsa_user_sgpr_dispatch_ptr 0
		.amdhsa_user_sgpr_queue_ptr 0
		.amdhsa_user_sgpr_kernarg_segment_ptr 1
		.amdhsa_user_sgpr_dispatch_id 0
		.amdhsa_user_sgpr_flat_scratch_init 0
		.amdhsa_user_sgpr_kernarg_preload_length 0
		.amdhsa_user_sgpr_kernarg_preload_offset 0
		.amdhsa_user_sgpr_private_segment_size 0
		.amdhsa_uses_dynamic_stack 0
		.amdhsa_system_sgpr_private_segment_wavefront_offset 0
		.amdhsa_system_sgpr_workgroup_id_x 1
		.amdhsa_system_sgpr_workgroup_id_y 0
		.amdhsa_system_sgpr_workgroup_id_z 1
		.amdhsa_system_sgpr_workgroup_info 0
		.amdhsa_system_vgpr_workitem_id 0
		.amdhsa_next_free_vgpr 142
		.amdhsa_next_free_sgpr 39
		.amdhsa_accum_offset 144
		.amdhsa_reserve_vcc 1
		.amdhsa_reserve_flat_scratch 0
		.amdhsa_float_round_mode_32 0
		.amdhsa_float_round_mode_16_64 0
		.amdhsa_float_denorm_mode_32 3
		.amdhsa_float_denorm_mode_16_64 3
		.amdhsa_dx10_clamp 1
		.amdhsa_ieee_mode 1
		.amdhsa_fp16_overflow 0
		.amdhsa_tg_split 0
		.amdhsa_exception_fp_ieee_invalid_op 0
		.amdhsa_exception_fp_denorm_src 0
		.amdhsa_exception_fp_ieee_div_zero 0
		.amdhsa_exception_fp_ieee_overflow 0
		.amdhsa_exception_fp_ieee_underflow 0
		.amdhsa_exception_fp_ieee_inexact 0
		.amdhsa_exception_int_div_zero 0
	.end_amdhsa_kernel
	.section	.text._ZL38rocblas_trsm_small_left_device_sharedBILi20ELi20ELb1EddPKdPdEv13rocblas_fill_18rocblas_operation_17rocblas_diagonal_iiT3_T4_lilT5_lili,"axG",@progbits,_ZL38rocblas_trsm_small_left_device_sharedBILi20ELi20ELb1EddPKdPdEv13rocblas_fill_18rocblas_operation_17rocblas_diagonal_iiT3_T4_lilT5_lili,comdat
.Lfunc_end89:
	.size	_ZL38rocblas_trsm_small_left_device_sharedBILi20ELi20ELb1EddPKdPdEv13rocblas_fill_18rocblas_operation_17rocblas_diagonal_iiT3_T4_lilT5_lili, .Lfunc_end89-_ZL38rocblas_trsm_small_left_device_sharedBILi20ELi20ELb1EddPKdPdEv13rocblas_fill_18rocblas_operation_17rocblas_diagonal_iiT3_T4_lilT5_lili
                                        ; -- End function
	.section	.AMDGPU.csdata,"",@progbits
; Kernel info:
; codeLenInByte = 17572
; NumSgprs: 43
; NumVgprs: 142
; NumAgprs: 0
; TotalNumVgprs: 142
; ScratchSize: 0
; MemoryBound: 0
; FloatMode: 240
; IeeeMode: 1
; LDSByteSize: 6400 bytes/workgroup (compile time only)
; SGPRBlocks: 5
; VGPRBlocks: 17
; NumSGPRsForWavesPerEU: 43
; NumVGPRsForWavesPerEU: 142
; AccumOffset: 144
; Occupancy: 3
; WaveLimiterHint : 0
; COMPUTE_PGM_RSRC2:SCRATCH_EN: 0
; COMPUTE_PGM_RSRC2:USER_SGPR: 6
; COMPUTE_PGM_RSRC2:TRAP_HANDLER: 0
; COMPUTE_PGM_RSRC2:TGID_X_EN: 1
; COMPUTE_PGM_RSRC2:TGID_Y_EN: 0
; COMPUTE_PGM_RSRC2:TGID_Z_EN: 1
; COMPUTE_PGM_RSRC2:TIDIG_COMP_CNT: 0
; COMPUTE_PGM_RSRC3_GFX90A:ACCUM_OFFSET: 35
; COMPUTE_PGM_RSRC3_GFX90A:TG_SPLIT: 0
	.section	.text._ZL30rocblas_trsm_small_left_deviceILi20ELi20ELb1EddPKdPdEv13rocblas_fill_18rocblas_operation_17rocblas_diagonal_iiT3_T4_lilT5_lili,"axG",@progbits,_ZL30rocblas_trsm_small_left_deviceILi20ELi20ELb1EddPKdPdEv13rocblas_fill_18rocblas_operation_17rocblas_diagonal_iiT3_T4_lilT5_lili,comdat
	.globl	_ZL30rocblas_trsm_small_left_deviceILi20ELi20ELb1EddPKdPdEv13rocblas_fill_18rocblas_operation_17rocblas_diagonal_iiT3_T4_lilT5_lili ; -- Begin function _ZL30rocblas_trsm_small_left_deviceILi20ELi20ELb1EddPKdPdEv13rocblas_fill_18rocblas_operation_17rocblas_diagonal_iiT3_T4_lilT5_lili
	.p2align	8
	.type	_ZL30rocblas_trsm_small_left_deviceILi20ELi20ELb1EddPKdPdEv13rocblas_fill_18rocblas_operation_17rocblas_diagonal_iiT3_T4_lilT5_lili,@function
_ZL30rocblas_trsm_small_left_deviceILi20ELi20ELb1EddPKdPdEv13rocblas_fill_18rocblas_operation_17rocblas_diagonal_iiT3_T4_lilT5_lili: ; @_ZL30rocblas_trsm_small_left_deviceILi20ELi20ELb1EddPKdPdEv13rocblas_fill_18rocblas_operation_17rocblas_diagonal_iiT3_T4_lilT5_lili
; %bb.0:
	s_load_dwordx4 s[12:15], s[4:5], 0x4
	s_load_dwordx4 s[0:3], s[4:5], 0x18
	s_load_dwordx2 s[24:25], s[4:5], 0x28
	s_load_dwordx4 s[8:11], s[4:5], 0x38
	s_load_dwordx2 s[20:21], s[4:5], 0x48
	s_waitcnt lgkmcnt(0)
	s_min_i32 s16, s14, 20
	s_mov_b32 s17, 0
	s_add_i32 s18, s16, -1
	v_cmp_gt_i32_e32 vcc, s16, v0
	s_and_saveexec_b64 s[22:23], vcc
	s_cbranch_execz .LBB90_10
; %bb.1:
	s_load_dword s26, s[4:5], 0x30
	s_mul_i32 s9, s7, s9
	s_mul_hi_u32 s19, s7, s8
	s_add_i32 s9, s19, s9
	s_mul_i32 s8, s7, s8
	s_waitcnt lgkmcnt(0)
	s_ashr_i32 s27, s26, 31
	s_cmp_lt_u32 s18, 3
	v_lshlrev_b32_e32 v1, 3, v0
	s_cbranch_scc1 .LBB90_4
; %bb.2:
	s_lshl_b64 s[28:29], s[8:9], 3
	s_add_u32 s17, s2, s28
	s_addc_u32 s19, s3, s29
	s_lshl_b64 s[28:29], s[24:25], 3
	s_add_u32 s17, s17, s28
	s_addc_u32 s19, s19, s29
	v_mov_b32_e32 v3, s19
	v_add_co_u32_e32 v2, vcc, s17, v1
	s_mul_hi_i32 s36, s26, 24
	s_lshl_b64 s[28:29], s[26:27], 5
	s_lshl_b64 s[30:31], s[26:27], 4
	;; [unrolled: 1-line block ×3, first 2 shown]
	v_addc_co_u32_e32 v3, vcc, 0, v3, vcc
	s_and_b32 s17, s16, -4
	s_mul_i32 s19, s26, 24
	s_mov_b32 s33, 0
	v_mov_b32_e32 v4, s35
	v_mov_b32_e32 v5, s31
	;; [unrolled: 1-line block ×5, first 2 shown]
.LBB90_3:                               ; =>This Inner Loop Header: Depth=1
	v_add_co_u32_e32 v12, vcc, s34, v2
	v_addc_co_u32_e32 v13, vcc, v3, v4, vcc
	v_add_co_u32_e32 v14, vcc, s30, v2
	v_addc_co_u32_e32 v15, vcc, v3, v5, vcc
	v_add_co_u32_e32 v16, vcc, s19, v2
	global_load_dwordx2 v[10:11], v[2:3], off
	v_addc_co_u32_e32 v17, vcc, v3, v6, vcc
	global_load_dwordx2 v[18:19], v[12:13], off
	global_load_dwordx2 v[20:21], v[14:15], off
	;; [unrolled: 1-line block ×3, first 2 shown]
	s_add_i32 s33, s33, 4
	v_add_co_u32_e32 v2, vcc, s28, v2
	v_addc_co_u32_e32 v3, vcc, v3, v7, vcc
	s_cmp_eq_u32 s17, s33
	s_waitcnt vmcnt(2)
	ds_write2_b64 v8, v[10:11], v[18:19] offset1:20
	s_waitcnt vmcnt(0)
	ds_write2_b64 v8, v[20:21], v[22:23] offset0:40 offset1:60
	v_add_u32_e32 v8, 0x280, v8
	s_cbranch_scc0 .LBB90_3
.LBB90_4:
	s_and_b32 s19, s16, 3
	s_cmp_eq_u32 s19, 0
	s_cbranch_scc1 .LBB90_7
; %bb.5:
	s_mul_i32 s28, s17, 0xa0
	v_lshl_add_u32 v4, v0, 3, s28
	s_mul_i32 s28, s27, s17
	s_mul_hi_u32 s29, s26, s17
	s_add_i32 s29, s29, s28
	s_mul_i32 s28, s26, s17
	s_lshl_b64 s[8:9], s[8:9], 3
	s_lshl_b64 s[28:29], s[28:29], 3
	s_add_u32 s17, s8, s28
	s_addc_u32 s28, s9, s29
	s_lshl_b64 s[8:9], s[24:25], 3
	s_add_u32 s8, s17, s8
	s_addc_u32 s9, s28, s9
	s_add_u32 s2, s2, s8
	s_addc_u32 s3, s3, s9
	v_mov_b32_e32 v3, s3
	v_add_co_u32_e32 v2, vcc, s2, v1
	s_lshl_b64 s[2:3], s[26:27], 3
	v_addc_co_u32_e32 v3, vcc, 0, v3, vcc
	v_mov_b32_e32 v1, s3
.LBB90_6:                               ; =>This Inner Loop Header: Depth=1
	global_load_dwordx2 v[6:7], v[2:3], off
	v_add_co_u32_e32 v2, vcc, s2, v2
	s_add_i32 s19, s19, -1
	v_addc_co_u32_e32 v3, vcc, v3, v1, vcc
	s_cmp_lg_u32 s19, 0
	s_waitcnt vmcnt(0)
	ds_write_b64 v4, v[6:7]
	v_add_u32_e32 v4, 0xa0, v4
	s_cbranch_scc1 .LBB90_6
.LBB90_7:
	v_mul_u32_u24_e32 v1, 21, v0
	v_mov_b32_e32 v2, 0
	s_cmpk_lg_i32 s13, 0x84
	v_lshlrev_b32_e32 v1, 3, v1
	v_mov_b32_e32 v3, 0x3ff00000
	s_cbranch_scc0 .LBB90_9
; %bb.8:
	ds_read_b64 v[2:3], v1
	s_waitcnt lgkmcnt(0)
	v_div_scale_f64 v[4:5], s[2:3], v[2:3], v[2:3], 1.0
	v_rcp_f64_e32 v[6:7], v[4:5]
	v_div_scale_f64 v[8:9], vcc, 1.0, v[2:3], 1.0
	v_fma_f64 v[10:11], -v[4:5], v[6:7], 1.0
	v_fmac_f64_e32 v[6:7], v[6:7], v[10:11]
	v_fma_f64 v[10:11], -v[4:5], v[6:7], 1.0
	v_fmac_f64_e32 v[6:7], v[6:7], v[10:11]
	v_mul_f64 v[10:11], v[8:9], v[6:7]
	v_fma_f64 v[4:5], -v[4:5], v[10:11], v[8:9]
	v_div_fmas_f64 v[4:5], v[4:5], v[6:7], v[10:11]
	v_div_fixup_f64 v[2:3], v[4:5], v[2:3], 1.0
.LBB90_9:
	ds_write_b64 v1, v[2:3]
.LBB90_10:
	s_or_b64 exec, exec, s[22:23]
	s_load_dword s2, s[4:5], 0x68
	s_mul_i32 s3, s6, 0xffffffec
	s_add_i32 s3, s3, s15
	s_waitcnt lgkmcnt(0)
	; wave barrier
	s_waitcnt lgkmcnt(0)
	s_add_i32 s2, s2, -1
	s_cmp_ge_u32 s6, s2
	s_cselect_b32 s2, s3, 20
	v_cmp_gt_i32_e32 vcc, s2, v0
	s_and_saveexec_b64 s[2:3], vcc
	s_cbranch_execz .LBB90_57
; %bb.11:
	s_load_dwordx2 s[2:3], s[4:5], 0x58
	s_load_dword s8, s[4:5], 0x50
	s_waitcnt lgkmcnt(0)
	s_mul_i32 s3, s7, s3
	s_mul_hi_u32 s4, s7, s2
	s_mul_i32 s2, s7, s2
	s_add_i32 s3, s4, s3
	s_lshl_b64 s[2:3], s[2:3], 3
	s_add_u32 s7, s10, s2
	s_addc_u32 s9, s11, s3
	s_lshl_b64 s[4:5], s[20:21], 3
	s_add_u32 s13, s7, s4
	v_mad_u64_u32 v[0:1], s[6:7], s6, 20, v[0:1]
	v_mad_i64_i32 v[0:1], s[6:7], s8, v0, 0
	s_addc_u32 s9, s9, s5
	v_lshlrev_b64 v[74:75], 3, v[0:1]
	v_mov_b32_e32 v0, s9
	v_add_co_u32_e32 v72, vcc, s13, v74
	v_addc_co_u32_e32 v73, vcc, v0, v75, vcc
	s_cmpk_eq_i32 s12, 0x6f
	s_mov_b64 s[6:7], -1
	s_cbranch_scc1 .LBB90_34
; %bb.12:
	s_cmp_gt_i32 s14, 19
	s_mov_b32 s6, s18
	s_cbranch_scc0 .LBB90_14
; %bb.13:
	s_ashr_i32 s19, s18, 31
	s_lshl_b64 s[6:7], s[18:19], 3
	v_mov_b32_e32 v0, s7
	v_add_co_u32_e32 v12, vcc, s6, v72
	v_addc_co_u32_e32 v13, vcc, v73, v0, vcc
	global_load_dwordx2 v[14:15], v[12:13], off
	s_mov_b32 s17, 0
	s_lshl_b64 s[6:7], s[16:17], 3
	v_mov_b32_e32 v0, s7
	v_add_co_u32_e32 v36, vcc, s6, v72
	v_addc_co_u32_e32 v37, vcc, v73, v0, vcc
	global_load_dwordx2 v[38:39], v[36:37], off offset:-16
	global_load_dwordx4 v[8:11], v[36:37], off offset:-32
	global_load_dwordx4 v[4:7], v[36:37], off offset:-48
	;; [unrolled: 1-line block ×3, first 2 shown]
	s_mul_i32 s7, s18, 0xa8
	s_add_i32 s8, s7, 0xffffff58
	v_mov_b32_e32 v0, s7
	v_mov_b32_e32 v1, s8
	ds_read_b64 v[40:41], v0
	ds_read2_b64 v[46:49], v1 offset1:1
	global_load_dwordx4 v[16:19], v[36:37], off offset:-80
	global_load_dwordx4 v[24:27], v[36:37], off offset:-96
	;; [unrolled: 1-line block ×6, first 2 shown]
	s_mul_i32 s6, s16, 20
	s_ashr_i32 s17, s16, 31
	s_add_i32 s6, s6, s18
	s_add_i32 s12, s7, 0xfffffeb0
	;; [unrolled: 1-line block ×5, first 2 shown]
	s_lshl_b64 s[8:9], s[16:17], 3
	s_lshl_b32 s6, s6, 3
	v_mov_b32_e32 v50, s12
	v_mov_b32_e32 v58, s13
	;; [unrolled: 1-line block ×5, first 2 shown]
	s_add_i32 s9, s6, 0xfffffe20
	s_add_i32 s12, s6, 0xfffffd78
	;; [unrolled: 1-line block ×6, first 2 shown]
	v_add_co_u32_e32 v36, vcc, s8, v72
	v_addc_co_u32_e32 v37, vcc, v73, v51, vcc
	v_mov_b32_e32 v51, s9
	v_mov_b32_e32 v54, s12
	;; [unrolled: 1-line block ×6, first 2 shown]
	ds_read_b64 v[70:71], v51
	ds_read2_b64 v[50:53], v50 offset1:1
	ds_read2_b64 v[54:57], v54 offset1:1
	;; [unrolled: 1-line block ×3, first 2 shown]
	ds_read_b64 v[88:89], v62
	ds_read2_b64 v[62:65], v63 offset1:1
	ds_read2_b64 v[66:69], v66 offset1:1
	;; [unrolled: 1-line block ×5, first 2 shown]
	s_add_i32 s8, s6, 0xfffffba0
	s_waitcnt vmcnt(10)
	v_mul_f64 v[14:15], v[14:15], s[0:1]
	s_waitcnt lgkmcnt(11)
	v_mul_f64 v[40:41], v[40:41], v[14:15]
	global_store_dwordx2 v[12:13], v[40:41], off
	s_waitcnt lgkmcnt(10)
	v_mul_f64 v[12:13], v[40:41], v[48:49]
	s_waitcnt lgkmcnt(9)
	v_mul_f64 v[14:15], v[40:41], v[70:71]
	;; [unrolled: 2-line block ×3, first 2 shown]
	s_waitcnt vmcnt(10)
	v_fma_f64 v[12:13], v[38:39], s[0:1], -v[12:13]
	s_waitcnt vmcnt(9)
	v_fma_f64 v[10:11], v[10:11], s[0:1], -v[14:15]
	v_mul_f64 v[38:39], v[46:47], v[12:13]
	v_fma_f64 v[8:9], v[8:9], s[0:1], -v[48:49]
	v_fma_f64 v[10:11], -v[38:39], v[52:53], v[10:11]
	v_fma_f64 v[8:9], -v[38:39], v[54:55], v[8:9]
	v_mul_f64 v[10:11], v[50:51], v[10:11]
	v_mov_b32_e32 v12, s8
	s_waitcnt lgkmcnt(6)
	v_fma_f64 v[8:9], -v[10:11], v[60:61], v[8:9]
	ds_read_b64 v[46:47], v12
	s_add_i32 s8, s6, 0xfffffb98
	v_mul_f64 v[8:9], v[58:59], v[8:9]
	v_mov_b32_e32 v12, s8
	s_add_i32 s8, s6, 0xfffffb88
	global_store_dwordx2 v[36:37], v[38:39], off offset:-16
	global_store_dwordx4 v[36:37], v[8:11], off offset:-32
	v_mov_b32_e32 v13, s8
	ds_read_b64 v[48:49], v12
	ds_read2_b64 v[12:15], v13 offset1:1
	s_waitcnt lgkmcnt(2)
	v_mul_f64 v[46:47], v[40:41], v[46:47]
	s_waitcnt vmcnt(9)
	v_fma_f64 v[44:45], v[44:45], s[0:1], -v[46:47]
	v_mul_f64 v[56:57], v[40:41], v[88:89]
	s_waitcnt lgkmcnt(1)
	v_fma_f64 v[44:45], -v[38:39], v[48:49], v[44:45]
	s_add_i32 s8, s6, 0xfffffb78
	v_mul_f64 v[70:71], v[40:41], v[78:79]
	v_fma_f64 v[6:7], v[6:7], s[0:1], -v[56:57]
	s_waitcnt lgkmcnt(0)
	v_fma_f64 v[14:15], -v[10:11], v[14:15], v[44:45]
	v_mov_b32_e32 v44, s8
	v_fma_f64 v[6:7], -v[38:39], v[64:65], v[6:7]
	v_fma_f64 v[4:5], v[4:5], s[0:1], -v[70:71]
	ds_read2_b64 v[44:47], v44 offset1:1
	v_fma_f64 v[6:7], -v[10:11], v[62:63], v[6:7]
	v_fma_f64 v[4:5], -v[38:39], v[76:77], v[4:5]
	s_add_i32 s8, s7, 0xfffffc10
	v_fma_f64 v[6:7], -v[8:9], v[68:69], v[6:7]
	v_fma_f64 v[4:5], -v[10:11], v[82:83], v[4:5]
	v_mov_b32_e32 v48, s8
	s_add_i32 s8, s6, 0xfffffb00
	v_mul_f64 v[6:7], v[66:67], v[6:7]
	v_fma_f64 v[4:5], -v[8:9], v[80:81], v[4:5]
	v_mov_b32_e32 v50, s8
	v_fma_f64 v[4:5], -v[6:7], v[86:87], v[4:5]
	ds_read_b64 v[48:49], v48
	ds_read_b64 v[50:51], v50
	v_fma_f64 v[12:13], -v[8:9], v[12:13], v[14:15]
	v_mul_f64 v[4:5], v[84:85], v[4:5]
	s_waitcnt lgkmcnt(2)
	v_fma_f64 v[12:13], -v[6:7], v[46:47], v[12:13]
	s_add_i32 s8, s6, 0xfffffaf0
	v_fma_f64 v[12:13], -v[4:5], v[44:45], v[12:13]
	v_mov_b32_e32 v44, s8
	ds_read2_b64 v[44:47], v44 offset1:1
	s_waitcnt lgkmcnt(2)
	v_mul_f64 v[14:15], v[48:49], v[12:13]
	s_waitcnt lgkmcnt(1)
	v_mul_f64 v[12:13], v[40:41], v[50:51]
	s_add_i32 s8, s6, 0xfffffae0
	v_fma_f64 v[12:13], v[42:43], s[0:1], -v[12:13]
	v_mov_b32_e32 v42, s8
	ds_read2_b64 v[48:51], v42 offset1:1
	s_add_i32 s8, s6, 0xfffffad0
	s_waitcnt lgkmcnt(1)
	v_fma_f64 v[12:13], -v[38:39], v[46:47], v[12:13]
	v_mov_b32_e32 v42, s8
	v_fma_f64 v[12:13], -v[10:11], v[44:45], v[12:13]
	ds_read2_b64 v[42:45], v42 offset1:1
	s_add_i32 s8, s7, 0xfffffb68
	v_mov_b32_e32 v46, s8
	ds_read_b64 v[46:47], v46
	s_waitcnt lgkmcnt(2)
	v_fma_f64 v[12:13], -v[8:9], v[50:51], v[12:13]
	v_fma_f64 v[12:13], -v[6:7], v[48:49], v[12:13]
	s_waitcnt lgkmcnt(1)
	v_fma_f64 v[12:13], -v[4:5], v[44:45], v[12:13]
	s_add_i32 s8, s6, 0xfffffa60
	v_fma_f64 v[12:13], -v[14:15], v[42:43], v[12:13]
	v_mov_b32_e32 v42, s8
	s_waitcnt lgkmcnt(0)
	v_mul_f64 v[12:13], v[46:47], v[12:13]
	ds_read_b64 v[46:47], v42
	s_add_i32 s8, s6, 0xfffffa58
	v_mov_b32_e32 v42, s8
	s_add_i32 s8, s6, 0xfffffa48
	global_store_dwordx4 v[36:37], v[4:7], off offset:-48
	v_mov_b32_e32 v43, s8
	ds_read_b64 v[48:49], v42
	ds_read2_b64 v[42:45], v43 offset1:1
	s_waitcnt lgkmcnt(2)
	v_mul_f64 v[46:47], v[40:41], v[46:47]
	s_waitcnt vmcnt(9)
	v_fma_f64 v[18:19], v[18:19], s[0:1], -v[46:47]
	s_add_i32 s8, s6, 0xfffffa38
	s_waitcnt lgkmcnt(1)
	v_fma_f64 v[18:19], -v[38:39], v[48:49], v[18:19]
	s_waitcnt lgkmcnt(0)
	v_fma_f64 v[18:19], -v[10:11], v[44:45], v[18:19]
	v_fma_f64 v[18:19], -v[8:9], v[42:43], v[18:19]
	v_mov_b32_e32 v42, s8
	s_add_i32 s8, s6, 0xfffffa28
	global_store_dwordx4 v[36:37], v[12:15], off offset:-64
	v_mov_b32_e32 v46, s8
	ds_read2_b64 v[42:45], v42 offset1:1
	ds_read2_b64 v[46:49], v46 offset1:1
	s_add_i32 s8, s7, 0xfffffac0
	v_mov_b32_e32 v50, s8
	ds_read_b64 v[50:51], v50
	s_waitcnt lgkmcnt(2)
	v_fma_f64 v[18:19], -v[6:7], v[44:45], v[18:19]
	v_fma_f64 v[18:19], -v[4:5], v[42:43], v[18:19]
	s_waitcnt lgkmcnt(1)
	v_fma_f64 v[18:19], -v[14:15], v[48:49], v[18:19]
	s_add_i32 s8, s6, 0xfffff9c0
	v_fma_f64 v[18:19], -v[12:13], v[46:47], v[18:19]
	v_mov_b32_e32 v42, s8
	s_waitcnt lgkmcnt(0)
	v_mul_f64 v[18:19], v[50:51], v[18:19]
	ds_read_b64 v[50:51], v42
	s_add_i32 s8, s6, 0xfffff9b0
	v_mov_b32_e32 v42, s8
	ds_read2_b64 v[42:45], v42 offset1:1
	s_add_i32 s8, s6, 0xfffff9a0
	s_waitcnt lgkmcnt(1)
	v_mul_f64 v[50:51], v[40:41], v[50:51]
	v_mov_b32_e32 v46, s8
	ds_read2_b64 v[46:49], v46 offset1:1
	v_fma_f64 v[16:17], v[16:17], s[0:1], -v[50:51]
	s_waitcnt lgkmcnt(1)
	v_fma_f64 v[16:17], -v[38:39], v[44:45], v[16:17]
	s_add_i32 s8, s6, 0xfffff990
	v_fma_f64 v[16:17], -v[10:11], v[42:43], v[16:17]
	v_mov_b32_e32 v42, s8
	ds_read2_b64 v[42:45], v42 offset1:1
	s_waitcnt lgkmcnt(1)
	v_fma_f64 v[16:17], -v[8:9], v[48:49], v[16:17]
	s_add_i32 s8, s6, 0xfffff980
	v_fma_f64 v[16:17], -v[6:7], v[46:47], v[16:17]
	v_mov_b32_e32 v46, s8
	ds_read2_b64 v[46:49], v46 offset1:1
	s_waitcnt lgkmcnt(1)
	v_fma_f64 v[16:17], -v[4:5], v[44:45], v[16:17]
	s_addk_i32 s7, 0xfa18
	v_fma_f64 v[16:17], -v[14:15], v[42:43], v[16:17]
	v_mov_b32_e32 v42, s7
	s_add_i32 s7, s6, 0xfffff920
	v_mov_b32_e32 v44, s7
	ds_read_b64 v[42:43], v42
	ds_read_b64 v[44:45], v44
	s_waitcnt lgkmcnt(2)
	v_fma_f64 v[16:17], -v[12:13], v[48:49], v[16:17]
	v_fma_f64 v[16:17], -v[18:19], v[46:47], v[16:17]
	s_add_i32 s7, s6, 0xfffff918
	s_waitcnt lgkmcnt(1)
	v_mul_f64 v[16:17], v[42:43], v[16:17]
	s_waitcnt lgkmcnt(0)
	v_mul_f64 v[42:43], v[40:41], v[44:45]
	v_mov_b32_e32 v44, s7
	ds_read_b64 v[46:47], v44
	s_add_i32 s7, s6, 0xfffff908
	s_waitcnt vmcnt(9)
	v_fma_f64 v[26:27], v[26:27], s[0:1], -v[42:43]
	v_mov_b32_e32 v42, s7
	ds_read2_b64 v[42:45], v42 offset1:1
	s_add_i32 s7, s6, 0xfffff8f8
	s_waitcnt lgkmcnt(1)
	v_fma_f64 v[26:27], -v[38:39], v[46:47], v[26:27]
	v_mov_b32_e32 v46, s7
	ds_read2_b64 v[46:49], v46 offset1:1
	s_add_i32 s7, s6, 0xfffff8e8
	v_mov_b32_e32 v50, s7
	ds_read2_b64 v[50:53], v50 offset1:1
	s_waitcnt lgkmcnt(2)
	v_fma_f64 v[26:27], -v[10:11], v[44:45], v[26:27]
	s_add_i32 s7, s6, 0xfffff8d8
	v_fma_f64 v[26:27], -v[8:9], v[42:43], v[26:27]
	v_mov_b32_e32 v42, s7
	ds_read2_b64 v[42:45], v42 offset1:1
	s_mul_i32 s7, s16, 0xa8
	s_waitcnt lgkmcnt(2)
	v_fma_f64 v[26:27], -v[6:7], v[48:49], v[26:27]
	s_add_i32 s8, s7, 0xfffff8c8
	v_fma_f64 v[26:27], -v[4:5], v[46:47], v[26:27]
	v_mov_b32_e32 v46, s8
	s_add_i32 s8, s6, 0xfffff878
	global_store_dwordx4 v[36:37], v[16:19], off offset:-80
	v_mov_b32_e32 v47, s8
	s_waitcnt lgkmcnt(1)
	v_fma_f64 v[26:27], -v[14:15], v[52:53], v[26:27]
	ds_read_b64 v[52:53], v46
	ds_read2_b64 v[46:49], v47 offset1:1
	v_fma_f64 v[26:27], -v[12:13], v[50:51], v[26:27]
	s_waitcnt lgkmcnt(2)
	v_fma_f64 v[26:27], -v[18:19], v[44:45], v[26:27]
	v_fma_f64 v[26:27], -v[16:17], v[42:43], v[26:27]
	s_add_i32 s8, s6, 0xfffff868
	s_waitcnt lgkmcnt(0)
	v_mul_f64 v[42:43], v[40:41], v[48:49]
	v_fma_f64 v[24:25], v[24:25], s[0:1], -v[42:43]
	v_mov_b32_e32 v42, s8
	ds_read2_b64 v[42:45], v42 offset1:1
	s_add_i32 s8, s6, 0xfffff858
	v_fma_f64 v[24:25], -v[38:39], v[46:47], v[24:25]
	v_mov_b32_e32 v46, s8
	ds_read2_b64 v[46:49], v46 offset1:1
	s_waitcnt lgkmcnt(1)
	v_fma_f64 v[24:25], -v[10:11], v[44:45], v[24:25]
	s_add_i32 s8, s6, 0xfffff848
	v_fma_f64 v[24:25], -v[8:9], v[42:43], v[24:25]
	v_mov_b32_e32 v42, s8
	ds_read2_b64 v[42:45], v42 offset1:1
	s_add_i32 s8, s6, 0xfffff838
	s_waitcnt lgkmcnt(1)
	v_fma_f64 v[24:25], -v[6:7], v[48:49], v[24:25]
	v_mov_b32_e32 v50, s8
	v_fma_f64 v[24:25], -v[4:5], v[46:47], v[24:25]
	v_mul_f64 v[26:27], v[52:53], v[26:27]
	ds_read2_b64 v[50:53], v50 offset1:1
	s_waitcnt lgkmcnt(1)
	v_fma_f64 v[24:25], -v[14:15], v[44:45], v[24:25]
	s_add_i32 s8, s7, 0xfffff820
	v_fma_f64 v[24:25], -v[12:13], v[42:43], v[24:25]
	v_mov_b32_e32 v42, s8
	ds_read2_b64 v[42:45], v42 offset1:1
	s_waitcnt lgkmcnt(1)
	v_fma_f64 v[24:25], -v[18:19], v[52:53], v[24:25]
	s_add_i32 s8, s6, 0xfffff7e0
	v_fma_f64 v[24:25], -v[16:17], v[50:51], v[24:25]
	v_mov_b32_e32 v46, s8
	ds_read_b64 v[50:51], v46
	s_waitcnt lgkmcnt(1)
	v_fma_f64 v[24:25], -v[26:27], v[44:45], v[24:25]
	s_add_i32 s8, s6, 0xfffff7d0
	v_mul_f64 v[24:25], v[42:43], v[24:25]
	v_mov_b32_e32 v42, s8
	ds_read2_b64 v[42:45], v42 offset1:1
	s_add_i32 s8, s6, 0xfffff7c0
	s_waitcnt lgkmcnt(1)
	v_mul_f64 v[50:51], v[40:41], v[50:51]
	v_mov_b32_e32 v46, s8
	ds_read2_b64 v[46:49], v46 offset1:1
	s_waitcnt vmcnt(9)
	v_fma_f64 v[30:31], v[30:31], s[0:1], -v[50:51]
	s_waitcnt lgkmcnt(1)
	v_fma_f64 v[30:31], -v[38:39], v[44:45], v[30:31]
	s_add_i32 s8, s6, 0xfffff7b0
	v_fma_f64 v[30:31], -v[10:11], v[42:43], v[30:31]
	v_mov_b32_e32 v42, s8
	ds_read2_b64 v[42:45], v42 offset1:1
	s_waitcnt lgkmcnt(1)
	v_fma_f64 v[30:31], -v[8:9], v[48:49], v[30:31]
	s_add_i32 s8, s6, 0xfffff7a0
	v_fma_f64 v[30:31], -v[6:7], v[46:47], v[30:31]
	v_mov_b32_e32 v46, s8
	ds_read2_b64 v[46:49], v46 offset1:1
	;; [unrolled: 6-line block ×3, first 2 shown]
	s_add_i32 s8, s7, 0xfffff778
	s_waitcnt lgkmcnt(1)
	v_fma_f64 v[30:31], -v[12:13], v[48:49], v[30:31]
	v_mov_b32_e32 v50, s8
	ds_read2_b64 v[50:53], v50 offset1:1
	v_fma_f64 v[30:31], -v[18:19], v[46:47], v[30:31]
	s_waitcnt lgkmcnt(1)
	v_fma_f64 v[30:31], -v[16:17], v[44:45], v[30:31]
	s_add_i32 s8, s6, 0xfffff738
	v_fma_f64 v[30:31], -v[26:27], v[42:43], v[30:31]
	v_mov_b32_e32 v42, s8
	ds_read2_b64 v[42:45], v42 offset1:1
	s_add_i32 s8, s6, 0xfffff728
	v_mov_b32_e32 v46, s8
	ds_read2_b64 v[46:49], v46 offset1:1
	s_add_i32 s8, s6, 0xfffff718
	s_waitcnt lgkmcnt(1)
	v_mul_f64 v[44:45], v[40:41], v[44:45]
	v_fma_f64 v[28:29], v[28:29], s[0:1], -v[44:45]
	v_fma_f64 v[28:29], -v[38:39], v[42:43], v[28:29]
	v_mov_b32_e32 v42, s8
	ds_read2_b64 v[42:45], v42 offset1:1
	s_waitcnt lgkmcnt(1)
	v_fma_f64 v[28:29], -v[10:11], v[48:49], v[28:29]
	s_add_i32 s8, s6, 0xfffff708
	v_fma_f64 v[28:29], -v[8:9], v[46:47], v[28:29]
	v_mov_b32_e32 v46, s8
	ds_read2_b64 v[46:49], v46 offset1:1
	s_waitcnt lgkmcnt(1)
	v_fma_f64 v[28:29], -v[6:7], v[44:45], v[28:29]
	s_add_i32 s8, s6, 0xfffff6f8
	v_fma_f64 v[28:29], -v[4:5], v[42:43], v[28:29]
	v_mov_b32_e32 v42, s8
	ds_read2_b64 v[42:45], v42 offset1:1
	v_fma_f64 v[30:31], -v[24:25], v[52:53], v[30:31]
	s_add_i32 s8, s6, 0xfffff6e8
	s_waitcnt lgkmcnt(1)
	v_fma_f64 v[28:29], -v[14:15], v[48:49], v[28:29]
	v_mul_f64 v[30:31], v[50:51], v[30:31]
	v_mov_b32_e32 v50, s8
	ds_read2_b64 v[50:53], v50 offset1:1
	v_fma_f64 v[28:29], -v[12:13], v[46:47], v[28:29]
	s_waitcnt lgkmcnt(1)
	v_fma_f64 v[28:29], -v[18:19], v[44:45], v[28:29]
	s_add_i32 s8, s7, 0xfffff6d0
	v_fma_f64 v[28:29], -v[16:17], v[42:43], v[28:29]
	v_mov_b32_e32 v42, s8
	ds_read2_b64 v[42:45], v42 offset1:1
	s_waitcnt lgkmcnt(1)
	v_fma_f64 v[28:29], -v[26:27], v[52:53], v[28:29]
	s_add_i32 s8, s6, 0xfffff6a0
	v_mov_b32_e32 v46, s8
	ds_read_b64 v[46:47], v46
	v_fma_f64 v[28:29], -v[24:25], v[50:51], v[28:29]
	s_waitcnt lgkmcnt(1)
	v_fma_f64 v[28:29], -v[30:31], v[44:45], v[28:29]
	s_add_i32 s8, s6, 0xfffff690
	v_mul_f64 v[28:29], v[42:43], v[28:29]
	v_mov_b32_e32 v42, s8
	ds_read2_b64 v[42:45], v42 offset1:1
	s_waitcnt lgkmcnt(1)
	v_mul_f64 v[46:47], v[40:41], v[46:47]
	s_add_i32 s8, s6, 0xfffff680
	s_waitcnt vmcnt(8)
	v_fma_f64 v[34:35], v[34:35], s[0:1], -v[46:47]
	v_mov_b32_e32 v46, s8
	ds_read2_b64 v[46:49], v46 offset1:1
	s_waitcnt lgkmcnt(1)
	v_fma_f64 v[34:35], -v[38:39], v[44:45], v[34:35]
	s_add_i32 s8, s6, 0xfffff670
	v_fma_f64 v[34:35], -v[10:11], v[42:43], v[34:35]
	v_mov_b32_e32 v42, s8
	ds_read2_b64 v[42:45], v42 offset1:1
	s_add_i32 s8, s6, 0xfffff660
	s_waitcnt lgkmcnt(1)
	v_fma_f64 v[34:35], -v[8:9], v[48:49], v[34:35]
	v_mov_b32_e32 v50, s8
	ds_read2_b64 v[50:53], v50 offset1:1
	v_fma_f64 v[34:35], -v[6:7], v[46:47], v[34:35]
	s_waitcnt lgkmcnt(1)
	v_fma_f64 v[34:35], -v[4:5], v[44:45], v[34:35]
	s_add_i32 s8, s6, 0xfffff650
	v_fma_f64 v[34:35], -v[14:15], v[42:43], v[34:35]
	v_mov_b32_e32 v42, s8
	ds_read2_b64 v[42:45], v42 offset1:1
	s_waitcnt lgkmcnt(1)
	v_fma_f64 v[34:35], -v[12:13], v[52:53], v[34:35]
	s_add_i32 s8, s6, 0xfffff640
	v_fma_f64 v[34:35], -v[18:19], v[50:51], v[34:35]
	v_mov_b32_e32 v46, s8
	ds_read2_b64 v[46:49], v46 offset1:1
	s_waitcnt lgkmcnt(1)
	v_fma_f64 v[34:35], -v[16:17], v[44:45], v[34:35]
	s_add_i32 s8, s7, 0xfffff628
	v_fma_f64 v[34:35], -v[26:27], v[42:43], v[34:35]
	v_mov_b32_e32 v42, s8
	ds_read2_b64 v[42:45], v42 offset1:1
	s_add_i32 s8, s6, 0xfffff5f8
	v_mov_b32_e32 v50, s8
	ds_read2_b64 v[50:53], v50 offset1:1
	s_waitcnt lgkmcnt(2)
	v_fma_f64 v[34:35], -v[24:25], v[48:49], v[34:35]
	v_fma_f64 v[34:35], -v[30:31], v[46:47], v[34:35]
	s_waitcnt lgkmcnt(1)
	v_fma_f64 v[34:35], -v[28:29], v[44:45], v[34:35]
	s_add_i32 s8, s6, 0xfffff5e8
	v_mul_f64 v[34:35], v[42:43], v[34:35]
	v_mov_b32_e32 v42, s8
	ds_read2_b64 v[42:45], v42 offset1:1
	s_waitcnt lgkmcnt(1)
	v_mul_f64 v[52:53], v[40:41], v[52:53]
	s_add_i32 s8, s6, 0xfffff5d8
	v_fma_f64 v[32:33], v[32:33], s[0:1], -v[52:53]
	v_mov_b32_e32 v46, s8
	ds_read2_b64 v[46:49], v46 offset1:1
	v_fma_f64 v[32:33], -v[38:39], v[50:51], v[32:33]
	s_waitcnt lgkmcnt(1)
	v_fma_f64 v[32:33], -v[10:11], v[44:45], v[32:33]
	s_add_i32 s8, s6, 0xfffff5c8
	v_fma_f64 v[32:33], -v[8:9], v[42:43], v[32:33]
	v_mov_b32_e32 v42, s8
	ds_read2_b64 v[42:45], v42 offset1:1
	s_waitcnt lgkmcnt(1)
	v_fma_f64 v[32:33], -v[6:7], v[48:49], v[32:33]
	s_add_i32 s8, s6, 0xfffff5b8
	v_fma_f64 v[32:33], -v[4:5], v[46:47], v[32:33]
	v_mov_b32_e32 v46, s8
	ds_read2_b64 v[46:49], v46 offset1:1
	;; [unrolled: 6-line block ×3, first 2 shown]
	s_add_i32 s8, s6, 0xfffff598
	s_waitcnt lgkmcnt(1)
	v_fma_f64 v[32:33], -v[18:19], v[48:49], v[32:33]
	v_mov_b32_e32 v50, s8
	ds_read2_b64 v[50:53], v50 offset1:1
	v_fma_f64 v[32:33], -v[16:17], v[46:47], v[32:33]
	s_waitcnt lgkmcnt(1)
	v_fma_f64 v[32:33], -v[26:27], v[44:45], v[32:33]
	s_add_i32 s8, s7, 0xfffff580
	v_fma_f64 v[32:33], -v[24:25], v[42:43], v[32:33]
	v_mov_b32_e32 v42, s8
	ds_read2_b64 v[42:45], v42 offset1:1
	s_waitcnt lgkmcnt(1)
	v_fma_f64 v[32:33], -v[30:31], v[52:53], v[32:33]
	s_add_i32 s8, s6, 0xfffff560
	v_mov_b32_e32 v46, s8
	ds_read_b64 v[46:47], v46
	v_fma_f64 v[32:33], -v[28:29], v[50:51], v[32:33]
	s_waitcnt lgkmcnt(1)
	v_fma_f64 v[32:33], -v[34:35], v[44:45], v[32:33]
	s_add_i32 s8, s6, 0xfffff550
	v_mul_f64 v[32:33], v[42:43], v[32:33]
	v_mov_b32_e32 v42, s8
	ds_read2_b64 v[42:45], v42 offset1:1
	s_waitcnt lgkmcnt(1)
	v_mul_f64 v[46:47], v[40:41], v[46:47]
	s_add_i32 s8, s6, 0xfffff540
	s_waitcnt vmcnt(7)
	v_fma_f64 v[22:23], v[22:23], s[0:1], -v[46:47]
	v_mov_b32_e32 v46, s8
	ds_read2_b64 v[46:49], v46 offset1:1
	s_waitcnt lgkmcnt(1)
	v_fma_f64 v[22:23], -v[38:39], v[44:45], v[22:23]
	s_add_i32 s8, s6, 0xfffff530
	v_fma_f64 v[22:23], -v[10:11], v[42:43], v[22:23]
	v_mov_b32_e32 v42, s8
	ds_read2_b64 v[42:45], v42 offset1:1
	s_add_i32 s8, s6, 0xfffff520
	s_waitcnt lgkmcnt(1)
	v_fma_f64 v[22:23], -v[8:9], v[48:49], v[22:23]
	v_mov_b32_e32 v50, s8
	ds_read2_b64 v[50:53], v50 offset1:1
	v_fma_f64 v[22:23], -v[6:7], v[46:47], v[22:23]
	s_waitcnt lgkmcnt(1)
	v_fma_f64 v[22:23], -v[4:5], v[44:45], v[22:23]
	s_add_i32 s8, s6, 0xfffff510
	v_fma_f64 v[22:23], -v[14:15], v[42:43], v[22:23]
	v_mov_b32_e32 v42, s8
	ds_read2_b64 v[42:45], v42 offset1:1
	s_waitcnt lgkmcnt(1)
	v_fma_f64 v[22:23], -v[12:13], v[52:53], v[22:23]
	s_add_i32 s8, s6, 0xfffff500
	v_fma_f64 v[22:23], -v[18:19], v[50:51], v[22:23]
	v_mov_b32_e32 v46, s8
	ds_read2_b64 v[46:49], v46 offset1:1
	;; [unrolled: 6-line block ×3, first 2 shown]
	s_add_i32 s8, s7, 0xfffff4d8
	s_waitcnt lgkmcnt(1)
	v_fma_f64 v[22:23], -v[24:25], v[48:49], v[22:23]
	v_mov_b32_e32 v50, s8
	ds_read2_b64 v[50:53], v50 offset1:1
	v_fma_f64 v[22:23], -v[30:31], v[46:47], v[22:23]
	s_waitcnt lgkmcnt(1)
	v_fma_f64 v[22:23], -v[28:29], v[44:45], v[22:23]
	s_add_i32 s8, s6, 0xfffff4b8
	v_fma_f64 v[22:23], -v[34:35], v[42:43], v[22:23]
	v_mov_b32_e32 v42, s8
	ds_read2_b64 v[42:45], v42 offset1:1
	s_add_i32 s8, s6, 0xfffff4a8
	v_mov_b32_e32 v46, s8
	ds_read2_b64 v[46:49], v46 offset1:1
	s_add_i32 s8, s6, 0xfffff498
	s_waitcnt lgkmcnt(1)
	v_mul_f64 v[44:45], v[40:41], v[44:45]
	v_fma_f64 v[20:21], v[20:21], s[0:1], -v[44:45]
	v_fma_f64 v[20:21], -v[38:39], v[42:43], v[20:21]
	v_mov_b32_e32 v42, s8
	ds_read2_b64 v[42:45], v42 offset1:1
	v_fma_f64 v[22:23], -v[32:33], v[52:53], v[22:23]
	s_add_i32 s8, s6, 0xfffff488
	s_waitcnt lgkmcnt(1)
	v_fma_f64 v[20:21], -v[10:11], v[48:49], v[20:21]
	v_mul_f64 v[22:23], v[50:51], v[22:23]
	v_mov_b32_e32 v50, s8
	ds_read2_b64 v[50:53], v50 offset1:1
	v_fma_f64 v[20:21], -v[8:9], v[46:47], v[20:21]
	s_waitcnt lgkmcnt(1)
	v_fma_f64 v[20:21], -v[6:7], v[44:45], v[20:21]
	s_add_i32 s8, s6, 0xfffff478
	v_fma_f64 v[20:21], -v[4:5], v[42:43], v[20:21]
	v_mov_b32_e32 v42, s8
	ds_read2_b64 v[42:45], v42 offset1:1
	s_waitcnt lgkmcnt(1)
	v_fma_f64 v[20:21], -v[14:15], v[52:53], v[20:21]
	s_add_i32 s8, s6, 0xfffff468
	v_fma_f64 v[20:21], -v[12:13], v[50:51], v[20:21]
	v_mov_b32_e32 v46, s8
	ds_read2_b64 v[46:49], v46 offset1:1
	;; [unrolled: 6-line block ×3, first 2 shown]
	s_add_i32 s8, s6, 0xfffff448
	s_waitcnt lgkmcnt(1)
	v_fma_f64 v[20:21], -v[26:27], v[48:49], v[20:21]
	v_mov_b32_e32 v50, s8
	ds_read2_b64 v[50:53], v50 offset1:1
	v_fma_f64 v[20:21], -v[24:25], v[46:47], v[20:21]
	s_waitcnt lgkmcnt(1)
	v_fma_f64 v[20:21], -v[30:31], v[44:45], v[20:21]
	s_add_i32 s8, s7, 0xfffff430
	v_fma_f64 v[20:21], -v[28:29], v[42:43], v[20:21]
	v_mov_b32_e32 v42, s8
	ds_read2_b64 v[42:45], v42 offset1:1
	s_waitcnt lgkmcnt(1)
	v_fma_f64 v[20:21], -v[34:35], v[52:53], v[20:21]
	s_add_i32 s8, s6, 0xfffff420
	v_fma_f64 v[20:21], -v[32:33], v[50:51], v[20:21]
	v_mov_b32_e32 v46, s8
	ds_read_b64 v[50:51], v46
	s_waitcnt lgkmcnt(1)
	v_fma_f64 v[20:21], -v[22:23], v[44:45], v[20:21]
	s_add_i32 s8, s6, 0xfffff410
	v_mul_f64 v[20:21], v[42:43], v[20:21]
	v_mov_b32_e32 v42, s8
	ds_read2_b64 v[42:45], v42 offset1:1
	s_add_i32 s8, s6, 0xfffff400
	s_waitcnt lgkmcnt(1)
	v_mul_f64 v[50:51], v[40:41], v[50:51]
	v_mov_b32_e32 v46, s8
	ds_read2_b64 v[46:49], v46 offset1:1
	s_waitcnt vmcnt(6)
	v_fma_f64 v[2:3], v[2:3], s[0:1], -v[50:51]
	s_waitcnt lgkmcnt(1)
	v_fma_f64 v[2:3], -v[38:39], v[44:45], v[2:3]
	s_add_i32 s8, s6, 0xfffff3f0
	v_fma_f64 v[2:3], -v[10:11], v[42:43], v[2:3]
	v_mov_b32_e32 v42, s8
	ds_read2_b64 v[42:45], v42 offset1:1
	s_waitcnt lgkmcnt(1)
	v_fma_f64 v[2:3], -v[8:9], v[48:49], v[2:3]
	s_add_i32 s8, s6, 0xfffff3e0
	v_fma_f64 v[2:3], -v[6:7], v[46:47], v[2:3]
	v_mov_b32_e32 v46, s8
	ds_read2_b64 v[46:49], v46 offset1:1
	;; [unrolled: 6-line block ×3, first 2 shown]
	s_add_i32 s8, s6, 0xfffff3c0
	s_waitcnt lgkmcnt(1)
	v_fma_f64 v[2:3], -v[12:13], v[48:49], v[2:3]
	v_mov_b32_e32 v50, s8
	ds_read2_b64 v[50:53], v50 offset1:1
	v_fma_f64 v[2:3], -v[18:19], v[46:47], v[2:3]
	s_waitcnt lgkmcnt(1)
	v_fma_f64 v[2:3], -v[16:17], v[44:45], v[2:3]
	s_add_i32 s8, s6, 0xfffff3b0
	v_fma_f64 v[2:3], -v[26:27], v[42:43], v[2:3]
	v_mov_b32_e32 v42, s8
	ds_read2_b64 v[42:45], v42 offset1:1
	s_waitcnt lgkmcnt(1)
	v_fma_f64 v[2:3], -v[24:25], v[52:53], v[2:3]
	s_add_i32 s8, s6, 0xfffff3a0
	v_fma_f64 v[2:3], -v[30:31], v[50:51], v[2:3]
	v_mov_b32_e32 v46, s8
	ds_read2_b64 v[46:49], v46 offset1:1
	s_waitcnt lgkmcnt(1)
	v_fma_f64 v[2:3], -v[28:29], v[44:45], v[2:3]
	s_add_i32 s8, s7, 0xfffff388
	v_fma_f64 v[2:3], -v[34:35], v[42:43], v[2:3]
	v_mov_b32_e32 v42, s8
	s_add_i32 s8, s6, 0xfffff378
	v_mov_b32_e32 v50, s8
	ds_read2_b64 v[42:45], v42 offset1:1
	ds_read2_b64 v[50:53], v50 offset1:1
	s_waitcnt lgkmcnt(2)
	v_fma_f64 v[2:3], -v[32:33], v[48:49], v[2:3]
	v_fma_f64 v[2:3], -v[22:23], v[46:47], v[2:3]
	s_add_i32 s8, s6, 0xfffff368
	s_waitcnt lgkmcnt(1)
	v_fma_f64 v[2:3], -v[20:21], v[44:45], v[2:3]
	s_waitcnt lgkmcnt(0)
	v_mul_f64 v[48:49], v[40:41], v[52:53]
	v_mov_b32_e32 v40, s8
	v_mul_f64 v[2:3], v[42:43], v[2:3]
	s_add_i32 s8, s6, 0xfffff358
	ds_read2_b64 v[40:43], v40 offset1:1
	v_mov_b32_e32 v44, s8
	ds_read2_b64 v[44:47], v44 offset1:1
	v_fma_f64 v[0:1], v[0:1], s[0:1], -v[48:49]
	v_fma_f64 v[0:1], -v[38:39], v[50:51], v[0:1]
	s_waitcnt lgkmcnt(1)
	v_fma_f64 v[0:1], -v[10:11], v[42:43], v[0:1]
	v_fma_f64 v[0:1], -v[8:9], v[40:41], v[0:1]
	s_add_i32 s8, s6, 0xfffff348
	s_waitcnt lgkmcnt(0)
	v_fma_f64 v[0:1], -v[6:7], v[46:47], v[0:1]
	v_mov_b32_e32 v6, s8
	ds_read2_b64 v[6:9], v6 offset1:1
	s_add_i32 s8, s6, 0xfffff338
	v_fma_f64 v[0:1], -v[4:5], v[44:45], v[0:1]
	v_mov_b32_e32 v4, s8
	ds_read2_b64 v[38:41], v4 offset1:1
	s_add_i32 s8, s6, 0xfffff328
	s_waitcnt lgkmcnt(1)
	v_fma_f64 v[0:1], -v[14:15], v[8:9], v[0:1]
	v_mov_b32_e32 v4, s8
	v_fma_f64 v[0:1], -v[12:13], v[6:7], v[0:1]
	s_add_i32 s8, s6, 0xfffff318
	ds_read2_b64 v[4:7], v4 offset1:1
	v_mov_b32_e32 v8, s8
	ds_read2_b64 v[8:11], v8 offset1:1
	s_waitcnt lgkmcnt(2)
	v_fma_f64 v[0:1], -v[18:19], v[40:41], v[0:1]
	v_fma_f64 v[0:1], -v[16:17], v[38:39], v[0:1]
	s_waitcnt lgkmcnt(1)
	v_fma_f64 v[0:1], -v[26:27], v[6:7], v[0:1]
	v_fma_f64 v[0:1], -v[24:25], v[4:5], v[0:1]
	s_waitcnt lgkmcnt(0)
	v_fma_f64 v[0:1], -v[30:31], v[10:11], v[0:1]
	s_add_i32 s8, s6, 0xfffff308
	s_addk_i32 s6, 0xf2f8
	global_store_dwordx4 v[36:37], v[24:27], off offset:-96
	global_store_dwordx4 v[36:37], v[28:31], off offset:-112
	;; [unrolled: 1-line block ×4, first 2 shown]
	v_fma_f64 v[0:1], -v[28:29], v[8:9], v[0:1]
	v_mov_b32_e32 v4, s8
	v_mov_b32_e32 v8, s6
	ds_read2_b64 v[4:7], v4 offset1:1
	ds_read2_b64 v[8:11], v8 offset1:1
	s_add_i32 s6, s7, 0xfffff2e0
	v_mov_b32_e32 v12, s6
	ds_read2_b64 v[12:15], v12 offset1:1
	s_waitcnt lgkmcnt(2)
	v_fma_f64 v[0:1], -v[34:35], v[6:7], v[0:1]
	v_fma_f64 v[0:1], -v[32:33], v[4:5], v[0:1]
	s_waitcnt lgkmcnt(1)
	v_fma_f64 v[0:1], -v[22:23], v[10:11], v[0:1]
	v_fma_f64 v[0:1], -v[20:21], v[8:9], v[0:1]
	s_waitcnt lgkmcnt(0)
	v_fma_f64 v[0:1], -v[2:3], v[14:15], v[0:1]
	v_mul_f64 v[0:1], v[12:13], v[0:1]
	s_sub_i32 s6, s16, 21
	global_store_dwordx4 v[36:37], v[0:3], off offset:-160
.LBB90_14:
	s_cmp_gt_i32 s6, -1
	s_cbranch_scc0 .LBB90_33
; %bb.15:
	s_cmp_lt_u32 s6, 15
	s_cbranch_scc1 .LBB90_20
; %bb.16:
	s_mov_b32 s7, 0
	s_lshl_b64 s[8:9], s[6:7], 3
	v_mov_b32_e32 v1, s9
	v_add_co_u32_e32 v0, vcc, s8, v72
	v_addc_co_u32_e32 v1, vcc, v73, v1, vcc
	global_load_dwordx4 v[2:5], v[0:1], off offset:-8
	global_load_dwordx4 v[6:9], v[0:1], off offset:-24
	;; [unrolled: 1-line block ×8, first 2 shown]
	s_cmp_le_i32 s18, s6
	s_waitcnt vmcnt(7)
	v_mul_f64 v[30:31], v[4:5], s[0:1]
	v_mul_f64 v[28:29], v[2:3], s[0:1]
	s_waitcnt vmcnt(6)
	v_mul_f64 v[2:3], v[8:9], s[0:1]
	v_mul_f64 v[34:35], v[6:7], s[0:1]
	;; [unrolled: 3-line block ×8, first 2 shown]
	s_cbranch_scc1 .LBB90_19
; %bb.17:
	s_mul_i32 s7, s6, 0xa0
	s_lshl_b32 s8, s16, 3
	s_add_i32 s7, s7, s8
	s_ashr_i32 s19, s18, 31
	s_addk_i32 s7, 0xf698
	s_lshl_b64 s[8:9], s[18:19], 3
	s_add_u32 s8, s10, s8
	s_addc_u32 s9, s11, s9
	s_add_u32 s8, s8, s4
	s_addc_u32 s9, s9, s5
	;; [unrolled: 2-line block ×3, first 2 shown]
	v_mov_b32_e32 v33, s9
	v_add_co_u32_e32 v32, vcc, s8, v74
	v_addc_co_u32_e32 v33, vcc, v33, v75, vcc
	s_mov_b32 s8, s18
.LBB90_18:                              ; =>This Inner Loop Header: Depth=1
	global_load_dwordx2 v[68:69], v[32:33], off
	v_mov_b32_e32 v56, s7
	v_add_u32_e32 v60, 0x800, v56
	v_add_u32_e32 v64, 0x400, v56
	ds_read2_b64 v[36:39], v56 offset0:200 offset1:220
	ds_read2_b64 v[40:43], v56 offset0:160 offset1:180
	ds_read2_b64 v[44:47], v56 offset0:120 offset1:140
	ds_read2_b64 v[48:51], v56 offset0:80 offset1:100
	ds_read2_b64 v[52:55], v56 offset0:40 offset1:60
	ds_read2_b64 v[56:59], v56 offset1:20
	ds_read2_b64 v[60:63], v60 offset0:24 offset1:44
	ds_read2_b64 v[64:67], v64 offset0:112 offset1:132
	s_add_i32 s8, s8, -1
	s_add_i32 s7, s7, -8
	v_add_co_u32_e32 v32, vcc, -8, v32
	v_addc_co_u32_e32 v33, vcc, -1, v33, vcc
	s_cmp_gt_i32 s8, s6
	s_waitcnt vmcnt(0) lgkmcnt(1)
	v_fma_f64 v[30:31], -v[68:69], v[62:63], v[30:31]
	v_fma_f64 v[28:29], -v[68:69], v[60:61], v[28:29]
	s_waitcnt lgkmcnt(0)
	v_fma_f64 v[2:3], -v[68:69], v[66:67], v[2:3]
	v_fma_f64 v[34:35], -v[68:69], v[64:65], v[34:35]
	;; [unrolled: 1-line block ×14, first 2 shown]
	s_cbranch_scc1 .LBB90_18
.LBB90_19:
	s_mul_i32 s8, s6, 0xa8
	v_mov_b32_e32 v32, s8
	s_add_i32 s7, s8, 0xffffff58
	ds_read_b64 v[32:33], v32
	v_mov_b32_e32 v36, s7
	ds_read2_b64 v[36:39], v36 offset1:1
	s_ashr_i32 s7, s6, 31
	s_lshl_b64 s[12:13], s[6:7], 3
	s_waitcnt lgkmcnt(1)
	v_mul_f64 v[30:31], v[32:33], v[30:31]
	global_store_dwordx2 v[0:1], v[30:31], off
	s_waitcnt lgkmcnt(0)
	v_fma_f64 v[0:1], -v[30:31], v[38:39], v[28:29]
	s_add_i32 s7, s8, 0xfffffec0
	v_mul_f64 v[32:33], v[36:37], v[0:1]
	v_mov_b32_e32 v0, s7
	s_add_i32 s7, s8, 0xfffffeb0
	v_mov_b32_e32 v28, s7
	ds_read_b64 v[0:1], v0
	ds_read2_b64 v[36:39], v28 offset1:1
	s_add_i32 s7, s8, 0xfffffe18
	v_mov_b32_e32 v29, s13
	v_add_co_u32_e32 v28, vcc, s12, v72
	s_waitcnt lgkmcnt(1)
	v_fma_f64 v[0:1], -v[30:31], v[0:1], v[2:3]
	v_mov_b32_e32 v2, s7
	s_waitcnt lgkmcnt(0)
	v_fma_f64 v[0:1], -v[32:33], v[38:39], v[0:1]
	ds_read2_b64 v[38:41], v2 offset1:1
	s_add_i32 s7, s8, 0xfffffe08
	v_mul_f64 v[2:3], v[36:37], v[0:1]
	v_mov_b32_e32 v0, s7
	s_add_i32 s7, s8, 0xfffffd80
	v_addc_co_u32_e32 v29, vcc, v73, v29, vcc
	ds_read2_b64 v[42:45], v0 offset1:1
	s_waitcnt lgkmcnt(1)
	v_fma_f64 v[0:1], -v[30:31], v[40:41], v[34:35]
	v_mov_b32_e32 v34, s7
	s_add_i32 s7, s8, 0xfffffd70
	global_store_dwordx2 v[28:29], v[32:33], off offset:-8
	v_mov_b32_e32 v35, s7
	v_fma_f64 v[0:1], -v[32:33], v[38:39], v[0:1]
	ds_read_b64 v[38:39], v34
	ds_read2_b64 v[34:37], v35 offset1:1
	s_add_i32 s7, s8, 0xfffffd60
	s_waitcnt lgkmcnt(2)
	v_fma_f64 v[0:1], -v[2:3], v[44:45], v[0:1]
	v_mul_f64 v[0:1], v[42:43], v[0:1]
	s_waitcnt lgkmcnt(1)
	v_fma_f64 v[6:7], -v[30:31], v[38:39], v[6:7]
	s_waitcnt lgkmcnt(0)
	v_fma_f64 v[6:7], -v[32:33], v[36:37], v[6:7]
	v_mov_b32_e32 v36, s7
	ds_read2_b64 v[36:39], v36 offset1:1
	s_add_i32 s7, s8, 0xfffffcd8
	v_fma_f64 v[6:7], -v[2:3], v[34:35], v[6:7]
	v_mov_b32_e32 v34, s7
	ds_read2_b64 v[40:43], v34 offset1:1
	s_add_i32 s7, s8, 0xfffffcc8
	s_waitcnt lgkmcnt(1)
	v_fma_f64 v[6:7], -v[0:1], v[38:39], v[6:7]
	v_mov_b32_e32 v34, s7
	v_mul_f64 v[6:7], v[36:37], v[6:7]
	s_add_i32 s7, s8, 0xfffffcb8
	ds_read2_b64 v[34:37], v34 offset1:1
	v_mov_b32_e32 v38, s7
	ds_read2_b64 v[44:47], v38 offset1:1
	s_waitcnt lgkmcnt(2)
	v_fma_f64 v[4:5], -v[30:31], v[42:43], v[4:5]
	v_fma_f64 v[4:5], -v[32:33], v[40:41], v[4:5]
	s_waitcnt lgkmcnt(1)
	v_fma_f64 v[4:5], -v[2:3], v[36:37], v[4:5]
	v_fma_f64 v[4:5], -v[0:1], v[34:35], v[4:5]
	s_add_i32 s7, s8, 0xfffffc40
	s_waitcnt lgkmcnt(0)
	v_fma_f64 v[4:5], -v[6:7], v[46:47], v[4:5]
	v_mov_b32_e32 v34, s7
	s_add_i32 s7, s8, 0xfffffc38
	v_mul_f64 v[4:5], v[44:45], v[4:5]
	ds_read_b64 v[42:43], v34
	v_mov_b32_e32 v34, s7
	s_add_i32 s7, s8, 0xfffffc28
	global_store_dwordx4 v[28:29], v[0:3], off offset:-24
	global_store_dwordx4 v[28:29], v[4:7], off offset:-40
	v_mov_b32_e32 v35, s7
	ds_read_b64 v[44:45], v34
	ds_read2_b64 v[34:37], v35 offset1:1
	s_add_i32 s7, s8, 0xfffffc18
	s_waitcnt lgkmcnt(2)
	v_fma_f64 v[10:11], -v[30:31], v[42:43], v[10:11]
	v_mov_b32_e32 v38, s7
	s_waitcnt lgkmcnt(1)
	v_fma_f64 v[10:11], -v[32:33], v[44:45], v[10:11]
	ds_read2_b64 v[38:41], v38 offset1:1
	s_waitcnt lgkmcnt(1)
	v_fma_f64 v[10:11], -v[2:3], v[36:37], v[10:11]
	s_add_i32 s7, s8, 0xfffffc10
	v_fma_f64 v[10:11], -v[0:1], v[34:35], v[10:11]
	v_mov_b32_e32 v34, s7
	ds_read_b64 v[34:35], v34
	s_waitcnt lgkmcnt(1)
	v_fma_f64 v[10:11], -v[6:7], v[40:41], v[10:11]
	s_add_i32 s7, s8, 0xfffffba0
	v_fma_f64 v[10:11], -v[4:5], v[38:39], v[10:11]
	v_mov_b32_e32 v36, s7
	s_add_i32 s7, s8, 0xfffffb90
	ds_read_b64 v[38:39], v36
	s_waitcnt lgkmcnt(1)
	v_mul_f64 v[10:11], v[34:35], v[10:11]
	v_mov_b32_e32 v34, s7
	ds_read2_b64 v[34:37], v34 offset1:1
	s_add_i32 s7, s8, 0xfffffb80
	s_waitcnt lgkmcnt(1)
	v_fma_f64 v[8:9], -v[30:31], v[38:39], v[8:9]
	v_mov_b32_e32 v38, s7
	ds_read2_b64 v[38:41], v38 offset1:1
	s_waitcnt lgkmcnt(1)
	v_fma_f64 v[8:9], -v[32:33], v[36:37], v[8:9]
	s_add_i32 s7, s8, 0xfffffb70
	v_fma_f64 v[8:9], -v[2:3], v[34:35], v[8:9]
	v_mov_b32_e32 v34, s7
	ds_read2_b64 v[34:37], v34 offset1:1
	s_waitcnt lgkmcnt(1)
	v_fma_f64 v[8:9], -v[0:1], v[40:41], v[8:9]
	s_add_i32 s7, s8, 0xfffffb68
	v_fma_f64 v[8:9], -v[6:7], v[38:39], v[8:9]
	v_mov_b32_e32 v42, s7
	s_waitcnt lgkmcnt(0)
	v_fma_f64 v[8:9], -v[4:5], v[36:37], v[8:9]
	s_add_i32 s7, s8, 0xfffffb00
	v_fma_f64 v[8:9], -v[10:11], v[34:35], v[8:9]
	v_mov_b32_e32 v34, s7
	ds_read_b64 v[34:35], v34
	s_add_i32 s7, s8, 0xfffffaf8
	v_mov_b32_e32 v36, s7
	ds_read_b64 v[38:39], v36
	ds_read_b64 v[42:43], v42
	s_add_i32 s7, s8, 0xfffffae8
	s_waitcnt lgkmcnt(2)
	v_fma_f64 v[14:15], -v[30:31], v[34:35], v[14:15]
	v_mov_b32_e32 v34, s7
	ds_read2_b64 v[34:37], v34 offset1:1
	s_add_i32 s7, s8, 0xfffffad8
	s_waitcnt lgkmcnt(2)
	v_fma_f64 v[14:15], -v[32:33], v[38:39], v[14:15]
	v_mov_b32_e32 v38, s7
	ds_read2_b64 v[38:41], v38 offset1:1
	s_add_i32 s7, s8, 0xfffffac8
	s_waitcnt lgkmcnt(2)
	v_mul_f64 v[8:9], v[42:43], v[8:9]
	v_mov_b32_e32 v42, s7
	ds_read2_b64 v[42:45], v42 offset1:1
	s_waitcnt lgkmcnt(2)
	v_fma_f64 v[14:15], -v[2:3], v[36:37], v[14:15]
	v_fma_f64 v[14:15], -v[0:1], v[34:35], v[14:15]
	s_waitcnt lgkmcnt(1)
	v_fma_f64 v[14:15], -v[6:7], v[40:41], v[14:15]
	v_fma_f64 v[14:15], -v[4:5], v[38:39], v[14:15]
	s_add_i32 s7, s8, 0xfffffac0
	s_waitcnt lgkmcnt(0)
	v_fma_f64 v[14:15], -v[10:11], v[44:45], v[14:15]
	v_mov_b32_e32 v34, s7
	s_add_i32 s7, s8, 0xfffffa60
	v_fma_f64 v[14:15], -v[8:9], v[42:43], v[14:15]
	ds_read_b64 v[42:43], v34
	v_mov_b32_e32 v34, s7
	s_add_i32 s7, s8, 0xfffffa50
	ds_read_b64 v[44:45], v34
	v_mov_b32_e32 v34, s7
	s_add_i32 s7, s8, 0xfffffa40
	ds_read2_b64 v[34:37], v34 offset1:1
	v_mov_b32_e32 v38, s7
	ds_read2_b64 v[38:41], v38 offset1:1
	s_waitcnt lgkmcnt(2)
	v_fma_f64 v[12:13], -v[30:31], v[44:45], v[12:13]
	s_add_i32 s7, s8, 0xfffffa30
	s_waitcnt lgkmcnt(1)
	v_fma_f64 v[12:13], -v[32:33], v[36:37], v[12:13]
	v_fma_f64 v[12:13], -v[2:3], v[34:35], v[12:13]
	s_waitcnt lgkmcnt(0)
	v_fma_f64 v[12:13], -v[0:1], v[40:41], v[12:13]
	v_mov_b32_e32 v34, s7
	s_add_i32 s7, s8, 0xfffffa20
	global_store_dwordx4 v[28:29], v[8:11], off offset:-56
	v_fma_f64 v[12:13], -v[6:7], v[38:39], v[12:13]
	v_mov_b32_e32 v38, s7
	ds_read2_b64 v[34:37], v34 offset1:1
	ds_read2_b64 v[38:41], v38 offset1:1
	s_add_i32 s7, s8, 0xfffffa18
	v_mul_f64 v[14:15], v[42:43], v[14:15]
	v_mov_b32_e32 v42, s7
	s_waitcnt lgkmcnt(1)
	v_fma_f64 v[12:13], -v[4:5], v[36:37], v[12:13]
	s_add_i32 s7, s8, 0xfffff9c0
	v_fma_f64 v[12:13], -v[10:11], v[34:35], v[12:13]
	v_mov_b32_e32 v34, s7
	ds_read_b64 v[34:35], v34
	s_add_i32 s7, s8, 0xfffff9b8
	s_waitcnt lgkmcnt(1)
	v_fma_f64 v[12:13], -v[8:9], v[40:41], v[12:13]
	v_mov_b32_e32 v36, s7
	v_fma_f64 v[12:13], -v[14:15], v[38:39], v[12:13]
	ds_read_b64 v[38:39], v36
	s_add_i32 s7, s8, 0xfffff9a8
	ds_read_b64 v[42:43], v42
	s_waitcnt lgkmcnt(2)
	v_fma_f64 v[18:19], -v[30:31], v[34:35], v[18:19]
	v_mov_b32_e32 v34, s7
	ds_read2_b64 v[34:37], v34 offset1:1
	s_add_i32 s7, s8, 0xfffff998
	s_waitcnt lgkmcnt(2)
	v_fma_f64 v[18:19], -v[32:33], v[38:39], v[18:19]
	v_mov_b32_e32 v38, s7
	ds_read2_b64 v[38:41], v38 offset1:1
	s_add_i32 s7, s8, 0xfffff988
	s_waitcnt lgkmcnt(2)
	v_mul_f64 v[12:13], v[42:43], v[12:13]
	v_mov_b32_e32 v42, s7
	ds_read2_b64 v[42:45], v42 offset1:1
	s_waitcnt lgkmcnt(2)
	v_fma_f64 v[18:19], -v[2:3], v[36:37], v[18:19]
	s_add_i32 s7, s8, 0xfffff978
	v_fma_f64 v[18:19], -v[0:1], v[34:35], v[18:19]
	v_mov_b32_e32 v34, s7
	ds_read2_b64 v[34:37], v34 offset1:1
	s_waitcnt lgkmcnt(2)
	v_fma_f64 v[18:19], -v[6:7], v[40:41], v[18:19]
	v_fma_f64 v[18:19], -v[4:5], v[38:39], v[18:19]
	s_add_i32 s7, s8, 0xfffff970
	s_waitcnt lgkmcnt(1)
	v_fma_f64 v[18:19], -v[10:11], v[44:45], v[18:19]
	v_mov_b32_e32 v38, s7
	s_add_i32 s7, s8, 0xfffff918
	global_store_dwordx4 v[28:29], v[12:15], off offset:-72
	v_mov_b32_e32 v39, s7
	v_fma_f64 v[18:19], -v[8:9], v[42:43], v[18:19]
	ds_read_b64 v[44:45], v38
	ds_read2_b64 v[38:41], v39 offset1:1
	s_waitcnt lgkmcnt(2)
	v_fma_f64 v[18:19], -v[14:15], v[36:37], v[18:19]
	s_add_i32 s7, s8, 0xfffff908
	v_fma_f64 v[18:19], -v[12:13], v[34:35], v[18:19]
	v_mov_b32_e32 v34, s7
	ds_read2_b64 v[34:37], v34 offset1:1
	s_waitcnt lgkmcnt(1)
	v_fma_f64 v[16:17], -v[30:31], v[40:41], v[16:17]
	s_add_i32 s7, s8, 0xfffff8f8
	v_fma_f64 v[16:17], -v[32:33], v[38:39], v[16:17]
	v_mov_b32_e32 v38, s7
	;; [unrolled: 6-line block ×3, first 2 shown]
	ds_read2_b64 v[34:37], v34 offset1:1
	s_add_i32 s7, s8, 0xfffff8d8
	s_waitcnt lgkmcnt(1)
	v_fma_f64 v[16:17], -v[6:7], v[40:41], v[16:17]
	v_mov_b32_e32 v42, s7
	v_fma_f64 v[16:17], -v[4:5], v[38:39], v[16:17]
	v_mul_f64 v[18:19], v[44:45], v[18:19]
	ds_read2_b64 v[42:45], v42 offset1:1
	s_waitcnt lgkmcnt(1)
	v_fma_f64 v[16:17], -v[10:11], v[36:37], v[16:17]
	s_add_i32 s7, s8, 0xfffff8c8
	v_fma_f64 v[16:17], -v[8:9], v[34:35], v[16:17]
	v_mov_b32_e32 v34, s7
	ds_read2_b64 v[34:37], v34 offset1:1
	s_waitcnt lgkmcnt(1)
	v_fma_f64 v[16:17], -v[14:15], v[44:45], v[16:17]
	s_add_i32 s7, s8, 0xfffff880
	v_fma_f64 v[16:17], -v[12:13], v[42:43], v[16:17]
	v_mov_b32_e32 v38, s7
	ds_read_b64 v[38:39], v38
	s_waitcnt lgkmcnt(1)
	v_fma_f64 v[16:17], -v[18:19], v[36:37], v[16:17]
	s_add_i32 s7, s8, 0xfffff870
	v_mul_f64 v[16:17], v[34:35], v[16:17]
	v_mov_b32_e32 v34, s7
	ds_read2_b64 v[34:37], v34 offset1:1
	s_add_i32 s7, s8, 0xfffff860
	s_waitcnt lgkmcnt(1)
	v_fma_f64 v[22:23], -v[30:31], v[38:39], v[22:23]
	v_mov_b32_e32 v38, s7
	ds_read2_b64 v[38:41], v38 offset1:1
	s_waitcnt lgkmcnt(1)
	v_fma_f64 v[22:23], -v[32:33], v[36:37], v[22:23]
	s_add_i32 s7, s8, 0xfffff850
	v_fma_f64 v[22:23], -v[2:3], v[34:35], v[22:23]
	v_mov_b32_e32 v34, s7
	ds_read2_b64 v[34:37], v34 offset1:1
	s_add_i32 s7, s8, 0xfffff840
	s_waitcnt lgkmcnt(1)
	v_fma_f64 v[22:23], -v[0:1], v[40:41], v[22:23]
	v_mov_b32_e32 v42, s7
	ds_read2_b64 v[42:45], v42 offset1:1
	v_fma_f64 v[22:23], -v[6:7], v[38:39], v[22:23]
	s_waitcnt lgkmcnt(1)
	v_fma_f64 v[22:23], -v[4:5], v[36:37], v[22:23]
	s_add_i32 s7, s8, 0xfffff830
	v_fma_f64 v[22:23], -v[10:11], v[34:35], v[22:23]
	v_mov_b32_e32 v34, s7
	ds_read2_b64 v[34:37], v34 offset1:1
	s_waitcnt lgkmcnt(1)
	v_fma_f64 v[22:23], -v[8:9], v[44:45], v[22:23]
	s_add_i32 s7, s8, 0xfffff820
	v_fma_f64 v[22:23], -v[14:15], v[42:43], v[22:23]
	v_mov_b32_e32 v38, s7
	ds_read2_b64 v[38:41], v38 offset1:1
	;; [unrolled: 6-line block ×3, first 2 shown]
	s_add_i32 s7, s8, 0xfffff7c8
	v_mov_b32_e32 v42, s7
	ds_read2_b64 v[42:45], v42 offset1:1
	s_add_i32 s7, s8, 0xfffff7b8
	s_waitcnt lgkmcnt(1)
	v_fma_f64 v[20:21], -v[30:31], v[36:37], v[20:21]
	v_fma_f64 v[20:21], -v[32:33], v[34:35], v[20:21]
	v_mov_b32_e32 v34, s7
	ds_read2_b64 v[34:37], v34 offset1:1
	v_fma_f64 v[22:23], -v[16:17], v[40:41], v[22:23]
	s_waitcnt lgkmcnt(1)
	v_fma_f64 v[20:21], -v[2:3], v[44:45], v[20:21]
	s_add_i32 s7, s8, 0xfffff7a8
	v_mul_f64 v[22:23], v[38:39], v[22:23]
	v_fma_f64 v[20:21], -v[0:1], v[42:43], v[20:21]
	v_mov_b32_e32 v38, s7
	ds_read2_b64 v[38:41], v38 offset1:1
	s_waitcnt lgkmcnt(1)
	v_fma_f64 v[20:21], -v[6:7], v[36:37], v[20:21]
	s_add_i32 s7, s8, 0xfffff798
	v_fma_f64 v[20:21], -v[4:5], v[34:35], v[20:21]
	v_mov_b32_e32 v34, s7
	ds_read2_b64 v[34:37], v34 offset1:1
	s_add_i32 s7, s8, 0xfffff788
	s_waitcnt lgkmcnt(1)
	v_fma_f64 v[20:21], -v[10:11], v[40:41], v[20:21]
	v_mov_b32_e32 v42, s7
	ds_read2_b64 v[42:45], v42 offset1:1
	v_fma_f64 v[20:21], -v[8:9], v[38:39], v[20:21]
	s_waitcnt lgkmcnt(1)
	v_fma_f64 v[20:21], -v[14:15], v[36:37], v[20:21]
	s_add_i32 s7, s8, 0xfffff778
	v_fma_f64 v[20:21], -v[12:13], v[34:35], v[20:21]
	v_mov_b32_e32 v34, s7
	ds_read2_b64 v[34:37], v34 offset1:1
	s_waitcnt lgkmcnt(1)
	v_fma_f64 v[20:21], -v[18:19], v[44:45], v[20:21]
	s_add_i32 s7, s8, 0xfffff740
	v_fma_f64 v[20:21], -v[16:17], v[42:43], v[20:21]
	v_mov_b32_e32 v38, s7
	ds_read_b64 v[38:39], v38
	s_waitcnt lgkmcnt(1)
	v_fma_f64 v[20:21], -v[22:23], v[36:37], v[20:21]
	s_add_i32 s7, s8, 0xfffff730
	v_mul_f64 v[20:21], v[34:35], v[20:21]
	v_mov_b32_e32 v34, s7
	ds_read2_b64 v[34:37], v34 offset1:1
	s_add_i32 s7, s8, 0xfffff720
	s_waitcnt lgkmcnt(1)
	v_fma_f64 v[26:27], -v[30:31], v[38:39], v[26:27]
	v_mov_b32_e32 v38, s7
	ds_read2_b64 v[38:41], v38 offset1:1
	s_waitcnt lgkmcnt(1)
	v_fma_f64 v[26:27], -v[32:33], v[36:37], v[26:27]
	s_add_i32 s7, s8, 0xfffff710
	v_fma_f64 v[26:27], -v[2:3], v[34:35], v[26:27]
	v_mov_b32_e32 v34, s7
	ds_read2_b64 v[34:37], v34 offset1:1
	s_add_i32 s7, s8, 0xfffff700
	s_waitcnt lgkmcnt(1)
	v_fma_f64 v[26:27], -v[0:1], v[40:41], v[26:27]
	v_mov_b32_e32 v42, s7
	ds_read2_b64 v[42:45], v42 offset1:1
	v_fma_f64 v[26:27], -v[6:7], v[38:39], v[26:27]
	s_waitcnt lgkmcnt(1)
	v_fma_f64 v[26:27], -v[4:5], v[36:37], v[26:27]
	s_add_i32 s7, s8, 0xfffff6f0
	v_fma_f64 v[26:27], -v[10:11], v[34:35], v[26:27]
	v_mov_b32_e32 v34, s7
	ds_read2_b64 v[34:37], v34 offset1:1
	s_waitcnt lgkmcnt(1)
	v_fma_f64 v[26:27], -v[8:9], v[44:45], v[26:27]
	s_add_i32 s7, s8, 0xfffff6e0
	v_fma_f64 v[26:27], -v[14:15], v[42:43], v[26:27]
	v_mov_b32_e32 v38, s7
	ds_read2_b64 v[38:41], v38 offset1:1
	s_waitcnt lgkmcnt(1)
	v_fma_f64 v[26:27], -v[12:13], v[36:37], v[26:27]
	s_add_i32 s7, s8, 0xfffff6d0
	v_fma_f64 v[26:27], -v[18:19], v[34:35], v[26:27]
	v_mov_b32_e32 v34, s7
	s_add_i32 s7, s8, 0xfffff698
	v_mov_b32_e32 v42, s7
	ds_read2_b64 v[34:37], v34 offset1:1
	ds_read2_b64 v[42:45], v42 offset1:1
	s_waitcnt lgkmcnt(2)
	v_fma_f64 v[26:27], -v[16:17], v[40:41], v[26:27]
	v_fma_f64 v[26:27], -v[22:23], v[38:39], v[26:27]
	s_add_i32 s7, s8, 0xfffff688
	s_waitcnt lgkmcnt(1)
	v_fma_f64 v[26:27], -v[20:21], v[36:37], v[26:27]
	s_waitcnt lgkmcnt(0)
	v_fma_f64 v[24:25], -v[30:31], v[44:45], v[24:25]
	v_mov_b32_e32 v30, s7
	v_mul_f64 v[26:27], v[34:35], v[26:27]
	ds_read2_b64 v[34:37], v30 offset1:1
	s_add_i32 s7, s8, 0xfffff678
	v_fma_f64 v[24:25], -v[32:33], v[42:43], v[24:25]
	v_mov_b32_e32 v30, s7
	ds_read2_b64 v[30:33], v30 offset1:1
	s_waitcnt lgkmcnt(1)
	v_fma_f64 v[2:3], -v[2:3], v[36:37], v[24:25]
	s_add_i32 s7, s8, 0xfffff668
	v_fma_f64 v[24:25], -v[0:1], v[34:35], v[2:3]
	v_mov_b32_e32 v0, s7
	ds_read2_b64 v[0:3], v0 offset1:1
	s_add_i32 s7, s8, 0xfffff658
	v_mov_b32_e32 v34, s7
	ds_read2_b64 v[34:37], v34 offset1:1
	s_waitcnt lgkmcnt(2)
	v_fma_f64 v[6:7], -v[6:7], v[32:33], v[24:25]
	v_fma_f64 v[4:5], -v[4:5], v[30:31], v[6:7]
	s_waitcnt lgkmcnt(1)
	v_fma_f64 v[2:3], -v[10:11], v[2:3], v[4:5]
	v_fma_f64 v[0:1], -v[8:9], v[0:1], v[2:3]
	s_waitcnt lgkmcnt(0)
	v_fma_f64 v[0:1], -v[14:15], v[36:37], v[0:1]
	s_add_i32 s7, s8, 0xfffff648
	v_fma_f64 v[12:13], -v[12:13], v[34:35], v[0:1]
	v_mov_b32_e32 v0, s7
	s_add_i32 s7, s8, 0xfffff638
	global_store_dwordx4 v[28:29], v[16:19], off offset:-88
	global_store_dwordx4 v[28:29], v[20:23], off offset:-104
	v_mov_b32_e32 v4, s7
	ds_read2_b64 v[0:3], v0 offset1:1
	ds_read2_b64 v[4:7], v4 offset1:1
	s_add_i32 s7, s8, 0xfffff628
	v_mov_b32_e32 v8, s7
	ds_read2_b64 v[8:11], v8 offset1:1
	s_waitcnt lgkmcnt(2)
	v_fma_f64 v[2:3], -v[18:19], v[2:3], v[12:13]
	v_fma_f64 v[0:1], -v[16:17], v[0:1], v[2:3]
	s_waitcnt lgkmcnt(1)
	v_fma_f64 v[0:1], -v[22:23], v[6:7], v[0:1]
	v_fma_f64 v[0:1], -v[20:21], v[4:5], v[0:1]
	s_waitcnt lgkmcnt(0)
	v_fma_f64 v[0:1], -v[26:27], v[10:11], v[0:1]
	v_mul_f64 v[24:25], v[8:9], v[0:1]
	s_add_i32 s6, s6, -16
	global_store_dwordx4 v[28:29], v[24:27], off offset:-120
.LBB90_20:
	s_cmp_lt_i32 s6, 0
	s_cbranch_scc1 .LBB90_33
; %bb.21:
	s_bitcmp1_b32 s6, 0
	s_cselect_b64 s[8:9], -1, 0
	s_and_b64 vcc, exec, s[8:9]
	s_mov_b32 s8, s6
	s_cbranch_vccnz .LBB90_26
; %bb.22:
	s_mov_b32 s7, 0
	s_lshl_b64 s[8:9], s[6:7], 3
	v_mov_b32_e32 v1, s9
	v_add_co_u32_e32 v0, vcc, s8, v72
	v_addc_co_u32_e32 v1, vcc, v73, v1, vcc
	global_load_dwordx2 v[2:3], v[0:1], off
	s_cmp_le_i32 s18, s6
	s_waitcnt vmcnt(0)
	v_mul_f64 v[2:3], v[2:3], s[0:1]
	s_cbranch_scc1 .LBB90_25
; %bb.23:
	s_mul_i32 s7, s6, 0xa0
	s_lshl_b32 s8, s16, 3
	s_add_i32 s7, s7, s8
	s_ashr_i32 s19, s18, 31
	s_add_i32 s7, s7, -8
	s_lshl_b64 s[8:9], s[18:19], 3
	s_add_u32 s8, s10, s8
	s_addc_u32 s9, s11, s9
	s_add_u32 s8, s8, s4
	s_addc_u32 s9, s9, s5
	;; [unrolled: 2-line block ×3, first 2 shown]
	v_mov_b32_e32 v5, s9
	v_add_co_u32_e32 v4, vcc, s8, v74
	v_addc_co_u32_e32 v5, vcc, v5, v75, vcc
	s_mov_b32 s8, s18
.LBB90_24:                              ; =>This Inner Loop Header: Depth=1
	global_load_dwordx2 v[6:7], v[4:5], off
	v_mov_b32_e32 v8, s7
	ds_read_b64 v[8:9], v8
	s_add_i32 s8, s8, -1
	s_add_i32 s7, s7, -8
	v_add_co_u32_e32 v4, vcc, -8, v4
	v_addc_co_u32_e32 v5, vcc, -1, v5, vcc
	s_cmp_gt_i32 s8, s6
	s_waitcnt vmcnt(0) lgkmcnt(0)
	v_fma_f64 v[2:3], -v[6:7], v[8:9], v[2:3]
	s_cbranch_scc1 .LBB90_24
.LBB90_25:
	s_mul_i32 s7, s6, 0xa8
	v_mov_b32_e32 v4, s7
	ds_read_b64 v[4:5], v4
	s_add_i32 s8, s6, -1
	s_waitcnt lgkmcnt(0)
	v_mul_f64 v[2:3], v[4:5], v[2:3]
	global_store_dwordx2 v[0:1], v[2:3], off
.LBB90_26:
	s_cmp_eq_u32 s6, 0
	s_mov_b32 s9, 0
	s_cbranch_scc1 .LBB90_33
; %bb.27:
	s_mul_i32 s6, s8, 0xa0
	s_lshl_b32 s7, s16, 3
	s_add_i32 s7, s6, s7
	s_ashr_i32 s19, s18, 31
	s_add_i32 s6, s7, -8
	s_lshl_b64 s[12:13], s[18:19], 3
	s_add_u32 s12, s10, s12
	s_addc_u32 s13, s11, s13
	s_add_u32 s12, s12, s4
	s_addc_u32 s13, s13, s5
	;; [unrolled: 2-line block ×3, first 2 shown]
	v_mov_b32_e32 v1, s13
	v_add_co_u32_e32 v0, vcc, s12, v74
	v_addc_co_u32_e32 v1, vcc, v1, v75, vcc
	s_addk_i32 s7, 0xff58
	s_branch .LBB90_29
.LBB90_28:                              ;   in Loop: Header=BB90_29 Depth=1
	s_addk_i32 s12, 0xff58
	v_mov_b32_e32 v6, s12
	ds_read_b64 v[6:7], v6
	s_add_i32 s12, s8, -2
	s_addk_i32 s6, 0xfec0
	s_addk_i32 s7, 0xfec0
	s_cmp_lt_i32 s8, 2
	s_waitcnt lgkmcnt(0)
	v_mul_f64 v[2:3], v[6:7], v[2:3]
	s_mov_b32 s8, s12
	global_store_dwordx2 v[4:5], v[2:3], off offset:-8
	s_cbranch_scc1 .LBB90_33
.LBB90_29:                              ; =>This Loop Header: Depth=1
                                        ;     Child Loop BB90_30 Depth 2
                                        ;     Child Loop BB90_32 Depth 2
	s_lshl_b64 s[12:13], s[8:9], 3
	v_mov_b32_e32 v3, s13
	v_add_co_u32_e32 v2, vcc, s12, v72
	v_addc_co_u32_e32 v3, vcc, v73, v3, vcc
	global_load_dwordx2 v[2:3], v[2:3], off
	v_pk_mov_b32 v[4:5], v[0:1], v[0:1] op_sel:[0,1]
	s_mov_b32 s12, s6
	s_cmp_le_i32 s18, s8
	s_mov_b32 s13, s18
	s_waitcnt vmcnt(0)
	v_mul_f64 v[2:3], v[2:3], s[0:1]
	s_cbranch_scc1 .LBB90_31
.LBB90_30:                              ;   Parent Loop BB90_29 Depth=1
                                        ; =>  This Inner Loop Header: Depth=2
	global_load_dwordx2 v[6:7], v[4:5], off
	v_mov_b32_e32 v8, s12
	ds_read_b64 v[8:9], v8
	s_add_i32 s13, s13, -1
	s_add_i32 s12, s12, -8
	v_add_co_u32_e32 v4, vcc, -8, v4
	v_addc_co_u32_e32 v5, vcc, -1, v5, vcc
	s_cmp_gt_i32 s13, s8
	s_waitcnt vmcnt(0) lgkmcnt(0)
	v_fma_f64 v[2:3], -v[6:7], v[8:9], v[2:3]
	s_cbranch_scc1 .LBB90_30
.LBB90_31:                              ;   in Loop: Header=BB90_29 Depth=1
	s_add_i32 s12, s8, -1
	s_mov_b32 s13, s9
	s_lshl_b64 s[12:13], s[12:13], 3
	v_mov_b32_e32 v5, s13
	v_add_co_u32_e32 v4, vcc, s12, v72
	v_addc_co_u32_e32 v5, vcc, v73, v5, vcc
	global_load_dwordx2 v[8:9], v[4:5], off
	s_mul_i32 s12, s8, 0xa8
	v_mov_b32_e32 v4, s12
	ds_read_b64 v[10:11], v4
	s_ashr_i32 s21, s8, 31
	s_mov_b32 s20, s8
	s_lshl_b64 s[20:21], s[20:21], 3
	v_mov_b32_e32 v5, s21
	v_add_co_u32_e32 v4, vcc, s20, v72
	v_addc_co_u32_e32 v5, vcc, v73, v5, vcc
	s_waitcnt lgkmcnt(0)
	v_mul_f64 v[2:3], v[10:11], v[2:3]
	v_pk_mov_b32 v[6:7], v[0:1], v[0:1] op_sel:[0,1]
	s_mov_b32 s13, s7
	s_cmp_lt_i32 s18, s8
	global_store_dwordx2 v[4:5], v[2:3], off
	s_mov_b32 s15, s16
	s_waitcnt vmcnt(1)
	v_mul_f64 v[2:3], v[8:9], s[0:1]
	s_cbranch_scc1 .LBB90_28
.LBB90_32:                              ;   Parent Loop BB90_29 Depth=1
                                        ; =>  This Inner Loop Header: Depth=2
	global_load_dwordx2 v[8:9], v[6:7], off
	v_mov_b32_e32 v10, s13
	ds_read_b64 v[10:11], v10
	s_add_i32 s15, s15, -1
	s_add_i32 s13, s13, -8
	v_add_co_u32_e32 v6, vcc, -8, v6
	v_addc_co_u32_e32 v7, vcc, -1, v7, vcc
	s_cmp_gt_i32 s15, s8
	s_waitcnt vmcnt(0) lgkmcnt(0)
	v_fma_f64 v[2:3], -v[8:9], v[10:11], v[2:3]
	s_cbranch_scc1 .LBB90_32
	s_branch .LBB90_28
.LBB90_33:
	s_mov_b64 s[6:7], 0
.LBB90_34:
	s_and_b64 vcc, exec, s[6:7]
	s_cbranch_vccz .LBB90_57
; %bb.35:
	s_cmp_gt_i32 s14, 19
	s_cselect_b64 s[6:7], -1, 0
	s_mov_b32 s8, 0
	s_and_b64 vcc, exec, s[6:7]
	s_cbranch_vccz .LBB90_37
; %bb.36:
	global_load_dwordx4 v[8:11], v[72:73], off
	global_load_dwordx4 v[28:31], v[72:73], off offset:16
	global_load_dwordx4 v[24:27], v[72:73], off offset:32
	;; [unrolled: 1-line block ×8, first 2 shown]
	v_mov_b32_e32 v78, 0
	ds_read_b128 v[64:67], v78
	ds_read_b128 v[60:63], v78 offset:16
	ds_read2_b64 v[36:39], v78 offset0:21 offset1:22
	ds_read2_b64 v[44:47], v78 offset0:23 offset1:24
	;; [unrolled: 1-line block ×4, first 2 shown]
	ds_read_b128 v[68:71], v78 offset:32
	ds_read_b128 v[80:83], v78 offset:48
	;; [unrolled: 1-line block ×5, first 2 shown]
	s_movk_i32 s8, 0x800
	s_waitcnt vmcnt(8)
	v_mul_f64 v[8:9], v[8:9], s[0:1]
	s_waitcnt lgkmcnt(10)
	v_mul_f64 v[8:9], v[64:65], v[8:9]
	v_mul_f64 v[64:65], v[8:9], v[66:67]
	s_waitcnt lgkmcnt(9)
	v_mul_f64 v[62:63], v[8:9], v[62:63]
	s_waitcnt lgkmcnt(4)
	v_mul_f64 v[76:77], v[8:9], v[68:69]
	v_fma_f64 v[10:11], v[10:11], s[0:1], -v[64:65]
	v_mul_f64 v[70:71], v[8:9], v[70:71]
	s_waitcnt lgkmcnt(3)
	v_mul_f64 v[66:67], v[8:9], v[80:81]
	v_mul_f64 v[68:69], v[8:9], v[82:83]
	s_waitcnt vmcnt(7)
	v_fma_f64 v[62:63], v[30:31], s[0:1], -v[62:63]
	s_waitcnt vmcnt(6)
	v_fma_f64 v[64:65], v[24:25], s[0:1], -v[76:77]
	v_mul_f64 v[10:11], v[36:37], v[10:11]
	ds_read_b128 v[80:83], v78 offset:368
	v_fma_f64 v[70:71], v[26:27], s[0:1], -v[70:71]
	ds_read2_b64 v[24:27], v78 offset0:25 offset1:26
	s_waitcnt vmcnt(5)
	v_fma_f64 v[66:67], v[20:21], s[0:1], -v[66:67]
	v_fma_f64 v[68:69], v[22:23], s[0:1], -v[68:69]
	ds_read2_b64 v[20:23], v78 offset0:27 offset1:28
	v_fma_f64 v[62:63], -v[10:11], v[44:45], v[62:63]
	v_fma_f64 v[64:65], -v[10:11], v[46:47], v[64:65]
	ds_read_b128 v[44:47], v78 offset:336
	v_mul_f64 v[60:61], v[8:9], v[60:61]
	v_fma_f64 v[60:61], v[28:29], s[0:1], -v[60:61]
	s_waitcnt lgkmcnt(5)
	v_mul_f64 v[56:57], v[8:9], v[56:57]
	v_fma_f64 v[60:61], -v[10:11], v[38:39], v[60:61]
	s_waitcnt vmcnt(4)
	v_fma_f64 v[56:57], v[32:33], s[0:1], -v[56:57]
	s_waitcnt lgkmcnt(1)
	v_fma_f64 v[68:69], -v[10:11], v[20:21], v[68:69]
	s_waitcnt lgkmcnt(0)
	v_mul_f64 v[20:21], v[44:45], v[60:61]
	v_fma_f64 v[70:71], -v[10:11], v[24:25], v[70:71]
	v_fma_f64 v[66:67], -v[10:11], v[26:27], v[66:67]
	ds_read2_b64 v[24:27], v78 offset0:67 offset1:68
	v_fma_f64 v[88:89], -v[10:11], v[22:23], v[56:57]
	v_fma_f64 v[22:23], -v[20:21], v[46:47], v[62:63]
	ds_read_b128 v[60:63], v78 offset:384
	v_mul_f64 v[58:59], v[8:9], v[58:59]
	ds_read_b128 v[28:31], v78 offset:688
	v_fma_f64 v[76:77], v[34:35], s[0:1], -v[58:59]
	ds_read2_b64 v[32:35], v78 offset0:105 offset1:106
	v_fma_f64 v[64:65], -v[20:21], v[52:53], v[64:65]
	v_mul_f64 v[22:23], v[40:41], v[22:23]
	v_fma_f64 v[70:71], -v[20:21], v[54:55], v[70:71]
	v_fma_f64 v[66:67], -v[20:21], v[80:81], v[66:67]
	;; [unrolled: 1-line block ×4, first 2 shown]
	ds_read2_b64 v[56:59], v78 offset0:69 offset1:70
	v_fma_f64 v[70:71], -v[22:23], v[48:49], v[70:71]
	s_waitcnt lgkmcnt(3)
	v_fma_f64 v[60:61], -v[20:21], v[60:61], v[88:89]
	v_fma_f64 v[88:89], -v[22:23], v[24:25], v[68:69]
	v_mul_f64 v[24:25], v[84:85], v[80:81]
	ds_read2_b64 v[36:39], v78 offset0:107 offset1:108
	v_fma_f64 v[82:83], -v[22:23], v[50:51], v[66:67]
	v_fma_f64 v[60:61], -v[22:23], v[26:27], v[60:61]
	ds_read_b128 v[64:67], v78 offset:704
	v_fma_f64 v[26:27], -v[24:25], v[86:87], v[70:71]
	ds_read_b128 v[68:71], v78 offset:720
	s_waitcnt lgkmcnt(5)
	v_fma_f64 v[28:29], -v[24:25], v[28:29], v[82:83]
	s_waitcnt lgkmcnt(4)
	v_mul_f64 v[26:27], v[32:33], v[26:27]
	v_fma_f64 v[84:85], -v[24:25], v[30:31], v[88:89]
	v_fma_f64 v[32:33], -v[26:27], v[34:35], v[28:29]
	ds_read_b128 v[28:31], v78 offset:1008
	ds_read2_b64 v[44:47], v78 offset0:147 offset1:148
	ds_read_b128 v[80:83], v78 offset:1024
	ds_read_b128 v[40:43], v78 offset:80
	s_waitcnt lgkmcnt(5)
	v_fma_f64 v[34:35], -v[24:25], v[64:65], v[60:61]
	v_fma_f64 v[60:61], -v[26:27], v[36:37], v[84:85]
	ds_read2_b64 v[84:87], v78 offset0:29 offset1:30
	s_waitcnt lgkmcnt(4)
	v_mul_f64 v[28:29], v[28:29], v[32:33]
	v_fma_f64 v[34:35], -v[26:27], v[38:39], v[34:35]
	v_fma_f64 v[30:31], -v[28:29], v[30:31], v[60:61]
	s_waitcnt lgkmcnt(2)
	v_fma_f64 v[32:33], -v[28:29], v[80:81], v[34:35]
	v_mul_f64 v[30:31], v[44:45], v[30:31]
	ds_read_b128 v[36:39], v78 offset:1040
	v_fma_f64 v[80:81], -v[30:31], v[46:47], v[32:33]
	ds_read2_b64 v[44:47], v78 offset0:109 offset1:110
	s_waitcnt lgkmcnt(2)
	v_fma_f64 v[32:33], -v[10:11], v[84:85], v[76:77]
	ds_read2_b64 v[52:55], v78 offset0:149 offset1:150
	ds_read_b128 v[48:51], v78 offset:400
	v_fma_f64 v[60:61], -v[20:21], v[62:63], v[32:33]
	ds_read_b128 v[32:35], v78 offset:1344
	v_fma_f64 v[56:57], -v[22:23], v[56:57], v[60:61]
	v_mul_f64 v[40:41], v[8:9], v[40:41]
	v_fma_f64 v[56:57], -v[24:25], v[66:67], v[56:57]
	s_waitcnt vmcnt(3)
	v_fma_f64 v[16:17], v[16:17], s[0:1], -v[40:41]
	s_waitcnt lgkmcnt(3)
	v_fma_f64 v[44:45], -v[26:27], v[44:45], v[56:57]
	v_fma_f64 v[16:17], -v[10:11], v[86:87], v[16:17]
	v_fma_f64 v[44:45], -v[28:29], v[82:83], v[44:45]
	s_waitcnt lgkmcnt(0)
	v_mul_f64 v[32:33], v[32:33], v[80:81]
	ds_read2_b64 v[80:83], v78 offset0:31 offset1:32
	v_fma_f64 v[16:17], -v[20:21], v[48:49], v[16:17]
	v_fma_f64 v[16:17], -v[22:23], v[58:59], v[16:17]
	;; [unrolled: 1-line block ×4, first 2 shown]
	ds_read2_b64 v[84:87], v78 offset0:111 offset1:112
	v_fma_f64 v[16:17], -v[28:29], v[36:37], v[16:17]
	v_mul_f64 v[36:37], v[8:9], v[42:43]
	ds_read2_b64 v[40:43], v78 offset0:71 offset1:72
	v_fma_f64 v[18:19], v[18:19], s[0:1], -v[36:37]
	s_waitcnt lgkmcnt(2)
	v_fma_f64 v[18:19], -v[10:11], v[80:81], v[18:19]
	ds_read_b128 v[60:63], v78 offset:1360
	v_fma_f64 v[44:45], -v[30:31], v[52:53], v[44:45]
	v_fma_f64 v[16:17], -v[30:31], v[54:55], v[16:17]
	ds_read2_b64 v[52:55], v78 offset0:151 offset1:152
	v_fma_f64 v[18:19], -v[20:21], v[50:51], v[18:19]
	ds_read2_b64 v[64:67], v78 offset0:189 offset1:190
	ds_read2_b64 v[56:59], v78 offset0:191 offset1:192
	s_waitcnt lgkmcnt(4)
	v_fma_f64 v[18:19], -v[22:23], v[40:41], v[18:19]
	v_fma_f64 v[18:19], -v[24:25], v[70:71], v[18:19]
	;; [unrolled: 1-line block ×3, first 2 shown]
	ds_read_b128 v[44:47], v78 offset:1680
	v_fma_f64 v[18:19], -v[26:27], v[84:85], v[18:19]
	v_fma_f64 v[18:19], -v[28:29], v[38:39], v[18:19]
	s_waitcnt lgkmcnt(3)
	v_fma_f64 v[18:19], -v[30:31], v[52:53], v[18:19]
	s_waitcnt lgkmcnt(2)
	v_mul_f64 v[34:35], v[64:65], v[34:35]
	v_fma_f64 v[16:17], -v[32:33], v[60:61], v[16:17]
	v_fma_f64 v[18:19], -v[32:33], v[62:63], v[18:19]
	ds_read_b128 v[60:63], v78 offset:96
	v_fma_f64 v[16:17], -v[34:35], v[66:67], v[16:17]
	ds_read2_b64 v[64:67], v78 offset0:231 offset1:232
	s_waitcnt lgkmcnt(2)
	v_mul_f64 v[16:17], v[44:45], v[16:17]
	v_fma_f64 v[18:19], -v[34:35], v[56:57], v[18:19]
	v_fma_f64 v[18:19], -v[16:17], v[46:47], v[18:19]
	ds_read_b128 v[44:47], v78 offset:416
	s_waitcnt lgkmcnt(2)
	v_mul_f64 v[40:41], v[8:9], v[60:61]
	ds_read_b128 v[68:71], v78 offset:736
	s_waitcnt vmcnt(1)
	v_fma_f64 v[12:13], v[12:13], s[0:1], -v[40:41]
	v_fma_f64 v[12:13], -v[10:11], v[82:83], v[12:13]
	ds_read_b128 v[80:83], v78 offset:1056
	s_waitcnt lgkmcnt(2)
	v_fma_f64 v[12:13], -v[20:21], v[44:45], v[12:13]
	v_fma_f64 v[12:13], -v[22:23], v[42:43], v[12:13]
	ds_read_b128 v[40:43], v78 offset:1376
	s_waitcnt lgkmcnt(2)
	v_fma_f64 v[12:13], -v[24:25], v[68:69], v[12:13]
	;; [unrolled: 4-line block ×3, first 2 shown]
	v_fma_f64 v[12:13], -v[30:31], v[54:55], v[12:13]
	s_waitcnt lgkmcnt(1)
	v_fma_f64 v[12:13], -v[32:33], v[40:41], v[12:13]
	ds_read2_b64 v[48:51], v78 offset0:73 offset1:74
	v_fma_f64 v[12:13], -v[34:35], v[58:59], v[12:13]
	ds_read2_b64 v[56:59], v78 offset0:33 offset1:34
	v_mul_f64 v[18:19], v[64:65], v[18:19]
	s_waitcnt lgkmcnt(2)
	v_fma_f64 v[12:13], -v[16:17], v[84:85], v[12:13]
	v_fma_f64 v[76:77], -v[18:19], v[66:67], v[12:13]
	v_mul_f64 v[12:13], v[8:9], v[62:63]
	ds_read2_b64 v[36:39], v78 offset0:153 offset1:154
	ds_read2_b64 v[60:63], v78 offset0:113 offset1:114
	v_fma_f64 v[12:13], v[14:15], s[0:1], -v[12:13]
	s_waitcnt lgkmcnt(2)
	v_fma_f64 v[12:13], -v[10:11], v[56:57], v[12:13]
	v_fma_f64 v[12:13], -v[20:21], v[46:47], v[12:13]
	;; [unrolled: 1-line block ×3, first 2 shown]
	ds_read2_b64 v[52:55], v78 offset0:233 offset1:234
	v_fma_f64 v[12:13], -v[24:25], v[70:71], v[12:13]
	ds_read2_b64 v[68:71], v78 offset0:193 offset1:194
	s_waitcnt lgkmcnt(2)
	v_fma_f64 v[12:13], -v[26:27], v[60:61], v[12:13]
	v_fma_f64 v[40:41], -v[28:29], v[82:83], v[12:13]
	ds_read_b128 v[12:15], v78 offset:2016
	v_fma_f64 v[36:37], -v[30:31], v[36:37], v[40:41]
	ds_read_b128 v[64:67], v78 offset:112
	v_fma_f64 v[36:37], -v[32:33], v[42:43], v[36:37]
	s_waitcnt lgkmcnt(2)
	v_fma_f64 v[36:37], -v[34:35], v[68:69], v[36:37]
	v_fma_f64 v[36:37], -v[16:17], v[86:87], v[36:37]
	ds_read_b128 v[44:47], v78 offset:432
	ds_read_b128 v[40:43], v78 offset:752
	s_waitcnt lgkmcnt(3)
	v_mul_f64 v[12:13], v[12:13], v[76:77]
	v_fma_f64 v[36:37], -v[18:19], v[52:53], v[36:37]
	v_fma_f64 v[14:15], -v[12:13], v[14:15], v[36:37]
	v_mov_b32_e32 v36, 0x888
	ds_read2_b64 v[80:83], v36 offset1:1
	s_waitcnt lgkmcnt(3)
	v_mul_f64 v[36:37], v[8:9], v[64:65]
	v_fma_f64 v[4:5], v[4:5], s[0:1], -v[36:37]
	v_fma_f64 v[4:5], -v[10:11], v[58:59], v[4:5]
	ds_read_b128 v[56:59], v78 offset:1072
	ds_read_b128 v[84:87], v78 offset:1392
	s_waitcnt lgkmcnt(4)
	v_fma_f64 v[4:5], -v[20:21], v[44:45], v[4:5]
	v_fma_f64 v[4:5], -v[22:23], v[50:51], v[4:5]
	s_waitcnt lgkmcnt(3)
	v_fma_f64 v[4:5], -v[24:25], v[40:41], v[4:5]
	ds_read_b128 v[48:51], v78 offset:1712
	v_fma_f64 v[4:5], -v[26:27], v[62:63], v[4:5]
	s_waitcnt lgkmcnt(2)
	v_fma_f64 v[4:5], -v[28:29], v[56:57], v[4:5]
	v_fma_f64 v[4:5], -v[30:31], v[38:39], v[4:5]
	ds_read_b128 v[36:39], v78 offset:2032
	s_waitcnt lgkmcnt(2)
	v_fma_f64 v[4:5], -v[32:33], v[84:85], v[4:5]
	v_fma_f64 v[4:5], -v[34:35], v[70:71], v[4:5]
	s_waitcnt lgkmcnt(1)
	v_fma_f64 v[4:5], -v[16:17], v[48:49], v[4:5]
	v_fma_f64 v[4:5], -v[18:19], v[54:55], v[4:5]
	ds_read2_b64 v[52:55], v78 offset0:195 offset1:196
	v_mul_f64 v[14:15], v[80:81], v[14:15]
	s_waitcnt lgkmcnt(1)
	v_fma_f64 v[4:5], -v[12:13], v[36:37], v[4:5]
	v_fma_f64 v[36:37], -v[14:15], v[82:83], v[4:5]
	global_load_dwordx4 v[80:83], v[72:73], off offset:144
	ds_read2_b64 v[60:63], v78 offset0:35 offset1:36
	v_mul_f64 v[4:5], v[8:9], v[66:67]
	ds_read2_b64 v[64:67], v78 offset0:75 offset1:76
	ds_read2_b64 v[68:71], v78 offset0:115 offset1:116
	v_fma_f64 v[40:41], v[6:7], s[0:1], -v[4:5]
	ds_read_b128 v[4:7], v78 offset:2352
	s_waitcnt lgkmcnt(3)
	v_fma_f64 v[40:41], -v[10:11], v[60:61], v[40:41]
	v_fma_f64 v[40:41], -v[20:21], v[46:47], v[40:41]
	ds_read2_b64 v[44:47], v78 offset0:155 offset1:156
	s_waitcnt lgkmcnt(3)
	v_fma_f64 v[40:41], -v[22:23], v[64:65], v[40:41]
	v_fma_f64 v[48:49], -v[24:25], v[42:43], v[40:41]
	s_waitcnt lgkmcnt(1)
	v_mul_f64 v[4:5], v[4:5], v[36:37]
	v_fma_f64 v[36:37], -v[26:27], v[68:69], v[48:49]
	v_fma_f64 v[36:37], -v[28:29], v[58:59], v[36:37]
	s_waitcnt lgkmcnt(0)
	v_fma_f64 v[36:37], -v[30:31], v[44:45], v[36:37]
	v_fma_f64 v[36:37], -v[32:33], v[86:87], v[36:37]
	v_mov_b32_e32 v56, 0x898
	v_fma_f64 v[36:37], -v[34:35], v[52:53], v[36:37]
	ds_read2_b64 v[40:43], v56 offset1:1
	v_fma_f64 v[36:37], -v[16:17], v[50:51], v[36:37]
	ds_read_b128 v[48:51], v78 offset:128
	ds_read2_b64 v[56:59], v78 offset0:235 offset1:236
	ds_read2_b64 v[84:87], v78 offset0:37 offset1:38
	s_waitcnt lgkmcnt(1)
	v_fma_f64 v[36:37], -v[18:19], v[56:57], v[36:37]
	v_fma_f64 v[36:37], -v[12:13], v[38:39], v[36:37]
	;; [unrolled: 1-line block ×4, first 2 shown]
	v_mul_f64 v[40:41], v[8:9], v[48:49]
	ds_read_b128 v[36:39], v78 offset:448
	s_waitcnt vmcnt(1)
	v_fma_f64 v[0:1], v[0:1], s[0:1], -v[40:41]
	v_fma_f64 v[0:1], -v[10:11], v[62:63], v[0:1]
	ds_read_b128 v[60:63], v78 offset:768
	s_waitcnt lgkmcnt(1)
	v_fma_f64 v[0:1], -v[20:21], v[36:37], v[0:1]
	v_fma_f64 v[0:1], -v[22:23], v[66:67], v[0:1]
	ds_read_b128 v[64:67], v78 offset:1088
	s_waitcnt lgkmcnt(1)
	v_fma_f64 v[0:1], -v[24:25], v[60:61], v[0:1]
	v_fma_f64 v[0:1], -v[26:27], v[70:71], v[0:1]
	ds_read_b128 v[68:71], v78 offset:1408
	v_mov_b32_e32 v36, 0x9d8
	s_waitcnt lgkmcnt(1)
	v_fma_f64 v[0:1], -v[28:29], v[64:65], v[0:1]
	v_fma_f64 v[0:1], -v[30:31], v[46:47], v[0:1]
	ds_read_b128 v[44:47], v78 offset:1728
	s_waitcnt lgkmcnt(1)
	v_fma_f64 v[0:1], -v[32:33], v[68:69], v[0:1]
	v_fma_f64 v[0:1], -v[34:35], v[54:55], v[0:1]
	ds_read_b128 v[52:55], v78 offset:2048
	s_waitcnt lgkmcnt(1)
	v_fma_f64 v[0:1], -v[16:17], v[44:45], v[0:1]
	v_fma_f64 v[0:1], -v[18:19], v[58:59], v[0:1]
	ds_read2_b64 v[56:59], v36 offset1:1
	s_waitcnt lgkmcnt(1)
	v_fma_f64 v[0:1], -v[12:13], v[52:53], v[0:1]
	v_fma_f64 v[0:1], -v[14:15], v[42:43], v[0:1]
	ds_read_b128 v[40:43], v78 offset:2368
	s_waitcnt lgkmcnt(1)
	v_mul_f64 v[6:7], v[56:57], v[6:7]
	s_waitcnt lgkmcnt(0)
	v_fma_f64 v[0:1], -v[4:5], v[40:41], v[0:1]
	v_fma_f64 v[40:41], -v[6:7], v[58:59], v[0:1]
	ds_read2_b64 v[56:59], v78 offset0:77 offset1:78
	v_mul_f64 v[0:1], v[8:9], v[50:51]
	v_fma_f64 v[36:37], v[2:3], s[0:1], -v[0:1]
	ds_read2_b64 v[0:3], v78 offset0:117 offset1:118
	v_fma_f64 v[36:37], -v[10:11], v[84:85], v[36:37]
	v_fma_f64 v[44:45], -v[20:21], v[38:39], v[36:37]
	ds_read2_b64 v[36:39], v78 offset0:157 offset1:158
	ds_read2_b64 v[48:51], v78 offset0:197 offset1:198
	s_waitcnt lgkmcnt(3)
	v_fma_f64 v[44:45], -v[22:23], v[56:57], v[44:45]
	v_fma_f64 v[44:45], -v[24:25], v[62:63], v[44:45]
	s_waitcnt lgkmcnt(2)
	v_fma_f64 v[0:1], -v[26:27], v[0:1], v[44:45]
	v_fma_f64 v[0:1], -v[28:29], v[66:67], v[0:1]
	ds_read2_b64 v[60:63], v78 offset0:237 offset1:238
	s_waitcnt lgkmcnt(2)
	v_fma_f64 v[0:1], -v[30:31], v[36:37], v[0:1]
	v_fma_f64 v[0:1], -v[32:33], v[70:71], v[0:1]
	v_mov_b32_e32 v36, 0x8a8
	s_waitcnt lgkmcnt(1)
	v_fma_f64 v[0:1], -v[34:35], v[48:49], v[0:1]
	v_fma_f64 v[0:1], -v[16:17], v[46:47], v[0:1]
	ds_read2_b64 v[44:47], v36 offset1:1
	ds_read_b128 v[68:71], v78 offset:464
	s_waitcnt lgkmcnt(2)
	v_fma_f64 v[0:1], -v[18:19], v[60:61], v[0:1]
	v_mov_b32_e32 v36, 0x9e8
	ds_read_b128 v[64:67], v78 offset:2688
	v_fma_f64 v[0:1], -v[12:13], v[54:55], v[0:1]
	ds_read2_b64 v[52:55], v36 offset1:1
	s_waitcnt lgkmcnt(3)
	v_fma_f64 v[0:1], -v[14:15], v[44:45], v[0:1]
	v_fma_f64 v[0:1], -v[4:5], v[42:43], v[0:1]
	s_waitcnt lgkmcnt(1)
	v_mul_f64 v[40:41], v[64:65], v[40:41]
	v_mov_b32_e32 v36, 0xb28
	s_waitcnt lgkmcnt(0)
	v_fma_f64 v[0:1], -v[6:7], v[52:53], v[0:1]
	ds_read2_b64 v[42:45], v36 offset1:1
	v_fma_f64 v[0:1], -v[40:41], v[66:67], v[0:1]
	ds_read_b128 v[64:67], v78 offset:144
	s_waitcnt lgkmcnt(1)
	v_mul_f64 v[42:43], v[42:43], v[0:1]
	s_waitcnt lgkmcnt(0)
	v_mul_f64 v[0:1], v[8:9], v[64:65]
	s_waitcnt vmcnt(0)
	v_fma_f64 v[0:1], v[80:81], s[0:1], -v[0:1]
	v_fma_f64 v[0:1], -v[10:11], v[86:87], v[0:1]
	v_fma_f64 v[0:1], -v[20:21], v[68:69], v[0:1]
	;; [unrolled: 1-line block ×3, first 2 shown]
	ds_read_b128 v[56:59], v78 offset:784
	s_waitcnt lgkmcnt(0)
	v_fma_f64 v[0:1], -v[24:25], v[56:57], v[0:1]
	v_fma_f64 v[36:37], -v[26:27], v[2:3], v[0:1]
	ds_read_b128 v[0:3], v78 offset:1104
	s_waitcnt lgkmcnt(0)
	v_fma_f64 v[0:1], -v[28:29], v[0:1], v[36:37]
	v_fma_f64 v[0:1], -v[30:31], v[38:39], v[0:1]
	;; [unrolled: 4-line block ×5, first 2 shown]
	ds_read_b128 v[46:49], v78 offset:2384
	global_store_dwordx4 v[72:73], v[8:11], off
	global_store_dwordx4 v[72:73], v[20:23], off offset:16
	v_mul_f64 v[8:9], v[8:9], v[66:67]
	v_fma_f64 v[8:9], v[82:83], s[0:1], -v[8:9]
	s_waitcnt lgkmcnt(0)
	v_fma_f64 v[0:1], -v[4:5], v[46:47], v[0:1]
	v_fma_f64 v[0:1], -v[6:7], v[54:55], v[0:1]
	ds_read_b128 v[52:55], v78 offset:2704
	global_store_dwordx4 v[72:73], v[24:27], off offset:32
	global_store_dwordx4 v[72:73], v[28:31], off offset:48
	;; [unrolled: 1-line block ×4, first 2 shown]
	ds_read2_b64 v[64:67], v78 offset0:39 offset1:79
	s_waitcnt lgkmcnt(1)
	v_fma_f64 v[0:1], -v[40:41], v[52:53], v[0:1]
	v_fma_f64 v[0:1], -v[42:43], v[44:45], v[0:1]
	ds_read_b128 v[44:47], v78 offset:3024
	global_store_dwordx4 v[72:73], v[12:15], off offset:96
	global_store_dwordx4 v[72:73], v[4:7], off offset:112
	;; [unrolled: 1-line block ×3, first 2 shown]
	s_waitcnt lgkmcnt(1)
	v_fma_f64 v[36:37], -v[10:11], v[64:65], v[8:9]
	ds_read2_b64 v[8:11], v78 offset0:119 offset1:159
	v_fma_f64 v[20:21], -v[20:21], v[70:71], v[36:37]
	v_fma_f64 v[20:21], -v[22:23], v[66:67], v[20:21]
	;; [unrolled: 1-line block ×3, first 2 shown]
	ds_read2_b64 v[20:23], v78 offset0:199 offset1:239
	s_waitcnt lgkmcnt(1)
	v_fma_f64 v[8:9], -v[26:27], v[8:9], v[24:25]
	v_fma_f64 v[2:3], -v[28:29], v[2:3], v[8:9]
	;; [unrolled: 1-line block ×4, first 2 shown]
	s_waitcnt lgkmcnt(0)
	v_fma_f64 v[2:3], -v[34:35], v[20:21], v[2:3]
	v_add_u32_e64 v20, s8, 0
	ds_read2_b64 v[8:11], v20 offset0:23 offset1:63
	v_fma_f64 v[2:3], -v[16:17], v[50:51], v[2:3]
	v_fma_f64 v[2:3], -v[18:19], v[22:23], v[2:3]
	;; [unrolled: 1-line block ×3, first 2 shown]
	ds_read2_b64 v[16:19], v20 offset0:103 offset1:143
	s_waitcnt lgkmcnt(1)
	v_fma_f64 v[2:3], -v[14:15], v[8:9], v[2:3]
	v_fma_f64 v[2:3], -v[4:5], v[48:49], v[2:3]
	;; [unrolled: 1-line block ×4, first 2 shown]
	v_mul_f64 v[0:1], v[44:45], v[0:1]
	s_waitcnt lgkmcnt(0)
	v_fma_f64 v[2:3], -v[42:43], v[16:17], v[2:3]
	v_fma_f64 v[2:3], -v[0:1], v[46:47], v[2:3]
	v_mul_f64 v[2:3], v[18:19], v[2:3]
	s_mov_b32 s8, 20
	global_store_dwordx4 v[72:73], v[0:3], off offset:144
.LBB90_37:
	s_cmp_lt_i32 s8, s16
	s_cbranch_scc0 .LBB90_57
; %bb.38:
	s_add_i32 s9, s8, 15
	s_cmp_ge_u32 s9, s16
	s_cbranch_scc1 .LBB90_46
; %bb.39:
	s_lshl_b32 s13, s8, 3
	v_add_co_u32_e32 v28, vcc, s13, v72
	v_addc_co_u32_e32 v29, vcc, 0, v73, vcc
	global_load_dwordx4 v[0:3], v[28:29], off
	global_load_dwordx4 v[4:7], v[28:29], off offset:16
	global_load_dwordx4 v[8:11], v[28:29], off offset:32
	;; [unrolled: 1-line block ×7, first 2 shown]
	s_mov_b32 s12, 0
	s_andn2_b64 vcc, exec, s[6:7]
	s_waitcnt vmcnt(7)
	v_mul_f64 v[0:1], v[0:1], s[0:1]
	v_mul_f64 v[2:3], v[2:3], s[0:1]
	s_waitcnt vmcnt(6)
	v_mul_f64 v[24:25], v[4:5], s[0:1]
	v_mul_f64 v[54:55], v[6:7], s[0:1]
	;; [unrolled: 3-line block ×8, first 2 shown]
	s_cbranch_vccnz .LBB90_45
; %bb.40:
	s_max_u32 s6, s8, 1
	s_cmp_eq_u32 s6, 1
	s_cbranch_scc1 .LBB90_43
; %bb.41:
	s_and_b32 s12, s6, 20
	s_add_u32 s7, s10, s4
	s_addc_u32 s14, s11, s5
	s_add_u32 s7, s7, s2
	s_addc_u32 s14, s14, s3
	v_mov_b32_e32 v4, s14
	v_add_co_u32_e32 v5, vcc, s7, v74
	v_addc_co_u32_e32 v6, vcc, v4, v75, vcc
	v_add_co_u32_e32 v4, vcc, 8, v5
	v_addc_co_u32_e32 v5, vcc, 0, v6, vcc
	s_mov_b32 s7, 0
.LBB90_42:                              ; =>This Inner Loop Header: Depth=1
	global_load_dwordx4 v[6:9], v[4:5], off offset:-8
	v_mov_b32_e32 v92, s13
	ds_read_b128 v[10:13], v92
	ds_read_b128 v[14:17], v92 offset:16
	ds_read_b128 v[18:21], v92 offset:32
	;; [unrolled: 1-line block ×10, first 2 shown]
	s_add_i32 s7, s7, 2
	s_addk_i32 s13, 0x140
	v_add_co_u32_e32 v4, vcc, 16, v4
	v_addc_co_u32_e32 v5, vcc, 0, v5, vcc
	s_cmp_lg_u32 s12, s7
	s_waitcnt vmcnt(0) lgkmcnt(10)
	v_fma_f64 v[0:1], -v[6:7], v[10:11], v[0:1]
	v_fma_f64 v[2:3], -v[6:7], v[12:13], v[2:3]
	ds_read_b128 v[10:13], v92 offset:208
	s_waitcnt lgkmcnt(10)
	v_fma_f64 v[22:23], -v[6:7], v[14:15], v[24:25]
	v_fma_f64 v[26:27], -v[6:7], v[16:17], v[54:55]
	ds_read_b128 v[14:17], v92 offset:224
	s_waitcnt lgkmcnt(10)
	;; [unrolled: 4-line block ×5, first 2 shown]
	v_fma_f64 v[40:41], -v[6:7], v[64:65], v[40:41]
	v_fma_f64 v[38:39], -v[6:7], v[66:67], v[38:39]
	s_waitcnt lgkmcnt(9)
	v_fma_f64 v[36:37], -v[6:7], v[68:69], v[36:37]
	v_fma_f64 v[34:35], -v[6:7], v[70:71], v[34:35]
	s_waitcnt lgkmcnt(8)
	v_fma_f64 v[32:33], -v[6:7], v[76:77], v[32:33]
	v_fma_f64 v[6:7], -v[6:7], v[78:79], v[30:31]
	s_waitcnt lgkmcnt(7)
	v_fma_f64 v[0:1], -v[8:9], v[80:81], v[0:1]
	v_fma_f64 v[2:3], -v[8:9], v[82:83], v[2:3]
	s_waitcnt lgkmcnt(6)
	v_fma_f64 v[24:25], -v[8:9], v[84:85], v[22:23]
	v_fma_f64 v[54:55], -v[8:9], v[86:87], v[26:27]
	s_waitcnt lgkmcnt(5)
	v_fma_f64 v[52:53], -v[8:9], v[88:89], v[52:53]
	v_fma_f64 v[50:51], -v[8:9], v[90:91], v[50:51]
	s_waitcnt lgkmcnt(4)
	v_fma_f64 v[48:49], -v[8:9], v[10:11], v[48:49]
	v_fma_f64 v[46:47], -v[8:9], v[12:13], v[46:47]
	s_waitcnt lgkmcnt(3)
	v_fma_f64 v[44:45], -v[8:9], v[14:15], v[44:45]
	v_fma_f64 v[42:43], -v[8:9], v[16:17], v[42:43]
	s_waitcnt lgkmcnt(2)
	v_fma_f64 v[40:41], -v[8:9], v[18:19], v[40:41]
	v_fma_f64 v[38:39], -v[8:9], v[20:21], v[38:39]
	s_waitcnt lgkmcnt(1)
	v_fma_f64 v[36:37], -v[8:9], v[56:57], v[36:37]
	v_fma_f64 v[34:35], -v[8:9], v[58:59], v[34:35]
	s_waitcnt lgkmcnt(0)
	v_fma_f64 v[32:33], -v[8:9], v[60:61], v[32:33]
	v_fma_f64 v[30:31], -v[8:9], v[62:63], v[6:7]
	s_cbranch_scc1 .LBB90_42
.LBB90_43:
	s_bitcmp0_b32 s6, 0
	s_cbranch_scc1 .LBB90_45
; %bb.44:
	s_lshl_b32 s6, s12, 3
	v_add_co_u32_e32 v4, vcc, s6, v72
	v_addc_co_u32_e32 v5, vcc, 0, v73, vcc
	global_load_dwordx2 v[26:27], v[4:5], off
	s_mul_i32 s6, s12, 20
	s_add_i32 s6, s6, s8
	s_lshl_b32 s6, s6, 3
	v_mov_b32_e32 v64, s6
	ds_read_b128 v[4:7], v64
	ds_read_b128 v[8:11], v64 offset:16
	ds_read_b128 v[12:15], v64 offset:32
	;; [unrolled: 1-line block ×7, first 2 shown]
	s_waitcnt vmcnt(0) lgkmcnt(7)
	v_fma_f64 v[0:1], -v[26:27], v[4:5], v[0:1]
	v_fma_f64 v[2:3], -v[26:27], v[6:7], v[2:3]
	s_waitcnt lgkmcnt(6)
	v_fma_f64 v[24:25], -v[26:27], v[8:9], v[24:25]
	v_fma_f64 v[54:55], -v[26:27], v[10:11], v[54:55]
	s_waitcnt lgkmcnt(5)
	;; [unrolled: 3-line block ×7, first 2 shown]
	v_fma_f64 v[32:33], -v[26:27], v[64:65], v[32:33]
	v_fma_f64 v[30:31], -v[26:27], v[66:67], v[30:31]
.LBB90_45:
	s_mul_i32 s7, s8, 0xa8
	v_mov_b32_e32 v56, s7
	ds_read_b128 v[16:19], v56
	ds_read_b128 v[8:11], v56 offset:16
	ds_read2_b64 v[58:61], v56 offset0:21 offset1:22
	ds_read_b128 v[12:15], v56 offset:32
	ds_read_b128 v[4:7], v56 offset:48
	s_waitcnt lgkmcnt(4)
	v_mul_f64 v[0:1], v[16:17], v[0:1]
	v_fma_f64 v[2:3], -v[0:1], v[18:19], v[2:3]
	ds_read2_b64 v[16:19], v56 offset0:23 offset1:24
	ds_read_b128 v[20:23], v56 offset:336
	ds_read_b128 v[62:65], v56 offset:352
	s_waitcnt lgkmcnt(5)
	v_mul_f64 v[2:3], v[58:59], v[2:3]
	v_fma_f64 v[8:9], -v[0:1], v[8:9], v[24:25]
	v_fma_f64 v[8:9], -v[2:3], v[60:61], v[8:9]
	ds_read2_b64 v[58:61], v56 offset0:63 offset1:64
	v_fma_f64 v[10:11], -v[0:1], v[10:11], v[54:55]
	ds_read2_b64 v[24:27], v56 offset0:33 offset1:34
	s_waitcnt lgkmcnt(3)
	v_mul_f64 v[8:9], v[20:21], v[8:9]
	v_fma_f64 v[10:11], -v[2:3], v[16:17], v[10:11]
	v_fma_f64 v[10:11], -v[8:9], v[22:23], v[10:11]
	ds_read2_b64 v[20:23], v56 offset0:65 offset1:66
	v_fma_f64 v[12:13], -v[0:1], v[12:13], v[52:53]
	s_waitcnt lgkmcnt(2)
	v_mul_f64 v[10:11], v[58:59], v[10:11]
	v_fma_f64 v[12:13], -v[2:3], v[18:19], v[12:13]
	global_store_dwordx4 v[28:29], v[0:3], off
	global_store_dwordx4 v[28:29], v[8:11], off offset:16
	v_fma_f64 v[12:13], -v[8:9], v[62:63], v[12:13]
	ds_read_b128 v[16:19], v56 offset:368
	ds_read_b128 v[52:55], v56 offset:672
	v_fma_f64 v[12:13], -v[10:11], v[60:61], v[12:13]
	ds_read_b128 v[58:61], v56 offset:688
	ds_read2_b64 v[66:69], v56 offset0:25 offset1:26
	v_fma_f64 v[14:15], -v[0:1], v[14:15], v[50:51]
	v_fma_f64 v[4:5], -v[0:1], v[4:5], v[48:49]
	s_waitcnt lgkmcnt(2)
	v_mul_f64 v[12:13], v[52:53], v[12:13]
	ds_read2_b64 v[50:53], v56 offset0:105 offset1:126
	ds_read2_b64 v[76:79], v56 offset0:27 offset1:28
	s_waitcnt lgkmcnt(2)
	v_fma_f64 v[14:15], -v[2:3], v[66:67], v[14:15]
	v_fma_f64 v[14:15], -v[8:9], v[64:65], v[14:15]
	;; [unrolled: 1-line block ×4, first 2 shown]
	s_waitcnt lgkmcnt(1)
	v_mul_f64 v[14:15], v[50:51], v[14:15]
	ds_read_b128 v[48:51], v56 offset:848
	ds_read_b128 v[62:65], v56 offset:864
	v_fma_f64 v[4:5], -v[2:3], v[68:69], v[4:5]
	v_fma_f64 v[4:5], -v[8:9], v[16:17], v[4:5]
	;; [unrolled: 1-line block ×4, first 2 shown]
	s_waitcnt lgkmcnt(1)
	v_fma_f64 v[4:5], -v[14:15], v[48:49], v[4:5]
	v_mul_f64 v[4:5], v[52:53], v[4:5]
	ds_read2_b64 v[52:55], v56 offset0:67 offset1:68
	v_fma_f64 v[6:7], -v[0:1], v[6:7], v[46:47]
	ds_read2_b64 v[46:49], v56 offset0:69 offset1:70
	global_store_dwordx4 v[28:29], v[12:15], off offset:32
	v_fma_f64 v[6:7], -v[2:3], v[76:77], v[6:7]
	v_fma_f64 v[6:7], -v[8:9], v[18:19], v[6:7]
	ds_read2_b64 v[66:69], v56 offset0:127 offset1:128
	ds_read2_b64 v[16:19], v56 offset0:135 offset1:147
	s_waitcnt lgkmcnt(3)
	v_fma_f64 v[6:7], -v[10:11], v[52:53], v[6:7]
	v_fma_f64 v[6:7], -v[12:13], v[60:61], v[6:7]
	;; [unrolled: 1-line block ×3, first 2 shown]
	ds_read_b128 v[20:23], v56 offset:912
	ds_read_b128 v[50:53], v56 offset:64
	s_waitcnt lgkmcnt(3)
	v_fma_f64 v[6:7], -v[4:5], v[66:67], v[6:7]
	s_waitcnt lgkmcnt(2)
	v_mul_f64 v[6:7], v[18:19], v[6:7]
	global_store_dwordx4 v[28:29], v[4:7], off offset:48
	ds_read_b128 v[58:61], v56 offset:80
	ds_read_b128 v[80:83], v56 offset:384
	s_waitcnt lgkmcnt(2)
	v_fma_f64 v[18:19], -v[0:1], v[50:51], v[44:45]
	ds_read_b128 v[84:87], v56 offset:704
	v_fma_f64 v[18:19], -v[2:3], v[78:79], v[18:19]
	ds_read_b128 v[76:79], v56 offset:400
	ds_read2_b64 v[88:91], v56 offset0:29 offset1:30
	s_waitcnt lgkmcnt(3)
	v_fma_f64 v[18:19], -v[8:9], v[80:81], v[18:19]
	v_fma_f64 v[18:19], -v[10:11], v[54:55], v[18:19]
	;; [unrolled: 1-line block ×3, first 2 shown]
	ds_read_b128 v[42:45], v56 offset:720
	s_waitcnt lgkmcnt(3)
	v_fma_f64 v[18:19], -v[12:13], v[84:85], v[18:19]
	s_waitcnt lgkmcnt(1)
	v_fma_f64 v[50:51], -v[2:3], v[88:89], v[50:51]
	v_fma_f64 v[18:19], -v[14:15], v[62:63], v[18:19]
	;; [unrolled: 1-line block ×3, first 2 shown]
	ds_read2_b64 v[50:53], v56 offset0:133 offset1:134
	ds_read2_b64 v[80:83], v56 offset0:129 offset1:130
	s_or_b32 s7, s8, 8
	v_fma_f64 v[18:19], -v[4:5], v[68:69], v[18:19]
	ds_read_b128 v[66:69], v56 offset:1184
	s_mulk_i32 s7, 0xa8
	v_fma_f64 v[46:47], -v[10:11], v[46:47], v[54:55]
	v_mov_b32_e32 v57, s7
	v_fma_f64 v[46:47], -v[12:13], v[86:87], v[46:47]
	s_or_b32 s7, s8, 9
	v_fma_f64 v[46:47], -v[14:15], v[64:65], v[46:47]
	ds_read_b64 v[54:55], v57
	s_mulk_i32 s7, 0xa8
	s_waitcnt lgkmcnt(2)
	v_fma_f64 v[46:47], -v[4:5], v[80:81], v[46:47]
	s_waitcnt lgkmcnt(1)
	v_fma_f64 v[18:19], -v[6:7], v[66:67], v[18:19]
	v_mov_b32_e32 v66, s7
	v_fma_f64 v[46:47], -v[6:7], v[68:69], v[46:47]
	ds_read2_b64 v[62:65], v56 offset0:169 offset1:170
	ds_read_b64 v[68:69], v66
	s_or_b32 s7, s8, 10
	s_mulk_i32 s7, 0xa8
	v_mov_b32_e32 v70, s7
	s_or_b32 s7, s8, 11
	s_waitcnt lgkmcnt(2)
	v_mul_f64 v[66:67], v[54:55], v[18:19]
	s_mulk_i32 s7, 0xa8
	s_waitcnt lgkmcnt(1)
	v_fma_f64 v[18:19], -v[66:67], v[62:63], v[46:47]
	v_fma_f64 v[40:41], -v[0:1], v[58:59], v[40:41]
	v_mov_b32_e32 v57, s7
	s_waitcnt lgkmcnt(0)
	v_mul_f64 v[68:69], v[68:69], v[18:19]
	ds_read_b64 v[18:19], v70
	ds_read_b64 v[54:55], v57
	v_fma_f64 v[40:41], -v[2:3], v[90:91], v[40:41]
	ds_read_b128 v[84:87], v56 offset:880
	v_fma_f64 v[40:41], -v[8:9], v[76:77], v[40:41]
	v_fma_f64 v[40:41], -v[10:11], v[48:49], v[40:41]
	ds_read_b128 v[46:49], v56 offset:1200
	v_fma_f64 v[40:41], -v[12:13], v[42:43], v[40:41]
	s_waitcnt lgkmcnt(1)
	v_fma_f64 v[40:41], -v[14:15], v[84:85], v[40:41]
	v_fma_f64 v[58:59], -v[4:5], v[82:83], v[40:41]
	ds_read2_b64 v[40:43], v56 offset0:31 offset1:32
	s_waitcnt lgkmcnt(1)
	v_fma_f64 v[46:47], -v[6:7], v[46:47], v[58:59]
	v_fma_f64 v[46:47], -v[66:67], v[64:65], v[46:47]
	ds_read_b128 v[62:65], v56 offset:1520
	ds_read2_b64 v[80:83], v56 offset0:211 offset1:212
	v_fma_f64 v[38:39], -v[0:1], v[60:61], v[38:39]
	ds_read2_b64 v[58:61], v56 offset0:71 offset1:72
	s_waitcnt lgkmcnt(3)
	v_fma_f64 v[38:39], -v[2:3], v[40:41], v[38:39]
	v_fma_f64 v[70:71], -v[8:9], v[78:79], v[38:39]
	ds_read2_b64 v[38:41], v56 offset0:131 offset1:132
	ds_read2_b64 v[76:79], v56 offset0:171 offset1:172
	s_waitcnt lgkmcnt(4)
	v_fma_f64 v[46:47], -v[68:69], v[62:63], v[46:47]
	v_mul_f64 v[46:47], v[18:19], v[46:47]
	s_waitcnt lgkmcnt(2)
	v_fma_f64 v[18:19], -v[10:11], v[58:59], v[70:71]
	v_fma_f64 v[18:19], -v[12:13], v[44:45], v[18:19]
	;; [unrolled: 1-line block ×3, first 2 shown]
	s_waitcnt lgkmcnt(1)
	v_fma_f64 v[18:19], -v[4:5], v[38:39], v[18:19]
	ds_read_b128 v[84:87], v56 offset:96
	v_fma_f64 v[18:19], -v[6:7], v[48:49], v[18:19]
	s_waitcnt lgkmcnt(1)
	v_fma_f64 v[18:19], -v[66:67], v[76:77], v[18:19]
	v_fma_f64 v[18:19], -v[68:69], v[64:65], v[18:19]
	ds_read_b128 v[62:65], v56 offset:416
	v_fma_f64 v[18:19], -v[46:47], v[80:81], v[18:19]
	v_mul_f64 v[48:49], v[54:55], v[18:19]
	s_waitcnt lgkmcnt(1)
	v_fma_f64 v[18:19], -v[0:1], v[84:85], v[36:37]
	v_fma_f64 v[18:19], -v[2:3], v[42:43], v[18:19]
	ds_read_b128 v[36:39], v56 offset:736
	ds_read_b128 v[42:45], v56 offset:896
	s_waitcnt lgkmcnt(2)
	v_fma_f64 v[18:19], -v[8:9], v[62:63], v[18:19]
	v_fma_f64 v[18:19], -v[10:11], v[60:61], v[18:19]
	ds_read_b128 v[58:61], v56 offset:1216
	s_waitcnt lgkmcnt(2)
	v_fma_f64 v[18:19], -v[12:13], v[36:37], v[18:19]
	s_waitcnt lgkmcnt(1)
	v_fma_f64 v[18:19], -v[14:15], v[42:43], v[18:19]
	v_fma_f64 v[18:19], -v[4:5], v[40:41], v[18:19]
	ds_read_b128 v[40:43], v56 offset:1536
	s_waitcnt lgkmcnt(1)
	v_fma_f64 v[18:19], -v[6:7], v[58:59], v[18:19]
	v_fma_f64 v[18:19], -v[66:67], v[78:79], v[18:19]
	ds_read_b128 v[76:79], v56 offset:1232
	global_store_dwordx4 v[28:29], v[66:69], off offset:64
	s_waitcnt lgkmcnt(1)
	v_fma_f64 v[18:19], -v[68:69], v[40:41], v[18:19]
	v_fma_f64 v[18:19], -v[46:47], v[82:83], v[18:19]
	ds_read2_b64 v[80:83], v56 offset0:73 offset1:74
	v_fma_f64 v[40:41], -v[0:1], v[86:87], v[34:35]
	v_fma_f64 v[24:25], -v[2:3], v[24:25], v[40:41]
	;; [unrolled: 1-line block ×3, first 2 shown]
	ds_read2_b64 v[34:37], v56 offset0:173 offset1:174
	s_waitcnt lgkmcnt(1)
	v_fma_f64 v[24:25], -v[10:11], v[80:81], v[24:25]
	v_fma_f64 v[24:25], -v[12:13], v[38:39], v[24:25]
	;; [unrolled: 1-line block ×5, first 2 shown]
	ds_read2_b64 v[58:61], v56 offset0:213 offset1:214
	ds_read_b128 v[84:87], v56 offset:1856
	ds_read_b128 v[38:41], v56 offset:112
	s_waitcnt lgkmcnt(3)
	v_fma_f64 v[24:25], -v[66:67], v[34:35], v[24:25]
	v_fma_f64 v[24:25], -v[68:69], v[42:43], v[24:25]
	s_waitcnt lgkmcnt(2)
	v_fma_f64 v[24:25], -v[46:47], v[58:59], v[24:25]
	s_waitcnt lgkmcnt(1)
	v_fma_f64 v[18:19], -v[48:49], v[84:85], v[18:19]
	v_fma_f64 v[54:55], -v[48:49], v[86:87], v[24:25]
	ds_read_b128 v[84:87], v56 offset:432
	s_waitcnt lgkmcnt(1)
	v_fma_f64 v[24:25], -v[0:1], v[38:39], v[32:33]
	ds_read_b128 v[62:65], v56 offset:1552
	v_fma_f64 v[32:33], -v[2:3], v[26:27], v[24:25]
	ds_read_b128 v[24:27], v56 offset:752
	s_waitcnt lgkmcnt(2)
	v_fma_f64 v[32:33], -v[8:9], v[84:85], v[32:33]
	v_fma_f64 v[32:33], -v[10:11], v[82:83], v[32:33]
	ds_read2_b64 v[42:45], v56 offset0:252 offset1:255
	global_store_dwordx4 v[28:29], v[46:49], off offset:80
	s_waitcnt lgkmcnt(1)
	v_fma_f64 v[24:25], -v[12:13], v[24:25], v[32:33]
	v_fma_f64 v[20:21], -v[14:15], v[20:21], v[24:25]
	;; [unrolled: 1-line block ×3, first 2 shown]
	v_add_u32_e32 v38, 0x800, v56
	ds_read2_b64 v[32:35], v56 offset0:253 offset1:254
	ds_read2_b64 v[50:53], v38 offset0:17 offset1:38
	v_fma_f64 v[20:21], -v[6:7], v[76:77], v[20:21]
	v_fma_f64 v[24:25], -v[66:67], v[36:37], v[20:21]
	ds_read_b128 v[36:39], v56 offset:1872
	s_waitcnt lgkmcnt(3)
	v_mul_f64 v[18:19], v[42:43], v[18:19]
	s_waitcnt lgkmcnt(2)
	v_fma_f64 v[20:21], -v[18:19], v[32:33], v[54:55]
	v_fma_f64 v[24:25], -v[68:69], v[62:63], v[24:25]
	s_waitcnt lgkmcnt(1)
	v_mul_f64 v[20:21], v[50:51], v[20:21]
	v_fma_f64 v[24:25], -v[46:47], v[60:61], v[24:25]
	ds_read_b128 v[58:61], v56 offset:2192
	global_store_dwordx4 v[28:29], v[18:21], off offset:96
	s_waitcnt lgkmcnt(1)
	v_fma_f64 v[24:25], -v[48:49], v[36:37], v[24:25]
	v_fma_f64 v[24:25], -v[18:19], v[34:35], v[24:25]
	ds_read2_b64 v[32:35], v56 offset0:35 offset1:75
	ds_read_b64 v[36:37], v56 offset:2360
	v_fma_f64 v[0:1], -v[0:1], v[40:41], v[30:31]
	s_mul_i32 s7, s9, 0xa8
	s_waitcnt lgkmcnt(2)
	v_fma_f64 v[24:25], -v[20:21], v[58:59], v[24:25]
	s_waitcnt lgkmcnt(1)
	v_fma_f64 v[0:1], -v[2:3], v[32:33], v[0:1]
	v_fma_f64 v[0:1], -v[8:9], v[86:87], v[0:1]
	;; [unrolled: 1-line block ×3, first 2 shown]
	ds_read2_b64 v[0:3], v56 offset0:175 offset1:215
	v_fma_f64 v[8:9], -v[12:13], v[26:27], v[8:9]
	v_fma_f64 v[8:9], -v[14:15], v[22:23], v[8:9]
	;; [unrolled: 1-line block ×4, first 2 shown]
	s_waitcnt lgkmcnt(0)
	v_fma_f64 v[0:1], -v[66:67], v[0:1], v[4:5]
	v_fma_f64 v[0:1], -v[68:69], v[64:65], v[0:1]
	;; [unrolled: 1-line block ×3, first 2 shown]
	v_mov_b32_e32 v2, s7
	ds_read_b64 v[2:3], v2
	v_fma_f64 v[0:1], -v[48:49], v[38:39], v[0:1]
	v_fma_f64 v[0:1], -v[18:19], v[44:45], v[0:1]
	v_mul_f64 v[24:25], v[52:53], v[24:25]
	v_fma_f64 v[0:1], -v[20:21], v[60:61], v[0:1]
	s_add_i32 s6, s8, 16
	v_fma_f64 v[0:1], -v[24:25], v[36:37], v[0:1]
	s_waitcnt lgkmcnt(0)
	v_mul_f64 v[26:27], v[2:3], v[0:1]
	s_mov_b32 s8, s6
	global_store_dwordx4 v[28:29], v[24:27], off offset:112
.LBB90_46:
	s_cmp_ge_i32 s8, s16
	s_cbranch_scc1 .LBB90_57
; %bb.47:
	s_add_i32 s6, s8, -1
	s_lshl_b32 s7, s8, 3
	s_add_u32 s4, s10, s4
	s_addc_u32 s5, s11, s5
	s_add_u32 s2, s4, s2
	s_addc_u32 s3, s5, s3
	v_mov_b32_e32 v0, s3
	v_add_co_u32_e32 v8, vcc, s2, v74
	v_addc_co_u32_e32 v9, vcc, v0, v75, vcc
	v_add_co_u32_e32 v0, vcc, 56, v8
	v_addc_co_u32_e32 v1, vcc, 0, v9, vcc
	s_mov_b32 s3, 0
	s_mov_b32 s5, s8
	;; [unrolled: 1-line block ×3, first 2 shown]
	s_branch .LBB90_49
.LBB90_48:                              ;   in Loop: Header=BB90_49 Depth=1
	s_mul_i32 s2, s8, 0xa8
	v_mov_b32_e32 v6, s2
	ds_read_b64 v[6:7], v6
	s_add_i32 s8, s8, 1
	s_add_i32 s4, s4, 1
	;; [unrolled: 1-line block ×3, first 2 shown]
	v_add_u16_e64 v10, s5, 1
	s_waitcnt lgkmcnt(0)
	v_mul_f64 v[4:5], v[6:7], v[4:5]
	s_cmp_ge_i32 s8, s16
	v_readfirstlane_b32 s5, v10
	global_store_dwordx2 v[2:3], v[4:5], off
	s_cbranch_scc1 .LBB90_57
.LBB90_49:                              ; =>This Loop Header: Depth=1
                                        ;     Child Loop BB90_52 Depth 2
                                        ;     Child Loop BB90_56 Depth 2
	s_ashr_i32 s9, s8, 31
	s_lshl_b64 s[10:11], s[8:9], 3
	v_mov_b32_e32 v3, s11
	v_add_co_u32_e32 v2, vcc, s10, v72
	v_addc_co_u32_e32 v3, vcc, v73, v3, vcc
	global_load_dwordx2 v[4:5], v[2:3], off
	s_cmp_eq_u32 s8, 0
	s_waitcnt vmcnt(0)
	v_mul_f64 v[4:5], v[4:5], s[0:1]
	s_cbranch_scc1 .LBB90_48
; %bb.50:                               ;   in Loop: Header=BB90_49 Depth=1
	s_add_i32 s2, s6, s4
	s_cmp_lt_u32 s2, 7
	s_cbranch_scc1 .LBB90_54
; %bb.51:                               ;   in Loop: Header=BB90_49 Depth=1
	s_and_b32 s2, s8, -8
	s_mov_b32 s9, 0
	v_pk_mov_b32 v[6:7], v[0:1], v[0:1] op_sel:[0,1]
	s_mov_b32 s10, s7
.LBB90_52:                              ;   Parent Loop BB90_49 Depth=1
                                        ; =>  This Inner Loop Header: Depth=2
	global_load_dwordx4 v[10:13], v[6:7], off offset:-56
	global_load_dwordx4 v[14:17], v[6:7], off offset:-40
	global_load_dwordx4 v[18:21], v[6:7], off offset:-24
	global_load_dwordx4 v[22:25], v[6:7], off offset:-8
	v_mov_b32_e32 v38, s10
	ds_read2_b64 v[26:29], v38 offset1:20
	ds_read2_b64 v[30:33], v38 offset0:40 offset1:60
	ds_read2_b64 v[34:37], v38 offset0:80 offset1:100
	ds_read2_b64 v[38:41], v38 offset0:120 offset1:140
	s_add_i32 s9, s9, 8
	s_addk_i32 s10, 0x500
	v_add_co_u32_e32 v6, vcc, 64, v6
	v_addc_co_u32_e32 v7, vcc, 0, v7, vcc
	s_cmp_lg_u32 s2, s9
	s_waitcnt vmcnt(3) lgkmcnt(3)
	v_fma_f64 v[4:5], -v[10:11], v[26:27], v[4:5]
	v_fma_f64 v[4:5], -v[12:13], v[28:29], v[4:5]
	s_waitcnt vmcnt(2) lgkmcnt(2)
	v_fma_f64 v[4:5], -v[14:15], v[30:31], v[4:5]
	v_fma_f64 v[4:5], -v[16:17], v[32:33], v[4:5]
	;; [unrolled: 3-line block ×4, first 2 shown]
	s_cbranch_scc1 .LBB90_52
; %bb.53:                               ;   in Loop: Header=BB90_49 Depth=1
	s_and_b32 s9, s8, 7
	s_cmp_eq_u32 s9, 0
	s_cbranch_scc0 .LBB90_55
	s_branch .LBB90_48
.LBB90_54:                              ;   in Loop: Header=BB90_49 Depth=1
	s_mov_b32 s2, 0
	s_and_b32 s9, s8, 7
	s_cmp_eq_u32 s9, 0
	s_cbranch_scc1 .LBB90_48
.LBB90_55:                              ;   in Loop: Header=BB90_49 Depth=1
	s_lshl_b64 s[12:13], s[2:3], 3
	v_mov_b32_e32 v7, s13
	v_add_co_u32_e32 v6, vcc, s12, v8
	s_and_b32 s9, s5, 7
	s_mul_i32 s10, s2, 0xa0
	v_addc_co_u32_e32 v7, vcc, v9, v7, vcc
.LBB90_56:                              ;   Parent Loop BB90_49 Depth=1
                                        ; =>  This Inner Loop Header: Depth=2
	global_load_dwordx2 v[10:11], v[6:7], off
	s_add_i32 s2, s7, s10
	v_mov_b32_e32 v12, s2
	ds_read_b64 v[12:13], v12
	s_addk_i32 s10, 0xa0
	v_add_co_u32_e32 v6, vcc, 8, v6
	s_add_i32 s9, s9, -1
	v_addc_co_u32_e32 v7, vcc, 0, v7, vcc
	s_cmp_lg_u32 s9, 0
	s_waitcnt vmcnt(0) lgkmcnt(0)
	v_fma_f64 v[4:5], -v[10:11], v[12:13], v[4:5]
	s_cbranch_scc1 .LBB90_56
	s_branch .LBB90_48
.LBB90_57:
	s_endpgm
	.section	.rodata,"a",@progbits
	.p2align	6, 0x0
	.amdhsa_kernel _ZL30rocblas_trsm_small_left_deviceILi20ELi20ELb1EddPKdPdEv13rocblas_fill_18rocblas_operation_17rocblas_diagonal_iiT3_T4_lilT5_lili
		.amdhsa_group_segment_fixed_size 3200
		.amdhsa_private_segment_fixed_size 0
		.amdhsa_kernarg_size 360
		.amdhsa_user_sgpr_count 6
		.amdhsa_user_sgpr_private_segment_buffer 1
		.amdhsa_user_sgpr_dispatch_ptr 0
		.amdhsa_user_sgpr_queue_ptr 0
		.amdhsa_user_sgpr_kernarg_segment_ptr 1
		.amdhsa_user_sgpr_dispatch_id 0
		.amdhsa_user_sgpr_flat_scratch_init 0
		.amdhsa_user_sgpr_kernarg_preload_length 0
		.amdhsa_user_sgpr_kernarg_preload_offset 0
		.amdhsa_user_sgpr_private_segment_size 0
		.amdhsa_uses_dynamic_stack 0
		.amdhsa_system_sgpr_private_segment_wavefront_offset 0
		.amdhsa_system_sgpr_workgroup_id_x 1
		.amdhsa_system_sgpr_workgroup_id_y 0
		.amdhsa_system_sgpr_workgroup_id_z 1
		.amdhsa_system_sgpr_workgroup_info 0
		.amdhsa_system_vgpr_workitem_id 0
		.amdhsa_next_free_vgpr 93
		.amdhsa_next_free_sgpr 37
		.amdhsa_accum_offset 96
		.amdhsa_reserve_vcc 1
		.amdhsa_reserve_flat_scratch 0
		.amdhsa_float_round_mode_32 0
		.amdhsa_float_round_mode_16_64 0
		.amdhsa_float_denorm_mode_32 3
		.amdhsa_float_denorm_mode_16_64 3
		.amdhsa_dx10_clamp 1
		.amdhsa_ieee_mode 1
		.amdhsa_fp16_overflow 0
		.amdhsa_tg_split 0
		.amdhsa_exception_fp_ieee_invalid_op 0
		.amdhsa_exception_fp_denorm_src 0
		.amdhsa_exception_fp_ieee_div_zero 0
		.amdhsa_exception_fp_ieee_overflow 0
		.amdhsa_exception_fp_ieee_underflow 0
		.amdhsa_exception_fp_ieee_inexact 0
		.amdhsa_exception_int_div_zero 0
	.end_amdhsa_kernel
	.section	.text._ZL30rocblas_trsm_small_left_deviceILi20ELi20ELb1EddPKdPdEv13rocblas_fill_18rocblas_operation_17rocblas_diagonal_iiT3_T4_lilT5_lili,"axG",@progbits,_ZL30rocblas_trsm_small_left_deviceILi20ELi20ELb1EddPKdPdEv13rocblas_fill_18rocblas_operation_17rocblas_diagonal_iiT3_T4_lilT5_lili,comdat
.Lfunc_end90:
	.size	_ZL30rocblas_trsm_small_left_deviceILi20ELi20ELb1EddPKdPdEv13rocblas_fill_18rocblas_operation_17rocblas_diagonal_iiT3_T4_lilT5_lili, .Lfunc_end90-_ZL30rocblas_trsm_small_left_deviceILi20ELi20ELb1EddPKdPdEv13rocblas_fill_18rocblas_operation_17rocblas_diagonal_iiT3_T4_lilT5_lili
                                        ; -- End function
	.section	.AMDGPU.csdata,"",@progbits
; Kernel info:
; codeLenInByte = 16772
; NumSgprs: 41
; NumVgprs: 93
; NumAgprs: 0
; TotalNumVgprs: 93
; ScratchSize: 0
; MemoryBound: 1
; FloatMode: 240
; IeeeMode: 1
; LDSByteSize: 3200 bytes/workgroup (compile time only)
; SGPRBlocks: 5
; VGPRBlocks: 11
; NumSGPRsForWavesPerEU: 41
; NumVGPRsForWavesPerEU: 93
; AccumOffset: 96
; Occupancy: 5
; WaveLimiterHint : 1
; COMPUTE_PGM_RSRC2:SCRATCH_EN: 0
; COMPUTE_PGM_RSRC2:USER_SGPR: 6
; COMPUTE_PGM_RSRC2:TRAP_HANDLER: 0
; COMPUTE_PGM_RSRC2:TGID_X_EN: 1
; COMPUTE_PGM_RSRC2:TGID_Y_EN: 0
; COMPUTE_PGM_RSRC2:TGID_Z_EN: 1
; COMPUTE_PGM_RSRC2:TIDIG_COMP_CNT: 0
; COMPUTE_PGM_RSRC3_GFX90A:ACCUM_OFFSET: 23
; COMPUTE_PGM_RSRC3_GFX90A:TG_SPLIT: 0
	.section	.text._ZL31rocblas_trsm_small_right_deviceIddPKdPdLi20EEv13rocblas_fill_18rocblas_operation_17rocblas_diagonal_iiT0_T1_lilT2_lili,"axG",@progbits,_ZL31rocblas_trsm_small_right_deviceIddPKdPdLi20EEv13rocblas_fill_18rocblas_operation_17rocblas_diagonal_iiT0_T1_lilT2_lili,comdat
	.globl	_ZL31rocblas_trsm_small_right_deviceIddPKdPdLi20EEv13rocblas_fill_18rocblas_operation_17rocblas_diagonal_iiT0_T1_lilT2_lili ; -- Begin function _ZL31rocblas_trsm_small_right_deviceIddPKdPdLi20EEv13rocblas_fill_18rocblas_operation_17rocblas_diagonal_iiT0_T1_lilT2_lili
	.p2align	8
	.type	_ZL31rocblas_trsm_small_right_deviceIddPKdPdLi20EEv13rocblas_fill_18rocblas_operation_17rocblas_diagonal_iiT0_T1_lilT2_lili,@function
_ZL31rocblas_trsm_small_right_deviceIddPKdPdLi20EEv13rocblas_fill_18rocblas_operation_17rocblas_diagonal_iiT0_T1_lilT2_lili: ; @_ZL31rocblas_trsm_small_right_deviceIddPKdPdLi20EEv13rocblas_fill_18rocblas_operation_17rocblas_diagonal_iiT0_T1_lilT2_lili
; %bb.0:
	s_load_dwordx4 s[8:11], s[4:5], 0x0
	s_load_dword s30, s[4:5], 0x10
	s_load_dwordx4 s[12:15], s[4:5], 0x18
	s_load_dwordx2 s[20:21], s[4:5], 0x28
	s_load_dwordx4 s[0:3], s[4:5], 0x38
	s_load_dwordx2 s[16:17], s[4:5], 0x48
	s_waitcnt lgkmcnt(0)
	s_min_i32 s31, s30, 20
	s_mov_b32 s34, 0
	s_add_i32 s33, s31, -1
	v_cmp_gt_i32_e32 vcc, s31, v0
	s_and_saveexec_b64 s[18:19], vcc
	s_cbranch_execz .LBB91_9
; %bb.1:
	s_load_dword s22, s[4:5], 0x30
	s_mul_i32 s1, s7, s1
	s_mul_hi_u32 s24, s7, s0
	s_add_i32 s1, s24, s1
	s_mul_i32 s0, s7, s0
	s_waitcnt lgkmcnt(0)
	s_ashr_i32 s23, s22, 31
	s_cmp_lt_u32 s33, 3
	s_cbranch_scc1 .LBB91_4
; %bb.2:
	s_lshl_b64 s[24:25], s[0:1], 3
	s_add_u32 s26, s14, s24
	s_addc_u32 s27, s15, s25
	s_lshl_b64 s[24:25], s[20:21], 3
	s_add_u32 s24, s26, s24
	s_addc_u32 s25, s27, s25
	v_lshlrev_b32_e32 v1, 3, v0
	v_mov_b32_e32 v3, s25
	v_add_co_u32_e32 v2, vcc, s24, v1
	s_mul_hi_i32 s37, s22, 24
	s_lshl_b64 s[24:25], s[22:23], 5
	s_lshl_b64 s[26:27], s[22:23], 4
	;; [unrolled: 1-line block ×3, first 2 shown]
	v_addc_co_u32_e32 v3, vcc, 0, v3, vcc
	s_and_b32 s34, s31, -4
	s_mul_i32 s35, s22, 24
	s_mov_b32 s36, 0
	v_mov_b32_e32 v4, s29
	v_mov_b32_e32 v5, s27
	;; [unrolled: 1-line block ×4, first 2 shown]
.LBB91_3:                               ; =>This Inner Loop Header: Depth=1
	v_add_co_u32_e32 v10, vcc, s28, v2
	v_addc_co_u32_e32 v11, vcc, v3, v4, vcc
	v_add_co_u32_e32 v12, vcc, s26, v2
	v_addc_co_u32_e32 v13, vcc, v3, v5, vcc
	v_add_co_u32_e32 v14, vcc, s35, v2
	global_load_dwordx2 v[8:9], v[2:3], off
	v_addc_co_u32_e32 v15, vcc, v3, v6, vcc
	global_load_dwordx2 v[16:17], v[10:11], off
	global_load_dwordx2 v[18:19], v[12:13], off
	;; [unrolled: 1-line block ×3, first 2 shown]
	s_add_i32 s36, s36, 4
	v_add_co_u32_e32 v2, vcc, s24, v2
	v_addc_co_u32_e32 v3, vcc, v3, v7, vcc
	s_cmp_eq_u32 s34, s36
	s_waitcnt vmcnt(2)
	ds_write2_b64 v1, v[8:9], v[16:17] offset1:20
	s_waitcnt vmcnt(0)
	ds_write2_b64 v1, v[18:19], v[20:21] offset0:40 offset1:60
	v_add_u32_e32 v1, 0x280, v1
	s_cbranch_scc0 .LBB91_3
.LBB91_4:
	s_and_b32 s24, s31, 3
	s_cmp_eq_u32 s24, 0
	s_cbranch_scc1 .LBB91_7
; %bb.5:
	s_mul_i32 s25, s34, 0xa0
	v_lshl_add_u32 v1, v0, 3, s25
	s_mul_i32 s25, s23, s34
	s_mul_hi_u32 s26, s22, s34
	s_add_i32 s27, s26, s25
	s_mul_i32 s26, s22, s34
	s_lshl_b64 s[0:1], s[0:1], 3
	s_lshl_b64 s[26:27], s[26:27], 3
	s_add_u32 s25, s0, s26
	s_addc_u32 s26, s1, s27
	s_lshl_b64 s[0:1], s[20:21], 3
	s_add_u32 s0, s25, s0
	s_addc_u32 s1, s26, s1
	s_add_u32 s0, s14, s0
	v_lshlrev_b32_e32 v2, 3, v0
	s_addc_u32 s1, s15, s1
	v_mov_b32_e32 v3, s1
	v_add_co_u32_e32 v2, vcc, s0, v2
	s_lshl_b64 s[0:1], s[22:23], 3
	v_addc_co_u32_e32 v3, vcc, 0, v3, vcc
	v_mov_b32_e32 v4, s1
.LBB91_6:                               ; =>This Inner Loop Header: Depth=1
	global_load_dwordx2 v[6:7], v[2:3], off
	v_add_co_u32_e32 v2, vcc, s0, v2
	s_add_i32 s24, s24, -1
	v_addc_co_u32_e32 v3, vcc, v3, v4, vcc
	s_cmp_lg_u32 s24, 0
	s_waitcnt vmcnt(0)
	ds_write_b64 v1, v[6:7]
	v_add_u32_e32 v1, 0xa0, v1
	s_cbranch_scc1 .LBB91_6
.LBB91_7:
	s_cmpk_eq_i32 s10, 0x84
	s_cbranch_scc0 .LBB91_9
; %bb.8:
	v_mul_u32_u24_e32 v1, 21, v0
	v_lshlrev_b32_e32 v1, 3, v1
	v_mov_b32_e32 v2, 0
	v_mov_b32_e32 v3, 0x3ff00000
	ds_write_b64 v1, v[2:3]
.LBB91_9:
	s_or_b64 exec, exec, s[18:19]
	s_load_dword s1, s[4:5], 0x68
	s_load_dwordx2 s[14:15], s[4:5], 0x58
	s_load_dword s0, s[4:5], 0x50
	s_mul_i32 s23, s6, 0xa0
	s_mul_hi_i32 s22, s6, 0xa0
	s_mov_b32 s26, 0
	s_waitcnt lgkmcnt(0)
	s_mul_i32 s5, s7, s15
	s_mul_hi_u32 s10, s7, s14
	s_mul_i32 s4, s7, s14
	s_add_i32 s5, s10, s5
	s_lshl_b64 s[14:15], s[4:5], 3
	s_add_u32 s7, s2, s14
	s_addc_u32 s10, s3, s15
	s_lshl_b64 s[4:5], s[16:17], 3
	s_add_u32 s7, s7, s4
	s_mul_i32 s16, s6, 0xffffffec
	s_addc_u32 s10, s10, s5
	s_add_i32 s1, s1, -1
	s_add_i32 s16, s16, s11
	s_cmp_ge_u32 s6, s1
	s_cselect_b32 s1, s16, 20
	s_add_u32 s24, s7, s23
	s_addc_u32 s25, s10, s22
	s_cmp_gt_i32 s30, 0
	v_cmp_gt_i32_e32 vcc, s1, v0
	s_cselect_b64 s[6:7], -1, 0
	s_and_b64 s[6:7], vcc, s[6:7]
	s_and_saveexec_b64 s[10:11], s[6:7]
	s_cbranch_execz .LBB91_16
; %bb.10:
	s_ashr_i32 s1, s0, 31
	s_cmp_lt_u32 s30, 4
	s_cbranch_scc1 .LBB91_13
; %bb.11:
	v_lshlrev_b32_e32 v1, 3, v0
	v_mov_b32_e32 v3, s25
	v_add_co_u32_e32 v2, vcc, s24, v1
	s_mul_hi_i32 s29, s0, 24
	s_lshl_b64 s[16:17], s[0:1], 5
	s_lshl_b64 s[18:19], s[0:1], 4
	;; [unrolled: 1-line block ×3, first 2 shown]
	v_mov_b32_e32 v1, 0xc80
	v_addc_co_u32_e32 v3, vcc, 0, v3, vcc
	s_and_b32 s26, s30, 0x7ffffffc
	s_mul_i32 s27, s0, 24
	v_lshl_add_u32 v1, v0, 3, v1
	s_mov_b32 s28, 0
	v_mov_b32_e32 v4, s21
	v_mov_b32_e32 v5, s19
	;; [unrolled: 1-line block ×4, first 2 shown]
.LBB91_12:                              ; =>This Inner Loop Header: Depth=1
	v_add_co_u32_e32 v10, vcc, s20, v2
	v_addc_co_u32_e32 v11, vcc, v3, v4, vcc
	v_add_co_u32_e32 v12, vcc, s18, v2
	v_addc_co_u32_e32 v13, vcc, v3, v5, vcc
	global_load_dwordx2 v[8:9], v[2:3], off
	v_add_co_u32_e32 v14, vcc, s27, v2
	v_addc_co_u32_e32 v15, vcc, v3, v6, vcc
	global_load_dwordx2 v[16:17], v[10:11], off
	global_load_dwordx2 v[18:19], v[12:13], off
	;; [unrolled: 1-line block ×3, first 2 shown]
	s_add_i32 s28, s28, 4
	v_add_co_u32_e32 v2, vcc, s16, v2
	v_addc_co_u32_e32 v3, vcc, v3, v7, vcc
	s_cmp_lg_u32 s26, s28
	s_waitcnt vmcnt(3)
	v_mul_f64 v[8:9], v[8:9], s[12:13]
	s_waitcnt vmcnt(2)
	v_mul_f64 v[10:11], v[16:17], s[12:13]
	;; [unrolled: 2-line block ×4, first 2 shown]
	ds_write2_b64 v1, v[8:9], v[10:11] offset1:20
	ds_write2_b64 v1, v[12:13], v[14:15] offset0:40 offset1:60
	v_add_u32_e32 v1, 0x280, v1
	s_cbranch_scc1 .LBB91_12
.LBB91_13:
	s_and_b32 s18, s30, 3
	s_cmp_eq_u32 s18, 0
	s_cbranch_scc1 .LBB91_16
; %bb.14:
	s_mul_i32 s16, s26, 0xa0
	v_lshl_add_u32 v1, v0, 3, s16
	s_mul_hi_i32 s17, s0, s26
	s_mul_i32 s16, s0, s26
	s_lshl_b64 s[16:17], s[16:17], 3
	s_add_u32 s16, s14, s16
	s_addc_u32 s17, s15, s17
	s_add_u32 s16, s16, s23
	s_addc_u32 s17, s17, s22
	;; [unrolled: 2-line block ×3, first 2 shown]
	s_add_u32 s16, s2, s16
	v_lshlrev_b32_e32 v2, 3, v0
	s_addc_u32 s17, s3, s17
	v_mov_b32_e32 v3, s17
	v_add_co_u32_e32 v2, vcc, s16, v2
	s_lshl_b64 s[16:17], s[0:1], 3
	v_add_u32_e32 v1, 0xc80, v1
	v_addc_co_u32_e32 v3, vcc, 0, v3, vcc
	v_mov_b32_e32 v4, s17
.LBB91_15:                              ; =>This Inner Loop Header: Depth=1
	global_load_dwordx2 v[6:7], v[2:3], off
	v_add_co_u32_e32 v2, vcc, s16, v2
	s_add_i32 s18, s18, -1
	v_addc_co_u32_e32 v3, vcc, v3, v4, vcc
	s_cmp_lg_u32 s18, 0
	s_waitcnt vmcnt(0)
	v_mul_f64 v[6:7], v[6:7], s[12:13]
	ds_write_b64 v1, v[6:7]
	v_add_u32_e32 v1, 0xa0, v1
	s_cbranch_scc1 .LBB91_15
.LBB91_16:
	s_or_b64 exec, exec, s[10:11]
	s_cmpk_eq_i32 s9, 0x6f
	s_cselect_b64 s[12:13], -1, 0
	s_cmpk_eq_i32 s8, 0x79
	s_cselect_b64 s[16:17], -1, 0
	s_cmpk_lg_i32 s8, 0x79
	s_cselect_b64 s[10:11], -1, 0
	s_and_b64 s[16:17], s[16:17], s[12:13]
	s_andn2_b64 vcc, exec, s[16:17]
	s_mov_b64 s[16:17], -1
	s_waitcnt lgkmcnt(0)
	; wave barrier
	s_waitcnt lgkmcnt(0)
	s_cbranch_vccz .LBB91_80
; %bb.17:
	s_cmpk_lg_i32 s8, 0x7a
	s_cselect_b64 s[8:9], -1, 0
	s_xor_b64 s[12:13], s[12:13], -1
	s_or_b64 s[12:13], s[8:9], s[12:13]
	s_cmp_gt_i32 s30, 3
	s_cselect_b64 s[8:9], -1, 0
	s_and_b64 vcc, exec, s[12:13]
	s_cbranch_vccz .LBB91_59
; %bb.18:
	s_andn2_b64 vcc, exec, s[10:11]
	s_mov_b64 s[10:11], -1
	s_cbranch_vccnz .LBB91_38
; %bb.19:
	s_andn2_b64 vcc, exec, s[8:9]
	s_mov_b32 s11, 0
	s_cbranch_vccnz .LBB91_26
; %bb.20:
	v_mov_b32_e32 v1, 0xc80
	v_lshl_add_u32 v1, v0, 3, v1
	s_mov_b32 s1, 0
	s_mov_b32 s10, 0
.LBB91_21:                              ; =>This Loop Header: Depth=1
                                        ;     Child Loop BB91_23 Depth 2
	s_mul_i32 s12, s10, 20
	v_add_lshl_u32 v10, s12, v0, 3
	s_add_i32 s11, s12, 20
	s_add_i32 s12, s12, 40
	v_add_lshl_u32 v12, s12, v0, 3
	v_add_u32_e32 v2, 0x800, v12
	v_add_lshl_u32 v11, s11, v0, 3
	ds_read_b64 v[8:9], v10 offset:3200
	ds_read_b64 v[6:7], v11 offset:3200
	ds_read2_b64 v[2:5], v2 offset0:144 offset1:164
	s_cmp_eq_u32 s10, 0
	s_cbranch_scc1 .LBB91_24
; %bb.22:                               ;   in Loop: Header=BB91_21 Depth=1
	s_mov_b32 s12, 0
	v_mov_b32_e32 v13, v1
	s_mov_b32 s13, s1
.LBB91_23:                              ;   Parent Loop BB91_21 Depth=1
                                        ; =>  This Inner Loop Header: Depth=2
	ds_read2_b64 v[14:17], v13 offset1:20
	v_mov_b32_e32 v50, s13
	ds_read2_b64 v[18:21], v13 offset0:40 offset1:60
	ds_read_b128 v[22:25], v50
	ds_read_b128 v[26:29], v50 offset:16
	ds_read_b128 v[30:33], v50 offset:160
	;; [unrolled: 1-line block ×7, first 2 shown]
	s_add_i32 s12, s12, 4
	s_waitcnt lgkmcnt(7)
	v_fma_f64 v[8:9], -v[14:15], v[22:23], v[8:9]
	v_fma_f64 v[6:7], -v[14:15], v[24:25], v[6:7]
	s_waitcnt lgkmcnt(6)
	v_fma_f64 v[2:3], -v[14:15], v[26:27], v[2:3]
	v_fma_f64 v[4:5], -v[14:15], v[28:29], v[4:5]
	;; [unrolled: 3-line block ×4, first 2 shown]
	s_addk_i32 s13, 0x280
	s_waitcnt lgkmcnt(3)
	v_fma_f64 v[8:9], -v[18:19], v[38:39], v[8:9]
	v_fma_f64 v[6:7], -v[18:19], v[40:41], v[6:7]
	s_waitcnt lgkmcnt(2)
	v_fma_f64 v[2:3], -v[18:19], v[42:43], v[2:3]
	v_fma_f64 v[4:5], -v[18:19], v[44:45], v[4:5]
	v_add_u32_e32 v13, 0x280, v13
	s_cmp_ge_u32 s12, s10
	s_waitcnt lgkmcnt(1)
	v_fma_f64 v[8:9], -v[20:21], v[46:47], v[8:9]
	v_fma_f64 v[6:7], -v[20:21], v[48:49], v[6:7]
	s_waitcnt lgkmcnt(0)
	v_fma_f64 v[2:3], -v[20:21], v[50:51], v[2:3]
	v_fma_f64 v[4:5], -v[20:21], v[52:53], v[4:5]
	s_cbranch_scc0 .LBB91_23
.LBB91_24:                              ;   in Loop: Header=BB91_21 Depth=1
	s_mul_i32 s12, s10, 0xa8
	v_add_u32_e32 v13, 0xc80, v10
	v_add_u32_e32 v10, 0xc80, v12
	v_mov_b32_e32 v12, s12
	ds_read_b128 v[14:17], v12
	ds_read_b128 v[18:21], v12 offset:16
	ds_read2_b64 v[22:25], v12 offset0:21 offset1:22
	ds_read_b128 v[26:29], v12 offset:336
	s_add_i32 s11, s11, s10
	s_lshl_b32 s11, s11, 3
	s_waitcnt lgkmcnt(3)
	v_div_scale_f64 v[30:31], s[12:13], v[14:15], v[14:15], v[8:9]
	v_rcp_f64_e32 v[32:33], v[30:31]
	v_div_scale_f64 v[34:35], vcc, v[8:9], v[14:15], v[8:9]
	v_add_u32_e32 v11, 0xc80, v11
	v_fma_f64 v[36:37], -v[30:31], v[32:33], 1.0
	v_fmac_f64_e32 v[32:33], v[32:33], v[36:37]
	v_fma_f64 v[36:37], -v[30:31], v[32:33], 1.0
	v_fmac_f64_e32 v[32:33], v[32:33], v[36:37]
	v_mul_f64 v[36:37], v[34:35], v[32:33]
	v_fma_f64 v[30:31], -v[30:31], v[36:37], v[34:35]
	v_div_fmas_f64 v[30:31], v[30:31], v[32:33], v[36:37]
	v_div_fixup_f64 v[8:9], v[30:31], v[14:15], v[8:9]
	v_fma_f64 v[6:7], -v[8:9], v[16:17], v[6:7]
	s_waitcnt lgkmcnt(1)
	v_div_scale_f64 v[14:15], s[12:13], v[22:23], v[22:23], v[6:7]
	v_rcp_f64_e32 v[16:17], v[14:15]
	v_div_scale_f64 v[30:31], vcc, v[6:7], v[22:23], v[6:7]
	v_fma_f64 v[2:3], -v[8:9], v[18:19], v[2:3]
	v_fma_f64 v[32:33], -v[14:15], v[16:17], 1.0
	v_fmac_f64_e32 v[16:17], v[16:17], v[32:33]
	v_fma_f64 v[32:33], -v[14:15], v[16:17], 1.0
	v_fmac_f64_e32 v[16:17], v[16:17], v[32:33]
	v_mul_f64 v[32:33], v[30:31], v[16:17]
	v_fma_f64 v[14:15], -v[14:15], v[32:33], v[30:31]
	v_div_fmas_f64 v[14:15], v[14:15], v[16:17], v[32:33]
	v_div_fixup_f64 v[6:7], v[14:15], v[22:23], v[6:7]
	v_fma_f64 v[2:3], -v[6:7], v[24:25], v[2:3]
	s_waitcnt lgkmcnt(0)
	v_div_scale_f64 v[14:15], s[12:13], v[26:27], v[26:27], v[2:3]
	v_rcp_f64_e32 v[16:17], v[14:15]
	v_fma_f64 v[4:5], -v[8:9], v[20:21], v[4:5]
	s_add_i32 s1, s1, 32
	v_fma_f64 v[18:19], -v[14:15], v[16:17], 1.0
	v_fmac_f64_e32 v[16:17], v[16:17], v[18:19]
	v_fma_f64 v[18:19], -v[14:15], v[16:17], 1.0
	v_fmac_f64_e32 v[16:17], v[16:17], v[18:19]
	v_div_scale_f64 v[18:19], vcc, v[2:3], v[26:27], v[2:3]
	v_mul_f64 v[22:23], v[18:19], v[16:17]
	v_fma_f64 v[14:15], -v[14:15], v[22:23], v[18:19]
	v_mov_b32_e32 v18, s11
	ds_read_b64 v[18:19], v18 offset:24
	v_div_fmas_f64 v[14:15], v[14:15], v[16:17], v[22:23]
	v_div_fixup_f64 v[2:3], v[14:15], v[26:27], v[2:3]
	ds_read_b64 v[14:15], v12 offset:504
	ds_write_b64 v13, v[8:9]
	ds_write_b64 v11, v[6:7]
	s_waitcnt lgkmcnt(3)
	v_fma_f64 v[4:5], -v[6:7], v[18:19], v[4:5]
	v_fma_f64 v[4:5], -v[2:3], v[28:29], v[4:5]
	s_add_i32 s11, s10, 4
	s_waitcnt lgkmcnt(2)
	v_div_scale_f64 v[16:17], s[12:13], v[14:15], v[14:15], v[4:5]
	v_rcp_f64_e32 v[18:19], v[16:17]
	s_add_i32 s10, s10, 7
	s_cmp_ge_i32 s10, s31
	v_fma_f64 v[6:7], -v[16:17], v[18:19], 1.0
	v_fmac_f64_e32 v[18:19], v[18:19], v[6:7]
	v_fma_f64 v[6:7], -v[16:17], v[18:19], 1.0
	v_fmac_f64_e32 v[18:19], v[18:19], v[6:7]
	v_div_scale_f64 v[6:7], vcc, v[4:5], v[14:15], v[4:5]
	v_mul_f64 v[8:9], v[6:7], v[18:19]
	v_fma_f64 v[6:7], -v[16:17], v[8:9], v[6:7]
	s_nop 1
	v_div_fmas_f64 v[6:7], v[6:7], v[18:19], v[8:9]
	v_div_fixup_f64 v[4:5], v[6:7], v[14:15], v[4:5]
	ds_write2_b64 v10, v[2:3], v[4:5] offset1:20
	s_cbranch_scc1 .LBB91_26
; %bb.25:                               ;   in Loop: Header=BB91_21 Depth=1
	s_mov_b32 s10, s11
	s_branch .LBB91_21
.LBB91_26:
	s_cmp_ge_i32 s11, s31
	s_cbranch_scc1 .LBB91_37
; %bb.27:
	v_mov_b32_e32 v1, 0xc80
	s_add_i32 s1, s11, -1
	s_lshl_b32 s10, s11, 3
	v_lshl_add_u32 v1, v0, 3, v1
	s_mov_b32 s12, 0
	s_mov_b32 s13, s11
	s_branch .LBB91_29
.LBB91_28:                              ;   in Loop: Header=BB91_29 Depth=1
	s_mul_i32 s16, s11, 0xa8
	v_mov_b32_e32 v5, s16
	ds_read_b64 v[6:7], v5
	v_add_u32_e32 v4, 0xc80, v4
	s_add_i32 s11, s11, 1
	s_add_i32 s12, s12, 1
	;; [unrolled: 1-line block ×3, first 2 shown]
	s_waitcnt lgkmcnt(0)
	v_div_scale_f64 v[8:9], s[16:17], v[6:7], v[6:7], v[2:3]
	v_rcp_f64_e32 v[10:11], v[8:9]
	v_div_scale_f64 v[12:13], vcc, v[2:3], v[6:7], v[2:3]
	s_cmp_ge_i32 s11, s31
	v_fma_f64 v[14:15], -v[8:9], v[10:11], 1.0
	v_fmac_f64_e32 v[10:11], v[10:11], v[14:15]
	v_fma_f64 v[14:15], -v[8:9], v[10:11], 1.0
	v_fmac_f64_e32 v[10:11], v[10:11], v[14:15]
	v_mul_f64 v[14:15], v[12:13], v[10:11]
	v_fma_f64 v[8:9], -v[8:9], v[14:15], v[12:13]
	v_div_fmas_f64 v[8:9], v[8:9], v[10:11], v[14:15]
	v_div_fixup_f64 v[2:3], v[8:9], v[6:7], v[2:3]
	ds_write_b64 v4, v[2:3]
	v_add_u16_e64 v2, s13, 1
	v_readfirstlane_b32 s13, v2
	s_cbranch_scc1 .LBB91_37
.LBB91_29:                              ; =>This Loop Header: Depth=1
                                        ;     Child Loop BB91_32 Depth 2
                                        ;     Child Loop BB91_36 Depth 2
	s_mul_i32 s16, s11, 20
	v_add_lshl_u32 v4, s16, v0, 3
	ds_read_b64 v[2:3], v4 offset:3200
	s_cmp_eq_u32 s11, 0
	s_cbranch_scc1 .LBB91_28
; %bb.30:                               ;   in Loop: Header=BB91_29 Depth=1
	s_add_i32 s16, s1, s12
	s_cmp_lt_u32 s16, 7
	s_cbranch_scc1 .LBB91_34
; %bb.31:                               ;   in Loop: Header=BB91_29 Depth=1
	s_and_b32 s16, s11, -8
	s_mov_b32 s17, 0
	v_mov_b32_e32 v5, v1
	s_mov_b32 s18, s10
.LBB91_32:                              ;   Parent Loop BB91_29 Depth=1
                                        ; =>  This Inner Loop Header: Depth=2
	ds_read2_b64 v[6:9], v5 offset1:20
	v_mov_b32_e32 v34, s18
	ds_read2_b64 v[10:13], v5 offset0:40 offset1:60
	ds_read2_b64 v[14:17], v5 offset0:80 offset1:100
	ds_read2_b64 v[18:21], v5 offset0:120 offset1:140
	ds_read2_b64 v[22:25], v34 offset1:20
	ds_read2_b64 v[26:29], v34 offset0:40 offset1:60
	ds_read2_b64 v[30:33], v34 offset0:80 offset1:100
	ds_read2_b64 v[34:37], v34 offset0:120 offset1:140
	s_add_i32 s17, s17, 8
	s_waitcnt lgkmcnt(3)
	v_fma_f64 v[2:3], -v[6:7], v[22:23], v[2:3]
	v_fma_f64 v[2:3], -v[8:9], v[24:25], v[2:3]
	s_waitcnt lgkmcnt(2)
	v_fma_f64 v[2:3], -v[10:11], v[26:27], v[2:3]
	v_fma_f64 v[2:3], -v[12:13], v[28:29], v[2:3]
	;; [unrolled: 3-line block ×3, first 2 shown]
	s_addk_i32 s18, 0x500
	s_waitcnt lgkmcnt(0)
	v_fma_f64 v[2:3], -v[18:19], v[34:35], v[2:3]
	v_add_u32_e32 v5, 0x500, v5
	s_cmp_eq_u32 s16, s17
	v_fma_f64 v[2:3], -v[20:21], v[36:37], v[2:3]
	s_cbranch_scc0 .LBB91_32
; %bb.33:                               ;   in Loop: Header=BB91_29 Depth=1
	s_and_b32 s17, s11, 7
	s_cmp_eq_u32 s17, 0
	s_cbranch_scc0 .LBB91_35
	s_branch .LBB91_28
.LBB91_34:                              ;   in Loop: Header=BB91_29 Depth=1
	s_mov_b32 s16, 0
	s_and_b32 s17, s11, 7
	s_cmp_eq_u32 s17, 0
	s_cbranch_scc1 .LBB91_28
.LBB91_35:                              ;   in Loop: Header=BB91_29 Depth=1
	s_and_b32 s17, s13, 7
	s_mulk_i32 s16, 0xa0
.LBB91_36:                              ;   Parent Loop BB91_29 Depth=1
                                        ; =>  This Inner Loop Header: Depth=2
	v_add_u32_e32 v5, s16, v1
	s_add_i32 s18, s10, s16
	ds_read_b64 v[6:7], v5
	v_mov_b32_e32 v5, s18
	ds_read_b64 v[8:9], v5
	s_addk_i32 s16, 0xa0
	s_add_i32 s17, s17, -1
	s_cmp_lg_u32 s17, 0
	s_waitcnt lgkmcnt(0)
	v_fma_f64 v[2:3], -v[6:7], v[8:9], v[2:3]
	s_cbranch_scc1 .LBB91_36
	s_branch .LBB91_28
.LBB91_37:
	s_mov_b64 s[10:11], 0
.LBB91_38:
	s_and_b64 vcc, exec, s[10:11]
	s_cbranch_vccz .LBB91_58
; %bb.39:
	s_andn2_b64 vcc, exec, s[8:9]
	s_mov_b32 s11, s33
	s_cbranch_vccnz .LBB91_45
; %bb.40:
	s_mul_i32 s1, s31, 0xa0
	v_lshl_add_u32 v1, v0, 3, s1
	s_mul_i32 s1, s31, 0xa8
	v_add_u32_e32 v1, 0xa00, v1
	s_addk_i32 s1, 0xfd60
	s_mov_b32 s10, s33
.LBB91_41:                              ; =>This Loop Header: Depth=1
                                        ;     Child Loop BB91_42 Depth 2
	s_mul_i32 s13, s10, 20
	s_sub_i32 s11, s13, 40
	v_add_lshl_u32 v12, s11, v0, 3
	v_add_lshl_u32 v10, s13, v0, 3
	s_sub_i32 s12, s13, 20
	v_add_u32_e32 v2, 0x800, v12
	v_add_lshl_u32 v11, s12, v0, 3
	ds_read_b64 v[8:9], v10 offset:3200
	ds_read_b64 v[6:7], v11 offset:3200
	ds_read2_b64 v[2:5], v2 offset0:124 offset1:144
	s_cmp_le_i32 s33, s10
	s_mov_b32 s16, s1
	v_mov_b32_e32 v13, v1
	s_mov_b32 s17, s33
	s_cbranch_scc1 .LBB91_43
.LBB91_42:                              ;   Parent Loop BB91_41 Depth=1
                                        ; =>  This Inner Loop Header: Depth=2
	ds_read2_b64 v[14:17], v13 offset0:40 offset1:60
	v_mov_b32_e32 v50, s16
	ds_read2_b64 v[18:21], v13 offset1:20
	ds_read2_b64 v[22:25], v50 offset0:62 offset1:63
	ds_read2_b64 v[26:29], v50 offset0:60 offset1:61
	;; [unrolled: 1-line block ×7, first 2 shown]
	ds_read2_b64 v[50:53], v50 offset1:1
	s_add_i32 s17, s17, -4
	s_waitcnt lgkmcnt(7)
	v_fma_f64 v[8:9], -v[16:17], v[24:25], v[8:9]
	v_fma_f64 v[6:7], -v[16:17], v[22:23], v[6:7]
	s_waitcnt lgkmcnt(6)
	v_fma_f64 v[4:5], -v[16:17], v[28:29], v[4:5]
	v_fma_f64 v[2:3], -v[16:17], v[26:27], v[2:3]
	;; [unrolled: 3-line block ×4, first 2 shown]
	s_addk_i32 s16, 0xfd80
	s_waitcnt lgkmcnt(3)
	v_fma_f64 v[8:9], -v[20:21], v[40:41], v[8:9]
	v_fma_f64 v[6:7], -v[20:21], v[38:39], v[6:7]
	s_waitcnt lgkmcnt(2)
	v_fma_f64 v[4:5], -v[20:21], v[44:45], v[4:5]
	v_fma_f64 v[2:3], -v[20:21], v[42:43], v[2:3]
	v_add_u32_e32 v13, 0xfffffd80, v13
	s_cmp_le_i32 s17, s10
	s_waitcnt lgkmcnt(1)
	v_fma_f64 v[8:9], -v[18:19], v[48:49], v[8:9]
	v_fma_f64 v[6:7], -v[18:19], v[46:47], v[6:7]
	s_waitcnt lgkmcnt(0)
	v_fma_f64 v[4:5], -v[18:19], v[52:53], v[4:5]
	v_fma_f64 v[2:3], -v[18:19], v[50:51], v[2:3]
	s_cbranch_scc0 .LBB91_42
.LBB91_43:                              ;   in Loop: Header=BB91_41 Depth=1
	s_add_i32 s16, s10, s13
	s_lshl_b32 s16, s16, 3
	s_add_i32 s16, s16, -8
	v_add_u32_e32 v13, 0xc80, v10
	v_add_u32_e32 v14, 0xc80, v12
	;; [unrolled: 1-line block ×3, first 2 shown]
	v_mov_b32_e32 v12, s16
	ds_read2_b64 v[16:19], v12 offset1:1
	s_mul_i32 s18, s10, 0xa8
	s_add_i32 s16, s18, 0xffffff58
	v_mov_b32_e32 v12, s16
	ds_read_b64 v[20:21], v12
	s_waitcnt lgkmcnt(1)
	v_div_scale_f64 v[22:23], s[16:17], v[18:19], v[18:19], v[8:9]
	v_rcp_f64_e32 v[24:25], v[22:23]
	v_div_scale_f64 v[26:27], vcc, v[8:9], v[18:19], v[8:9]
	v_add_u32_e32 v11, 0xc80, v11
	v_fma_f64 v[28:29], -v[22:23], v[24:25], 1.0
	v_fmac_f64_e32 v[24:25], v[24:25], v[28:29]
	v_fma_f64 v[28:29], -v[22:23], v[24:25], 1.0
	v_fmac_f64_e32 v[24:25], v[24:25], v[28:29]
	v_mul_f64 v[28:29], v[26:27], v[24:25]
	v_fma_f64 v[22:23], -v[22:23], v[28:29], v[26:27]
	v_div_fmas_f64 v[22:23], v[22:23], v[24:25], v[28:29]
	v_div_fixup_f64 v[22:23], v[22:23], v[18:19], v[8:9]
	v_fma_f64 v[24:25], -v[22:23], v[16:17], v[6:7]
	s_waitcnt lgkmcnt(0)
	v_div_scale_f64 v[6:7], s[16:17], v[20:21], v[20:21], v[24:25]
	v_rcp_f64_e32 v[26:27], v[6:7]
	s_add_i32 s16, s10, -3
	s_add_i32 s13, s13, s16
	s_lshl_b32 s13, s13, 3
	v_fma_f64 v[8:9], -v[6:7], v[26:27], 1.0
	v_fmac_f64_e32 v[26:27], v[26:27], v[8:9]
	v_fma_f64 v[8:9], -v[6:7], v[26:27], 1.0
	v_fmac_f64_e32 v[26:27], v[26:27], v[8:9]
	v_div_scale_f64 v[8:9], vcc, v[24:25], v[20:21], v[24:25]
	v_mul_f64 v[28:29], v[8:9], v[26:27]
	s_add_i32 s12, s12, s16
	v_fma_f64 v[30:31], -v[6:7], v[28:29], v[8:9]
	v_mov_b32_e32 v6, s13
	s_lshl_b32 s12, s12, 3
	v_mov_b32_e32 v12, s12
	ds_read2_b64 v[6:9], v6 offset1:1
	ds_read2_b64 v[16:19], v12 offset1:1
	s_add_i32 s11, s11, s16
	v_div_fmas_f64 v[26:27], v[30:31], v[26:27], v[28:29]
	s_lshl_b32 s11, s11, 3
	v_div_fixup_f64 v[24:25], v[26:27], v[20:21], v[24:25]
	s_waitcnt lgkmcnt(1)
	v_fma_f64 v[4:5], -v[22:23], v[8:9], v[4:5]
	v_mov_b32_e32 v8, s11
	s_waitcnt lgkmcnt(0)
	v_fma_f64 v[4:5], -v[24:25], v[18:19], v[4:5]
	ds_read2_b64 v[18:21], v8 offset1:1
	s_add_i32 s11, s18, 0xfffffe08
	v_mov_b32_e32 v8, s11
	ds_read_b64 v[8:9], v8
	v_fma_f64 v[2:3], -v[22:23], v[6:7], v[2:3]
	s_waitcnt lgkmcnt(1)
	v_div_scale_f64 v[26:27], s[12:13], v[20:21], v[20:21], v[4:5]
	v_rcp_f64_e32 v[28:29], v[26:27]
	v_fma_f64 v[2:3], -v[24:25], v[16:17], v[2:3]
	s_add_i32 s11, s10, -4
	s_sub_i32 s1, s1, 32
	v_fma_f64 v[30:31], -v[26:27], v[28:29], 1.0
	v_fmac_f64_e32 v[28:29], v[28:29], v[30:31]
	v_fma_f64 v[30:31], -v[26:27], v[28:29], 1.0
	v_fmac_f64_e32 v[28:29], v[28:29], v[30:31]
	v_div_scale_f64 v[30:31], vcc, v[4:5], v[20:21], v[4:5]
	v_mul_f64 v[32:33], v[30:31], v[28:29]
	v_fma_f64 v[26:27], -v[26:27], v[32:33], v[30:31]
	s_cmp_lt_i32 s10, 7
	s_nop 0
	v_div_fmas_f64 v[26:27], v[26:27], v[28:29], v[32:33]
	v_div_fixup_f64 v[4:5], v[26:27], v[20:21], v[4:5]
	v_fma_f64 v[2:3], -v[4:5], v[18:19], v[2:3]
	s_waitcnt lgkmcnt(0)
	v_div_scale_f64 v[6:7], s[12:13], v[8:9], v[8:9], v[2:3]
	v_rcp_f64_e32 v[16:17], v[6:7]
	ds_write_b64 v13, v[22:23]
	ds_write_b64 v11, v[24:25]
	;; [unrolled: 1-line block ×3, first 2 shown]
	v_fma_f64 v[4:5], -v[6:7], v[16:17], 1.0
	v_fmac_f64_e32 v[16:17], v[16:17], v[4:5]
	v_fma_f64 v[4:5], -v[6:7], v[16:17], 1.0
	v_fmac_f64_e32 v[16:17], v[16:17], v[4:5]
	v_div_scale_f64 v[4:5], vcc, v[2:3], v[8:9], v[2:3]
	v_mul_f64 v[12:13], v[4:5], v[16:17]
	v_fma_f64 v[4:5], -v[6:7], v[12:13], v[4:5]
	s_nop 1
	v_div_fmas_f64 v[4:5], v[4:5], v[16:17], v[12:13]
	v_div_fixup_f64 v[2:3], v[4:5], v[8:9], v[2:3]
	ds_write_b64 v10, v[2:3]
	s_cbranch_scc1 .LBB91_45
; %bb.44:                               ;   in Loop: Header=BB91_41 Depth=1
	s_mov_b32 s10, s11
	s_branch .LBB91_41
.LBB91_45:
	s_cmp_lt_i32 s11, 0
	s_cbranch_scc1 .LBB91_58
; %bb.46:
	s_bitcmp1_b32 s11, 0
	s_cselect_b64 s[12:13], -1, 0
	s_and_b64 vcc, exec, s[12:13]
	s_mov_b32 s1, s11
	s_cbranch_vccnz .LBB91_51
; %bb.47:
	s_mul_i32 s1, s11, 20
	v_add_lshl_u32 v1, s1, v0, 3
	ds_read_b64 v[2:3], v1 offset:3200
	s_cmp_le_i32 s33, s11
	s_cbranch_scc1 .LBB91_50
; %bb.48:
	s_mul_i32 s10, s31, 0xa0
	s_lshl_b32 s1, s11, 3
	s_add_i32 s1, s10, s1
	v_lshl_add_u32 v4, v0, 3, s10
	s_addk_i32 s1, 0xff60
	v_add_u32_e32 v4, 0xbe0, v4
	s_mov_b32 s10, s33
.LBB91_49:                              ; =>This Inner Loop Header: Depth=1
	v_mov_b32_e32 v5, s1
	ds_read_b64 v[6:7], v4
	ds_read_b64 v[8:9], v5
	s_add_i32 s10, s10, -1
	s_addk_i32 s1, 0xff60
	v_add_u32_e32 v4, 0xffffff60, v4
	s_cmp_gt_i32 s10, s11
	s_waitcnt lgkmcnt(0)
	v_fma_f64 v[2:3], -v[6:7], v[8:9], v[2:3]
	s_cbranch_scc1 .LBB91_49
.LBB91_50:
	s_mul_i32 s1, s11, 0xa8
	v_mov_b32_e32 v4, s1
	ds_read_b64 v[4:5], v4
	v_add_u32_e32 v1, 0xc80, v1
	s_add_i32 s1, s11, -1
	s_waitcnt lgkmcnt(0)
	v_div_scale_f64 v[6:7], s[12:13], v[4:5], v[4:5], v[2:3]
	v_rcp_f64_e32 v[8:9], v[6:7]
	v_div_scale_f64 v[10:11], vcc, v[2:3], v[4:5], v[2:3]
	v_fma_f64 v[12:13], -v[6:7], v[8:9], 1.0
	v_fmac_f64_e32 v[8:9], v[8:9], v[12:13]
	v_fma_f64 v[12:13], -v[6:7], v[8:9], 1.0
	v_fmac_f64_e32 v[8:9], v[8:9], v[12:13]
	v_mul_f64 v[12:13], v[10:11], v[8:9]
	v_fma_f64 v[6:7], -v[6:7], v[12:13], v[10:11]
	v_div_fmas_f64 v[6:7], v[6:7], v[8:9], v[12:13]
	v_div_fixup_f64 v[2:3], v[6:7], v[4:5], v[2:3]
	ds_write_b64 v1, v[2:3]
.LBB91_51:
	s_cmp_eq_u32 s11, 0
	s_cbranch_scc1 .LBB91_58
; %bb.52:
	s_mul_i32 s11, s31, 0xa0
	s_lshl_b32 s10, s1, 3
	s_add_i32 s12, s11, s10
	v_lshl_add_u32 v1, v0, 3, s11
	s_add_i32 s10, s12, 0xffffff60
	v_add_u32_e32 v1, 0xbe0, v1
	s_add_i32 s11, s12, 0xffffff58
	s_branch .LBB91_54
.LBB91_53:                              ;   in Loop: Header=BB91_54 Depth=1
	s_addk_i32 s12, 0xff58
	v_mov_b32_e32 v4, s12
	ds_read_b64 v[4:5], v4
	s_add_i32 s16, s1, -2
	s_add_i32 s10, s10, -16
	;; [unrolled: 1-line block ×3, first 2 shown]
	s_cmp_lt_i32 s1, 2
	s_waitcnt lgkmcnt(0)
	v_div_scale_f64 v[8:9], s[12:13], v[4:5], v[4:5], v[2:3]
	v_rcp_f64_e32 v[10:11], v[8:9]
	v_div_scale_f64 v[12:13], vcc, v[2:3], v[4:5], v[2:3]
	s_mov_b32 s1, s16
	v_fma_f64 v[14:15], -v[8:9], v[10:11], 1.0
	v_fmac_f64_e32 v[10:11], v[10:11], v[14:15]
	v_fma_f64 v[14:15], -v[8:9], v[10:11], 1.0
	v_fmac_f64_e32 v[10:11], v[10:11], v[14:15]
	v_mul_f64 v[14:15], v[12:13], v[10:11]
	v_fma_f64 v[8:9], -v[8:9], v[14:15], v[12:13]
	v_div_fmas_f64 v[8:9], v[8:9], v[10:11], v[14:15]
	v_div_fixup_f64 v[2:3], v[8:9], v[4:5], v[2:3]
	ds_write_b64 v6, v[2:3]
	s_cbranch_scc1 .LBB91_58
.LBB91_54:                              ; =>This Loop Header: Depth=1
                                        ;     Child Loop BB91_55 Depth 2
                                        ;     Child Loop BB91_57 Depth 2
	s_mul_i32 s12, s1, 20
	v_add_lshl_u32 v2, s12, v0, 3
	ds_read_b64 v[4:5], v2 offset:3200
	s_cmp_le_i32 s33, s1
	v_mov_b32_e32 v3, v1
	s_mov_b32 s12, s10
	s_mov_b32 s13, s33
	s_cbranch_scc1 .LBB91_56
.LBB91_55:                              ;   Parent Loop BB91_54 Depth=1
                                        ; =>  This Inner Loop Header: Depth=2
	v_mov_b32_e32 v8, s12
	ds_read_b64 v[6:7], v3
	ds_read_b64 v[8:9], v8
	s_add_i32 s13, s13, -1
	s_addk_i32 s12, 0xff60
	v_add_u32_e32 v3, 0xffffff60, v3
	s_cmp_le_i32 s13, s1
	s_waitcnt lgkmcnt(0)
	v_fma_f64 v[4:5], -v[6:7], v[8:9], v[4:5]
	s_cbranch_scc0 .LBB91_55
.LBB91_56:                              ;   in Loop: Header=BB91_54 Depth=1
	s_mul_i32 s12, s1, 0xa8
	v_add_u32_e32 v7, 0xc80, v2
	v_mov_b32_e32 v2, s12
	ds_read_b64 v[8:9], v2
	v_add_u32_e32 v6, 0xffffff60, v7
	ds_read_b64 v[2:3], v6
	s_cmp_lt_i32 s33, s1
	s_mov_b32 s13, s11
	s_waitcnt lgkmcnt(1)
	v_div_scale_f64 v[10:11], s[16:17], v[8:9], v[8:9], v[4:5]
	v_rcp_f64_e32 v[12:13], v[10:11]
	v_div_scale_f64 v[14:15], vcc, v[4:5], v[8:9], v[4:5]
	s_mov_b32 s16, s31
	v_fma_f64 v[16:17], -v[10:11], v[12:13], 1.0
	v_fmac_f64_e32 v[12:13], v[12:13], v[16:17]
	v_fma_f64 v[16:17], -v[10:11], v[12:13], 1.0
	v_fmac_f64_e32 v[12:13], v[12:13], v[16:17]
	v_mul_f64 v[16:17], v[14:15], v[12:13]
	v_fma_f64 v[10:11], -v[10:11], v[16:17], v[14:15]
	v_div_fmas_f64 v[10:11], v[10:11], v[12:13], v[16:17]
	v_div_fixup_f64 v[4:5], v[10:11], v[8:9], v[4:5]
	ds_write_b64 v7, v[4:5]
	v_mov_b32_e32 v4, v1
	s_cbranch_scc1 .LBB91_53
.LBB91_57:                              ;   Parent Loop BB91_54 Depth=1
                                        ; =>  This Inner Loop Header: Depth=2
	v_mov_b32_e32 v5, s13
	ds_read_b64 v[8:9], v4
	ds_read_b64 v[10:11], v5
	s_add_i32 s16, s16, -1
	s_addk_i32 s13, 0xff60
	v_add_u32_e32 v4, 0xffffff60, v4
	s_cmp_gt_i32 s16, s1
	s_waitcnt lgkmcnt(0)
	v_fma_f64 v[2:3], -v[8:9], v[10:11], v[2:3]
	s_cbranch_scc1 .LBB91_57
	s_branch .LBB91_53
.LBB91_58:
	s_mov_b64 s[16:17], 0
.LBB91_59:
	s_andn2_b64 vcc, exec, s[16:17]
	s_cbranch_vccnz .LBB91_79
; %bb.60:
	s_andn2_b64 vcc, exec, s[8:9]
	s_mov_b32 s9, s33
	s_cbranch_vccnz .LBB91_66
; %bb.61:
	s_mul_i32 s8, s31, 0xa0
	s_mul_i32 s1, s31, 0xa8
	v_lshl_add_u32 v1, v0, 3, s8
	s_addk_i32 s1, 0xfd60
	v_add_u32_e32 v1, 0xa00, v1
	s_mov_b32 s8, s33
.LBB91_62:                              ; =>This Loop Header: Depth=1
                                        ;     Child Loop BB91_63 Depth 2
	s_mul_i32 s9, s8, 20
	s_sub_i32 s10, s9, 20
	v_add_lshl_u32 v10, s9, v0, 3
	v_add_lshl_u32 v11, s10, v0, 3
	s_sub_i32 s10, s9, 40
	s_sub_i32 s9, s9, 60
	v_add_lshl_u32 v12, s10, v0, 3
	v_add_lshl_u32 v13, s9, v0, 3
	ds_read_b64 v[8:9], v10 offset:3200
	ds_read_b64 v[6:7], v11 offset:3200
	;; [unrolled: 1-line block ×4, first 2 shown]
	s_cmp_le_i32 s33, s8
	v_mov_b32_e32 v14, v1
	s_mov_b32 s11, s1
	s_mov_b32 s12, s33
	s_cbranch_scc1 .LBB91_64
.LBB91_63:                              ;   Parent Loop BB91_62 Depth=1
                                        ; =>  This Inner Loop Header: Depth=2
	ds_read2_b64 v[16:19], v14 offset0:40 offset1:60
	v_mov_b32_e32 v15, s11
	ds_read2_b64 v[20:23], v14 offset1:20
	ds_read2_b64 v[24:27], v15 offset0:62 offset1:63
	ds_read2_b64 v[28:31], v15 offset0:60 offset1:61
	;; [unrolled: 1-line block ×7, first 2 shown]
	ds_read2_b64 v[52:55], v15 offset1:1
	s_add_i32 s12, s12, -4
	s_waitcnt lgkmcnt(7)
	v_fma_f64 v[8:9], -v[18:19], v[26:27], v[8:9]
	s_waitcnt lgkmcnt(5)
	v_fma_f64 v[6:7], -v[18:19], v[34:35], v[6:7]
	;; [unrolled: 2-line block ×4, first 2 shown]
	v_fma_f64 v[8:9], -v[16:17], v[24:25], v[8:9]
	v_fma_f64 v[6:7], -v[16:17], v[32:33], v[6:7]
	;; [unrolled: 1-line block ×4, first 2 shown]
	s_sub_i32 s11, s11, 32
	v_fma_f64 v[8:9], -v[22:23], v[30:31], v[8:9]
	v_fma_f64 v[6:7], -v[22:23], v[38:39], v[6:7]
	;; [unrolled: 1-line block ×3, first 2 shown]
	s_waitcnt lgkmcnt(0)
	v_fma_f64 v[2:3], -v[22:23], v[54:55], v[2:3]
	v_add_u32_e32 v14, 0xfffffd80, v14
	s_cmp_le_i32 s12, s8
	v_fma_f64 v[8:9], -v[20:21], v[28:29], v[8:9]
	v_fma_f64 v[6:7], -v[20:21], v[36:37], v[6:7]
	;; [unrolled: 1-line block ×4, first 2 shown]
	s_cbranch_scc0 .LBB91_63
.LBB91_64:                              ;   in Loop: Header=BB91_62 Depth=1
	s_mul_i32 s16, s8, 0xa8
	v_add_u32_e32 v14, 0xc80, v10
	v_add_u32_e32 v10, 0xc80, v13
	v_mov_b32_e32 v13, s16
	ds_read_b64 v[20:21], v13
	s_add_i32 s11, s16, 0xffffff58
	v_mov_b32_e32 v13, s11
	ds_read2_b64 v[16:19], v13 offset1:1
	s_add_i32 s10, s10, s8
	s_waitcnt lgkmcnt(1)
	v_div_scale_f64 v[22:23], s[12:13], v[20:21], v[20:21], v[8:9]
	v_rcp_f64_e32 v[24:25], v[22:23]
	v_div_scale_f64 v[26:27], vcc, v[8:9], v[20:21], v[8:9]
	s_lshl_b32 s10, s10, 3
	v_fma_f64 v[28:29], -v[22:23], v[24:25], 1.0
	v_fmac_f64_e32 v[24:25], v[24:25], v[28:29]
	v_fma_f64 v[28:29], -v[22:23], v[24:25], 1.0
	v_fmac_f64_e32 v[24:25], v[24:25], v[28:29]
	v_mul_f64 v[28:29], v[26:27], v[24:25]
	v_fma_f64 v[22:23], -v[22:23], v[28:29], v[26:27]
	v_div_fmas_f64 v[22:23], v[22:23], v[24:25], v[28:29]
	v_div_fixup_f64 v[24:25], v[22:23], v[20:21], v[8:9]
	s_waitcnt lgkmcnt(0)
	v_fma_f64 v[18:19], -v[24:25], v[18:19], v[6:7]
	v_div_scale_f64 v[6:7], s[12:13], v[16:17], v[16:17], v[18:19]
	v_rcp_f64_e32 v[20:21], v[6:7]
	v_div_scale_f64 v[8:9], vcc, v[18:19], v[16:17], v[18:19]
	s_add_i32 s9, s8, s9
	v_fma_f64 v[22:23], -v[6:7], v[20:21], 1.0
	v_fmac_f64_e32 v[20:21], v[20:21], v[22:23]
	v_fma_f64 v[22:23], -v[6:7], v[20:21], 1.0
	v_fmac_f64_e32 v[20:21], v[20:21], v[22:23]
	v_mul_f64 v[22:23], v[8:9], v[20:21]
	v_fma_f64 v[26:27], -v[6:7], v[22:23], v[8:9]
	v_mov_b32_e32 v6, s10
	s_add_i32 s10, s16, 0xfffffeb0
	v_mov_b32_e32 v7, s10
	ds_read_b64 v[28:29], v6
	ds_read2_b64 v[6:9], v7 offset1:1
	v_div_fmas_f64 v[20:21], v[26:27], v[20:21], v[22:23]
	v_div_fixup_f64 v[26:27], v[20:21], v[16:17], v[18:19]
	s_lshl_b32 s9, s9, 3
	s_waitcnt lgkmcnt(1)
	v_fma_f64 v[4:5], -v[24:25], v[28:29], v[4:5]
	s_waitcnt lgkmcnt(0)
	v_fma_f64 v[4:5], -v[26:27], v[8:9], v[4:5]
	v_div_scale_f64 v[8:9], s[10:11], v[6:7], v[6:7], v[4:5]
	v_rcp_f64_e32 v[28:29], v[8:9]
	s_add_i32 s9, s9, -8
	v_mov_b32_e32 v13, s9
	s_add_i32 s9, s16, 0xfffffe08
	v_fma_f64 v[16:17], -v[8:9], v[28:29], 1.0
	v_fmac_f64_e32 v[28:29], v[28:29], v[16:17]
	v_fma_f64 v[16:17], -v[8:9], v[28:29], 1.0
	v_fmac_f64_e32 v[28:29], v[28:29], v[16:17]
	v_div_scale_f64 v[16:17], vcc, v[4:5], v[6:7], v[4:5]
	v_mul_f64 v[30:31], v[16:17], v[28:29]
	v_fma_f64 v[8:9], -v[8:9], v[30:31], v[16:17]
	v_mov_b32_e32 v15, s9
	ds_read2_b64 v[16:19], v13 offset1:1
	ds_read2_b64 v[20:23], v15 offset1:1
	v_div_fmas_f64 v[8:9], v[8:9], v[28:29], v[30:31]
	v_div_fixup_f64 v[4:5], v[8:9], v[6:7], v[4:5]
	v_add_u32_e32 v11, 0xc80, v11
	s_waitcnt lgkmcnt(1)
	v_fma_f64 v[2:3], -v[24:25], v[18:19], v[2:3]
	v_fma_f64 v[2:3], -v[26:27], v[16:17], v[2:3]
	s_waitcnt lgkmcnt(0)
	v_fma_f64 v[2:3], -v[4:5], v[22:23], v[2:3]
	v_div_scale_f64 v[6:7], s[10:11], v[20:21], v[20:21], v[2:3]
	v_rcp_f64_e32 v[8:9], v[6:7]
	v_add_u32_e32 v12, 0xc80, v12
	ds_write_b64 v14, v[24:25]
	ds_write_b64 v11, v[26:27]
	;; [unrolled: 1-line block ×3, first 2 shown]
	s_add_i32 s9, s8, -4
	v_fma_f64 v[4:5], -v[6:7], v[8:9], 1.0
	v_fmac_f64_e32 v[8:9], v[8:9], v[4:5]
	v_fma_f64 v[4:5], -v[6:7], v[8:9], 1.0
	v_fmac_f64_e32 v[8:9], v[8:9], v[4:5]
	v_div_scale_f64 v[4:5], vcc, v[2:3], v[20:21], v[2:3]
	v_mul_f64 v[12:13], v[4:5], v[8:9]
	v_fma_f64 v[4:5], -v[6:7], v[12:13], v[4:5]
	s_addk_i32 s1, 0xfd80
	s_nop 0
	v_div_fmas_f64 v[4:5], v[4:5], v[8:9], v[12:13]
	v_div_fixup_f64 v[2:3], v[4:5], v[20:21], v[2:3]
	s_cmp_lt_i32 s8, 7
	ds_write_b64 v10, v[2:3]
	s_cbranch_scc1 .LBB91_66
; %bb.65:                               ;   in Loop: Header=BB91_62 Depth=1
	s_mov_b32 s8, s9
	s_branch .LBB91_62
.LBB91_66:
	s_cmp_lt_i32 s9, 0
	s_cbranch_scc1 .LBB91_79
; %bb.67:
	s_bitcmp1_b32 s9, 0
	s_cselect_b64 s[10:11], -1, 0
	s_and_b64 vcc, exec, s[10:11]
	s_mov_b32 s1, s9
	s_cbranch_vccnz .LBB91_72
; %bb.68:
	s_mul_i32 s1, s9, 20
	v_add_lshl_u32 v1, s1, v0, 3
	ds_read_b64 v[2:3], v1 offset:3200
	s_cmp_le_i32 s33, s9
	s_cbranch_scc1 .LBB91_71
; %bb.69:
	s_mul_i32 s1, s9, 0xa0
	s_lshl_b32 s8, s31, 3
	s_add_i32 s1, s1, s8
	s_mul_i32 s8, s31, 0xa0
	v_lshl_add_u32 v4, v0, 3, s8
	s_add_i32 s1, s1, -8
	v_add_u32_e32 v4, 0xbe0, v4
	s_mov_b32 s8, s33
.LBB91_70:                              ; =>This Inner Loop Header: Depth=1
	v_mov_b32_e32 v5, s1
	ds_read_b64 v[6:7], v4
	ds_read_b64 v[8:9], v5
	s_add_i32 s8, s8, -1
	s_add_i32 s1, s1, -8
	v_add_u32_e32 v4, 0xffffff60, v4
	s_cmp_gt_i32 s8, s9
	s_waitcnt lgkmcnt(0)
	v_fma_f64 v[2:3], -v[6:7], v[8:9], v[2:3]
	s_cbranch_scc1 .LBB91_70
.LBB91_71:
	s_mul_i32 s1, s9, 0xa8
	v_mov_b32_e32 v4, s1
	ds_read_b64 v[4:5], v4
	v_add_u32_e32 v1, 0xc80, v1
	s_add_i32 s1, s9, -1
	s_waitcnt lgkmcnt(0)
	v_div_scale_f64 v[6:7], s[10:11], v[4:5], v[4:5], v[2:3]
	v_rcp_f64_e32 v[8:9], v[6:7]
	v_div_scale_f64 v[10:11], vcc, v[2:3], v[4:5], v[2:3]
	v_fma_f64 v[12:13], -v[6:7], v[8:9], 1.0
	v_fmac_f64_e32 v[8:9], v[8:9], v[12:13]
	v_fma_f64 v[12:13], -v[6:7], v[8:9], 1.0
	v_fmac_f64_e32 v[8:9], v[8:9], v[12:13]
	v_mul_f64 v[12:13], v[10:11], v[8:9]
	v_fma_f64 v[6:7], -v[6:7], v[12:13], v[10:11]
	v_div_fmas_f64 v[6:7], v[6:7], v[8:9], v[12:13]
	v_div_fixup_f64 v[2:3], v[6:7], v[4:5], v[2:3]
	ds_write_b64 v1, v[2:3]
.LBB91_72:
	s_cmp_eq_u32 s9, 0
	s_cbranch_scc1 .LBB91_79
; %bb.73:
	s_mul_i32 s8, s1, 0xa0
	s_lshl_b32 s9, s31, 3
	s_mul_i32 s10, s31, 0xa0
	s_add_i32 s9, s8, s9
	v_lshl_add_u32 v1, v0, 3, s10
	s_add_i32 s8, s9, -8
	v_add_u32_e32 v1, 0xbe0, v1
	s_addk_i32 s9, 0xff58
	s_branch .LBB91_75
.LBB91_74:                              ;   in Loop: Header=BB91_75 Depth=1
	s_addk_i32 s10, 0xff58
	v_mov_b32_e32 v5, s10
	v_add_u32_e32 v4, 0xc80, v6
	ds_read_b64 v[6:7], v5
	s_add_i32 s12, s1, -2
	s_addk_i32 s8, 0xfec0
	s_addk_i32 s9, 0xfec0
	s_cmp_lt_i32 s1, 2
	s_waitcnt lgkmcnt(0)
	v_div_scale_f64 v[8:9], s[10:11], v[6:7], v[6:7], v[2:3]
	v_rcp_f64_e32 v[10:11], v[8:9]
	v_div_scale_f64 v[12:13], vcc, v[2:3], v[6:7], v[2:3]
	s_mov_b32 s1, s12
	v_fma_f64 v[14:15], -v[8:9], v[10:11], 1.0
	v_fmac_f64_e32 v[10:11], v[10:11], v[14:15]
	v_fma_f64 v[14:15], -v[8:9], v[10:11], 1.0
	v_fmac_f64_e32 v[10:11], v[10:11], v[14:15]
	v_mul_f64 v[14:15], v[12:13], v[10:11]
	v_fma_f64 v[8:9], -v[8:9], v[14:15], v[12:13]
	v_div_fmas_f64 v[8:9], v[8:9], v[10:11], v[14:15]
	v_div_fixup_f64 v[2:3], v[8:9], v[6:7], v[2:3]
	ds_write_b64 v4, v[2:3]
	s_cbranch_scc1 .LBB91_79
.LBB91_75:                              ; =>This Loop Header: Depth=1
                                        ;     Child Loop BB91_76 Depth 2
                                        ;     Child Loop BB91_78 Depth 2
	s_mul_i32 s11, s1, 20
	v_add_lshl_u32 v2, s11, v0, 3
	ds_read_b64 v[4:5], v2 offset:3200
	s_cmp_le_i32 s33, s1
	v_mov_b32_e32 v3, v1
	s_mov_b32 s10, s8
	s_mov_b32 s12, s33
	s_cbranch_scc1 .LBB91_77
.LBB91_76:                              ;   Parent Loop BB91_75 Depth=1
                                        ; =>  This Inner Loop Header: Depth=2
	v_mov_b32_e32 v8, s10
	ds_read_b64 v[6:7], v3
	ds_read_b64 v[8:9], v8
	s_add_i32 s12, s12, -1
	s_add_i32 s10, s10, -8
	v_add_u32_e32 v3, 0xffffff60, v3
	s_cmp_le_i32 s12, s1
	s_waitcnt lgkmcnt(0)
	v_fma_f64 v[4:5], -v[6:7], v[8:9], v[4:5]
	s_cbranch_scc0 .LBB91_76
.LBB91_77:                              ;   in Loop: Header=BB91_75 Depth=1
	s_mul_i32 s10, s1, 0xa8
	v_add_u32_e32 v7, 0xc80, v2
	v_mov_b32_e32 v2, s10
	ds_read_b64 v[8:9], v2
	s_sub_i32 s11, s11, 20
	v_add_lshl_u32 v6, s11, v0, 3
	ds_read_b64 v[2:3], v6 offset:3200
	s_cmp_lt_i32 s33, s1
	s_waitcnt lgkmcnt(1)
	v_div_scale_f64 v[10:11], s[12:13], v[8:9], v[8:9], v[4:5]
	v_rcp_f64_e32 v[12:13], v[10:11]
	v_div_scale_f64 v[14:15], vcc, v[4:5], v[8:9], v[4:5]
	s_mov_b32 s11, s9
	v_fma_f64 v[16:17], -v[10:11], v[12:13], 1.0
	v_fmac_f64_e32 v[12:13], v[12:13], v[16:17]
	v_fma_f64 v[16:17], -v[10:11], v[12:13], 1.0
	v_fmac_f64_e32 v[12:13], v[12:13], v[16:17]
	v_mul_f64 v[16:17], v[14:15], v[12:13]
	v_fma_f64 v[10:11], -v[10:11], v[16:17], v[14:15]
	v_div_fmas_f64 v[10:11], v[10:11], v[12:13], v[16:17]
	v_div_fixup_f64 v[4:5], v[10:11], v[8:9], v[4:5]
	ds_write_b64 v7, v[4:5]
	v_mov_b32_e32 v4, v1
	s_mov_b32 s12, s31
	s_cbranch_scc1 .LBB91_74
.LBB91_78:                              ;   Parent Loop BB91_75 Depth=1
                                        ; =>  This Inner Loop Header: Depth=2
	v_mov_b32_e32 v5, s11
	ds_read_b64 v[8:9], v4
	ds_read_b64 v[10:11], v5
	s_add_i32 s12, s12, -1
	s_add_i32 s11, s11, -8
	v_add_u32_e32 v4, 0xffffff60, v4
	s_cmp_gt_i32 s12, s1
	s_waitcnt lgkmcnt(0)
	v_fma_f64 v[2:3], -v[8:9], v[10:11], v[2:3]
	s_cbranch_scc1 .LBB91_78
	s_branch .LBB91_74
.LBB91_79:
	s_mov_b64 s[16:17], 0
.LBB91_80:
	s_andn2_b64 vcc, exec, s[16:17]
	s_cbranch_vccnz .LBB91_99
; %bb.81:
	s_cmp_lt_i32 s30, 4
	s_mov_b32 s9, 0
	s_cbranch_scc1 .LBB91_88
; %bb.82:
	v_mov_b32_e32 v1, 0xc80
	v_lshl_add_u32 v1, v0, 3, v1
	s_mov_b32 s1, 0
	s_mov_b32 s8, 0
.LBB91_83:                              ; =>This Loop Header: Depth=1
                                        ;     Child Loop BB91_85 Depth 2
	s_mul_i32 s9, s8, 20
	v_add_lshl_u32 v10, s9, v0, 3
	s_add_i32 s11, s9, 20
	s_add_i32 s10, s9, 40
	s_add_i32 s9, s9, 60
	v_add_lshl_u32 v11, s11, v0, 3
	v_add_lshl_u32 v12, s10, v0, 3
	;; [unrolled: 1-line block ×3, first 2 shown]
	ds_read_b64 v[8:9], v10 offset:3200
	ds_read_b64 v[6:7], v11 offset:3200
	;; [unrolled: 1-line block ×4, first 2 shown]
	s_cmp_eq_u32 s8, 0
	s_cbranch_scc1 .LBB91_86
; %bb.84:                               ;   in Loop: Header=BB91_83 Depth=1
	s_mov_b32 s12, 0
	v_mov_b32_e32 v14, v1
	s_mov_b32 s13, s1
.LBB91_85:                              ;   Parent Loop BB91_83 Depth=1
                                        ; =>  This Inner Loop Header: Depth=2
	ds_read2_b64 v[16:19], v14 offset1:20
	v_mov_b32_e32 v15, s13
	ds_read2_b64 v[20:23], v14 offset0:40 offset1:60
	ds_read_b128 v[24:27], v15
	ds_read_b128 v[28:31], v15 offset:16
	ds_read_b128 v[32:35], v15 offset:160
	;; [unrolled: 1-line block ×7, first 2 shown]
	s_add_i32 s12, s12, 4
	s_waitcnt lgkmcnt(7)
	v_fma_f64 v[8:9], -v[16:17], v[24:25], v[8:9]
	s_waitcnt lgkmcnt(5)
	v_fma_f64 v[6:7], -v[16:17], v[32:33], v[6:7]
	;; [unrolled: 2-line block ×4, first 2 shown]
	v_fma_f64 v[8:9], -v[18:19], v[26:27], v[8:9]
	v_fma_f64 v[6:7], -v[18:19], v[34:35], v[6:7]
	;; [unrolled: 1-line block ×4, first 2 shown]
	s_add_i32 s13, s13, 32
	v_fma_f64 v[8:9], -v[20:21], v[28:29], v[8:9]
	v_fma_f64 v[6:7], -v[20:21], v[36:37], v[6:7]
	;; [unrolled: 1-line block ×3, first 2 shown]
	s_waitcnt lgkmcnt(0)
	v_fma_f64 v[2:3], -v[20:21], v[52:53], v[2:3]
	v_add_u32_e32 v14, 0x280, v14
	s_cmp_ge_u32 s12, s8
	v_fma_f64 v[8:9], -v[22:23], v[30:31], v[8:9]
	v_fma_f64 v[6:7], -v[22:23], v[38:39], v[6:7]
	;; [unrolled: 1-line block ×4, first 2 shown]
	s_cbranch_scc0 .LBB91_85
.LBB91_86:                              ;   in Loop: Header=BB91_83 Depth=1
	s_mul_i32 s12, s8, 0xa8
	v_add_u32_e32 v14, 0xc80, v10
	v_add_u32_e32 v10, 0xc80, v13
	v_mov_b32_e32 v13, s12
	ds_read2_b64 v[16:19], v13 offset1:42
	s_add_i32 s11, s11, s8
	s_lshl_b32 s11, s11, 3
	v_mov_b32_e32 v13, s11
	s_add_i32 s10, s10, s8
	s_waitcnt lgkmcnt(0)
	v_div_scale_f64 v[20:21], s[12:13], v[16:17], v[16:17], v[8:9]
	v_rcp_f64_e32 v[22:23], v[20:21]
	v_div_scale_f64 v[24:25], vcc, v[8:9], v[16:17], v[8:9]
	s_lshl_b32 s10, s10, 3
	v_fma_f64 v[26:27], -v[20:21], v[22:23], 1.0
	v_fmac_f64_e32 v[22:23], v[22:23], v[26:27]
	v_fma_f64 v[26:27], -v[20:21], v[22:23], 1.0
	v_fmac_f64_e32 v[22:23], v[22:23], v[26:27]
	v_mul_f64 v[26:27], v[24:25], v[22:23]
	v_fma_f64 v[20:21], -v[20:21], v[26:27], v[24:25]
	v_div_fmas_f64 v[20:21], v[20:21], v[22:23], v[26:27]
	v_div_fixup_f64 v[8:9], v[20:21], v[16:17], v[8:9]
	ds_read_b128 v[20:23], v13
	v_mov_b32_e32 v13, s10
	ds_read_b128 v[24:27], v13
	s_add_i32 s9, s9, s8
	s_lshl_b32 s9, s9, 3
	s_waitcnt lgkmcnt(1)
	v_fma_f64 v[6:7], -v[8:9], v[20:21], v[6:7]
	v_div_scale_f64 v[16:17], s[10:11], v[22:23], v[22:23], v[6:7]
	v_rcp_f64_e32 v[20:21], v[16:17]
	s_waitcnt lgkmcnt(0)
	v_fma_f64 v[4:5], -v[8:9], v[24:25], v[4:5]
	v_mov_b32_e32 v13, s9
	v_add_u32_e32 v11, 0xc80, v11
	v_fma_f64 v[28:29], -v[16:17], v[20:21], 1.0
	v_fmac_f64_e32 v[20:21], v[20:21], v[28:29]
	v_fma_f64 v[28:29], -v[16:17], v[20:21], 1.0
	v_fmac_f64_e32 v[20:21], v[20:21], v[28:29]
	v_div_scale_f64 v[28:29], vcc, v[6:7], v[22:23], v[6:7]
	v_mul_f64 v[30:31], v[28:29], v[20:21]
	v_fma_f64 v[16:17], -v[16:17], v[30:31], v[28:29]
	v_add_u32_e32 v12, 0xc80, v12
	s_nop 0
	v_div_fmas_f64 v[16:17], v[16:17], v[20:21], v[30:31]
	v_div_fixup_f64 v[16:17], v[16:17], v[22:23], v[6:7]
	v_fma_f64 v[24:25], -v[16:17], v[26:27], v[4:5]
	v_div_scale_f64 v[4:5], s[10:11], v[18:19], v[18:19], v[24:25]
	v_rcp_f64_e32 v[26:27], v[4:5]
	s_add_i32 s9, s8, 4
	s_add_i32 s8, s8, 7
	s_addk_i32 s1, 0x280
	v_fma_f64 v[6:7], -v[4:5], v[26:27], 1.0
	v_fmac_f64_e32 v[26:27], v[26:27], v[6:7]
	v_fma_f64 v[6:7], -v[4:5], v[26:27], 1.0
	v_fmac_f64_e32 v[26:27], v[26:27], v[6:7]
	v_div_scale_f64 v[6:7], vcc, v[24:25], v[18:19], v[24:25]
	v_mul_f64 v[28:29], v[6:7], v[26:27]
	v_fma_f64 v[30:31], -v[4:5], v[28:29], v[6:7]
	ds_read_b128 v[4:7], v13
	ds_read_b128 v[20:23], v13 offset:16
	v_div_fmas_f64 v[26:27], v[30:31], v[26:27], v[28:29]
	v_div_fixup_f64 v[18:19], v[26:27], v[18:19], v[24:25]
	ds_write_b64 v14, v[8:9]
	ds_write_b64 v11, v[16:17]
	;; [unrolled: 1-line block ×3, first 2 shown]
	s_waitcnt lgkmcnt(4)
	v_fma_f64 v[2:3], -v[8:9], v[4:5], v[2:3]
	v_fma_f64 v[2:3], -v[16:17], v[6:7], v[2:3]
	s_waitcnt lgkmcnt(3)
	v_fma_f64 v[2:3], -v[18:19], v[20:21], v[2:3]
	v_div_scale_f64 v[4:5], s[10:11], v[22:23], v[22:23], v[2:3]
	v_rcp_f64_e32 v[6:7], v[4:5]
	s_cmp_ge_i32 s8, s31
	v_fma_f64 v[8:9], -v[4:5], v[6:7], 1.0
	v_fmac_f64_e32 v[6:7], v[6:7], v[8:9]
	v_fma_f64 v[8:9], -v[4:5], v[6:7], 1.0
	v_fmac_f64_e32 v[6:7], v[6:7], v[8:9]
	v_div_scale_f64 v[8:9], vcc, v[2:3], v[22:23], v[2:3]
	v_mul_f64 v[12:13], v[8:9], v[6:7]
	v_fma_f64 v[4:5], -v[4:5], v[12:13], v[8:9]
	s_nop 1
	v_div_fmas_f64 v[4:5], v[4:5], v[6:7], v[12:13]
	v_div_fixup_f64 v[2:3], v[4:5], v[22:23], v[2:3]
	ds_write_b64 v10, v[2:3]
	s_cbranch_scc1 .LBB91_88
; %bb.87:                               ;   in Loop: Header=BB91_83 Depth=1
	s_mov_b32 s8, s9
	s_branch .LBB91_83
.LBB91_88:
	s_cmp_ge_i32 s9, s31
	s_cbranch_scc1 .LBB91_99
; %bb.89:
	v_mov_b32_e32 v1, 0xc80
	s_add_i32 s1, s9, -1
	s_mul_i32 s8, s9, 0xa0
	v_lshl_add_u32 v1, v0, 3, v1
	s_mov_b32 s10, 0
	s_mov_b32 s11, s9
	s_branch .LBB91_91
.LBB91_90:                              ;   in Loop: Header=BB91_91 Depth=1
	s_mul_i32 s12, s9, 0xa8
	v_mov_b32_e32 v5, s12
	ds_read_b64 v[6:7], v5
	v_add_u32_e32 v4, 0xc80, v4
	s_add_i32 s9, s9, 1
	s_add_i32 s10, s10, 1
	s_addk_i32 s8, 0xa0
	s_waitcnt lgkmcnt(0)
	v_div_scale_f64 v[8:9], s[12:13], v[6:7], v[6:7], v[2:3]
	v_rcp_f64_e32 v[10:11], v[8:9]
	v_div_scale_f64 v[12:13], vcc, v[2:3], v[6:7], v[2:3]
	s_cmp_ge_i32 s9, s31
	v_fma_f64 v[14:15], -v[8:9], v[10:11], 1.0
	v_fmac_f64_e32 v[10:11], v[10:11], v[14:15]
	v_fma_f64 v[14:15], -v[8:9], v[10:11], 1.0
	v_fmac_f64_e32 v[10:11], v[10:11], v[14:15]
	v_mul_f64 v[14:15], v[12:13], v[10:11]
	v_fma_f64 v[8:9], -v[8:9], v[14:15], v[12:13]
	v_div_fmas_f64 v[8:9], v[8:9], v[10:11], v[14:15]
	v_div_fixup_f64 v[2:3], v[8:9], v[6:7], v[2:3]
	ds_write_b64 v4, v[2:3]
	v_add_u16_e64 v2, s11, 1
	v_readfirstlane_b32 s11, v2
	s_cbranch_scc1 .LBB91_99
.LBB91_91:                              ; =>This Loop Header: Depth=1
                                        ;     Child Loop BB91_94 Depth 2
                                        ;     Child Loop BB91_98 Depth 2
	s_mul_i32 s12, s9, 20
	v_add_lshl_u32 v4, s12, v0, 3
	ds_read_b64 v[2:3], v4 offset:3200
	s_cmp_eq_u32 s9, 0
	s_cbranch_scc1 .LBB91_90
; %bb.92:                               ;   in Loop: Header=BB91_91 Depth=1
	s_add_i32 s12, s1, s10
	s_cmp_lt_u32 s12, 7
	s_cbranch_scc1 .LBB91_96
; %bb.93:                               ;   in Loop: Header=BB91_91 Depth=1
	s_and_b32 s12, s9, -8
	s_mov_b32 s13, 0
	v_mov_b32_e32 v5, v1
	s_mov_b32 s16, s8
.LBB91_94:                              ;   Parent Loop BB91_91 Depth=1
                                        ; =>  This Inner Loop Header: Depth=2
	ds_read2_b64 v[6:9], v5 offset1:20
	v_mov_b32_e32 v34, s16
	ds_read2_b64 v[10:13], v5 offset0:40 offset1:60
	ds_read2_b64 v[14:17], v5 offset0:80 offset1:100
	;; [unrolled: 1-line block ×3, first 2 shown]
	ds_read_b128 v[22:25], v34
	ds_read_b128 v[26:29], v34 offset:16
	ds_read_b128 v[30:33], v34 offset:32
	;; [unrolled: 1-line block ×3, first 2 shown]
	s_add_i32 s13, s13, 8
	s_waitcnt lgkmcnt(3)
	v_fma_f64 v[2:3], -v[6:7], v[22:23], v[2:3]
	v_fma_f64 v[2:3], -v[8:9], v[24:25], v[2:3]
	s_waitcnt lgkmcnt(2)
	v_fma_f64 v[2:3], -v[10:11], v[26:27], v[2:3]
	v_fma_f64 v[2:3], -v[12:13], v[28:29], v[2:3]
	;; [unrolled: 3-line block ×3, first 2 shown]
	s_add_i32 s16, s16, 64
	s_waitcnt lgkmcnt(0)
	v_fma_f64 v[2:3], -v[18:19], v[34:35], v[2:3]
	v_add_u32_e32 v5, 0x500, v5
	s_cmp_eq_u32 s12, s13
	v_fma_f64 v[2:3], -v[20:21], v[36:37], v[2:3]
	s_cbranch_scc0 .LBB91_94
; %bb.95:                               ;   in Loop: Header=BB91_91 Depth=1
	s_and_b32 s13, s9, 7
	s_cmp_eq_u32 s13, 0
	s_cbranch_scc0 .LBB91_97
	s_branch .LBB91_90
.LBB91_96:                              ;   in Loop: Header=BB91_91 Depth=1
	s_mov_b32 s12, 0
	s_and_b32 s13, s9, 7
	s_cmp_eq_u32 s13, 0
	s_cbranch_scc1 .LBB91_90
.LBB91_97:                              ;   in Loop: Header=BB91_91 Depth=1
	s_lshl_b32 s16, s12, 3
	s_mulk_i32 s12, 0xa0
	s_and_b32 s13, s11, 7
	v_add_u32_e32 v5, s12, v1
.LBB91_98:                              ;   Parent Loop BB91_91 Depth=1
                                        ; =>  This Inner Loop Header: Depth=2
	s_add_i32 s12, s8, s16
	v_mov_b32_e32 v8, s12
	ds_read_b64 v[6:7], v5
	ds_read_b64 v[8:9], v8
	s_add_i32 s16, s16, 8
	s_add_i32 s13, s13, -1
	v_add_u32_e32 v5, 0xa0, v5
	s_cmp_lg_u32 s13, 0
	s_waitcnt lgkmcnt(0)
	v_fma_f64 v[2:3], -v[6:7], v[8:9], v[2:3]
	s_cbranch_scc1 .LBB91_98
	s_branch .LBB91_90
.LBB91_99:
	s_and_saveexec_b64 s[8:9], s[6:7]
	s_cbranch_execz .LBB91_106
; %bb.100:
	s_ashr_i32 s1, s0, 31
	s_mov_b32 s12, 0
	s_cmp_lt_u32 s30, 4
	v_lshlrev_b32_e32 v1, 3, v0
	s_cbranch_scc1 .LBB91_103
; %bb.101:
	v_mov_b32_e32 v3, s25
	v_add_co_u32_e32 v2, vcc, s24, v1
	s_mul_hi_i32 s17, s0, 24
	s_lshl_b64 s[6:7], s[0:1], 5
	s_lshl_b64 s[8:9], s[0:1], 4
	;; [unrolled: 1-line block ×3, first 2 shown]
	v_mov_b32_e32 v4, 0xc80
	v_addc_co_u32_e32 v3, vcc, 0, v3, vcc
	s_and_b32 s12, s30, 0x7ffffffc
	s_mul_i32 s13, s0, 24
	v_lshl_add_u32 v4, v0, 3, v4
	s_mov_b32 s16, 0
	v_mov_b32_e32 v5, s11
	v_mov_b32_e32 v6, s9
	;; [unrolled: 1-line block ×4, first 2 shown]
.LBB91_102:                             ; =>This Inner Loop Header: Depth=1
	v_add_co_u32_e32 v18, vcc, s10, v2
	ds_read2_b64 v[10:13], v4 offset1:20
	v_addc_co_u32_e32 v19, vcc, v3, v5, vcc
	v_add_co_u32_e32 v20, vcc, s8, v2
	ds_read2_b64 v[14:17], v4 offset0:40 offset1:60
	v_addc_co_u32_e32 v21, vcc, v3, v6, vcc
	v_add_co_u32_e32 v22, vcc, s13, v2
	v_addc_co_u32_e32 v23, vcc, v3, v7, vcc
	s_add_i32 s16, s16, 4
	s_waitcnt lgkmcnt(1)
	global_store_dwordx2 v[2:3], v[10:11], off
	global_store_dwordx2 v[18:19], v[12:13], off
	s_waitcnt lgkmcnt(0)
	global_store_dwordx2 v[20:21], v[14:15], off
	global_store_dwordx2 v[22:23], v[16:17], off
	v_add_co_u32_e32 v2, vcc, s6, v2
	v_add_u32_e32 v4, 0x280, v4
	s_cmp_lg_u32 s12, s16
	v_addc_co_u32_e32 v3, vcc, v3, v8, vcc
	s_cbranch_scc1 .LBB91_102
.LBB91_103:
	s_and_b32 s6, s30, 3
	s_cmp_eq_u32 s6, 0
	s_cbranch_scc1 .LBB91_106
; %bb.104:
	s_mul_hi_i32 s9, s0, s12
	s_mul_i32 s8, s0, s12
	s_lshl_b64 s[8:9], s[8:9], 3
	s_add_u32 s7, s14, s8
	s_addc_u32 s8, s15, s9
	s_add_u32 s7, s7, s23
	s_addc_u32 s8, s8, s22
	;; [unrolled: 2-line block ×4, first 2 shown]
	v_add_co_u32_e32 v2, vcc, s2, v1
	s_mul_i32 s2, s12, 0xa0
	v_mov_b32_e32 v3, s3
	s_lshl_b64 s[0:1], s[0:1], 3
	v_lshl_add_u32 v0, v0, 3, s2
	v_addc_co_u32_e32 v3, vcc, 0, v3, vcc
	v_add_u32_e32 v0, 0xc80, v0
	v_mov_b32_e32 v1, s1
.LBB91_105:                             ; =>This Inner Loop Header: Depth=1
	ds_read_b64 v[4:5], v0
	s_add_i32 s6, s6, -1
	v_add_u32_e32 v0, 0xa0, v0
	s_cmp_lg_u32 s6, 0
	s_waitcnt lgkmcnt(0)
	global_store_dwordx2 v[2:3], v[4:5], off
	v_add_co_u32_e32 v2, vcc, s0, v2
	v_addc_co_u32_e32 v3, vcc, v3, v1, vcc
	s_cbranch_scc1 .LBB91_105
.LBB91_106:
	s_endpgm
	.section	.rodata,"a",@progbits
	.p2align	6, 0x0
	.amdhsa_kernel _ZL31rocblas_trsm_small_right_deviceIddPKdPdLi20EEv13rocblas_fill_18rocblas_operation_17rocblas_diagonal_iiT0_T1_lilT2_lili
		.amdhsa_group_segment_fixed_size 6400
		.amdhsa_private_segment_fixed_size 0
		.amdhsa_kernarg_size 360
		.amdhsa_user_sgpr_count 6
		.amdhsa_user_sgpr_private_segment_buffer 1
		.amdhsa_user_sgpr_dispatch_ptr 0
		.amdhsa_user_sgpr_queue_ptr 0
		.amdhsa_user_sgpr_kernarg_segment_ptr 1
		.amdhsa_user_sgpr_dispatch_id 0
		.amdhsa_user_sgpr_flat_scratch_init 0
		.amdhsa_user_sgpr_kernarg_preload_length 0
		.amdhsa_user_sgpr_kernarg_preload_offset 0
		.amdhsa_user_sgpr_private_segment_size 0
		.amdhsa_uses_dynamic_stack 0
		.amdhsa_system_sgpr_private_segment_wavefront_offset 0
		.amdhsa_system_sgpr_workgroup_id_x 1
		.amdhsa_system_sgpr_workgroup_id_y 0
		.amdhsa_system_sgpr_workgroup_id_z 1
		.amdhsa_system_sgpr_workgroup_info 0
		.amdhsa_system_vgpr_workitem_id 0
		.amdhsa_next_free_vgpr 56
		.amdhsa_next_free_sgpr 38
		.amdhsa_accum_offset 56
		.amdhsa_reserve_vcc 1
		.amdhsa_reserve_flat_scratch 0
		.amdhsa_float_round_mode_32 0
		.amdhsa_float_round_mode_16_64 0
		.amdhsa_float_denorm_mode_32 3
		.amdhsa_float_denorm_mode_16_64 3
		.amdhsa_dx10_clamp 1
		.amdhsa_ieee_mode 1
		.amdhsa_fp16_overflow 0
		.amdhsa_tg_split 0
		.amdhsa_exception_fp_ieee_invalid_op 0
		.amdhsa_exception_fp_denorm_src 0
		.amdhsa_exception_fp_ieee_div_zero 0
		.amdhsa_exception_fp_ieee_overflow 0
		.amdhsa_exception_fp_ieee_underflow 0
		.amdhsa_exception_fp_ieee_inexact 0
		.amdhsa_exception_int_div_zero 0
	.end_amdhsa_kernel
	.section	.text._ZL31rocblas_trsm_small_right_deviceIddPKdPdLi20EEv13rocblas_fill_18rocblas_operation_17rocblas_diagonal_iiT0_T1_lilT2_lili,"axG",@progbits,_ZL31rocblas_trsm_small_right_deviceIddPKdPdLi20EEv13rocblas_fill_18rocblas_operation_17rocblas_diagonal_iiT0_T1_lilT2_lili,comdat
.Lfunc_end91:
	.size	_ZL31rocblas_trsm_small_right_deviceIddPKdPdLi20EEv13rocblas_fill_18rocblas_operation_17rocblas_diagonal_iiT0_T1_lilT2_lili, .Lfunc_end91-_ZL31rocblas_trsm_small_right_deviceIddPKdPdLi20EEv13rocblas_fill_18rocblas_operation_17rocblas_diagonal_iiT0_T1_lilT2_lili
                                        ; -- End function
	.section	.AMDGPU.csdata,"",@progbits
; Kernel info:
; codeLenInByte = 8036
; NumSgprs: 42
; NumVgprs: 56
; NumAgprs: 0
; TotalNumVgprs: 56
; ScratchSize: 0
; MemoryBound: 0
; FloatMode: 240
; IeeeMode: 1
; LDSByteSize: 6400 bytes/workgroup (compile time only)
; SGPRBlocks: 5
; VGPRBlocks: 6
; NumSGPRsForWavesPerEU: 42
; NumVGPRsForWavesPerEU: 56
; AccumOffset: 56
; Occupancy: 3
; WaveLimiterHint : 0
; COMPUTE_PGM_RSRC2:SCRATCH_EN: 0
; COMPUTE_PGM_RSRC2:USER_SGPR: 6
; COMPUTE_PGM_RSRC2:TRAP_HANDLER: 0
; COMPUTE_PGM_RSRC2:TGID_X_EN: 1
; COMPUTE_PGM_RSRC2:TGID_Y_EN: 0
; COMPUTE_PGM_RSRC2:TGID_Z_EN: 1
; COMPUTE_PGM_RSRC2:TIDIG_COMP_CNT: 0
; COMPUTE_PGM_RSRC3_GFX90A:ACCUM_OFFSET: 13
; COMPUTE_PGM_RSRC3_GFX90A:TG_SPLIT: 0
	.section	.text._ZL38rocblas_trsm_small_left_device_sharedBILi24ELi24ELb0EddPKdPdEv13rocblas_fill_18rocblas_operation_17rocblas_diagonal_iiT3_T4_lilT5_lili,"axG",@progbits,_ZL38rocblas_trsm_small_left_device_sharedBILi24ELi24ELb0EddPKdPdEv13rocblas_fill_18rocblas_operation_17rocblas_diagonal_iiT3_T4_lilT5_lili,comdat
	.globl	_ZL38rocblas_trsm_small_left_device_sharedBILi24ELi24ELb0EddPKdPdEv13rocblas_fill_18rocblas_operation_17rocblas_diagonal_iiT3_T4_lilT5_lili ; -- Begin function _ZL38rocblas_trsm_small_left_device_sharedBILi24ELi24ELb0EddPKdPdEv13rocblas_fill_18rocblas_operation_17rocblas_diagonal_iiT3_T4_lilT5_lili
	.p2align	8
	.type	_ZL38rocblas_trsm_small_left_device_sharedBILi24ELi24ELb0EddPKdPdEv13rocblas_fill_18rocblas_operation_17rocblas_diagonal_iiT3_T4_lilT5_lili,@function
_ZL38rocblas_trsm_small_left_device_sharedBILi24ELi24ELb0EddPKdPdEv13rocblas_fill_18rocblas_operation_17rocblas_diagonal_iiT3_T4_lilT5_lili: ; @_ZL38rocblas_trsm_small_left_device_sharedBILi24ELi24ELb0EddPKdPdEv13rocblas_fill_18rocblas_operation_17rocblas_diagonal_iiT3_T4_lilT5_lili
; %bb.0:
	s_load_dwordx4 s[8:11], s[4:5], 0x4
	s_load_dwordx4 s[12:15], s[4:5], 0x18
	s_load_dwordx2 s[20:21], s[4:5], 0x28
	s_load_dwordx4 s[0:3], s[4:5], 0x38
	s_load_dwordx2 s[16:17], s[4:5], 0x48
	s_waitcnt lgkmcnt(0)
	s_min_i32 s30, s10, 24
	s_mov_b32 s33, 0
	s_add_i32 s31, s30, -1
	v_cmp_gt_i32_e32 vcc, s30, v0
	s_and_saveexec_b64 s[18:19], vcc
	s_cbranch_execz .LBB92_10
; %bb.1:
	s_load_dword s22, s[4:5], 0x30
	s_mul_i32 s1, s7, s1
	s_mul_hi_u32 s24, s7, s0
	s_add_i32 s1, s24, s1
	s_mul_i32 s0, s7, s0
	s_waitcnt lgkmcnt(0)
	s_ashr_i32 s23, s22, 31
	s_cmp_lt_u32 s31, 3
	s_cbranch_scc1 .LBB92_4
; %bb.2:
	s_lshl_b64 s[24:25], s[0:1], 3
	s_add_u32 s26, s14, s24
	s_addc_u32 s27, s15, s25
	s_lshl_b64 s[24:25], s[20:21], 3
	s_add_u32 s24, s26, s24
	s_addc_u32 s25, s27, s25
	v_lshlrev_b32_e32 v1, 3, v0
	v_mov_b32_e32 v3, s25
	v_add_co_u32_e32 v2, vcc, s24, v1
	s_mul_hi_i32 s36, s22, 24
	s_lshl_b64 s[24:25], s[22:23], 5
	s_lshl_b64 s[26:27], s[22:23], 4
	;; [unrolled: 1-line block ×3, first 2 shown]
	v_addc_co_u32_e32 v3, vcc, 0, v3, vcc
	s_and_b32 s33, s30, -4
	s_mul_i32 s34, s22, 24
	s_mov_b32 s35, 0
	v_mov_b32_e32 v4, s29
	v_mov_b32_e32 v5, s27
	;; [unrolled: 1-line block ×4, first 2 shown]
.LBB92_3:                               ; =>This Inner Loop Header: Depth=1
	v_add_co_u32_e32 v10, vcc, s28, v2
	v_addc_co_u32_e32 v11, vcc, v3, v4, vcc
	v_add_co_u32_e32 v12, vcc, s26, v2
	v_addc_co_u32_e32 v13, vcc, v3, v5, vcc
	v_add_co_u32_e32 v14, vcc, s34, v2
	global_load_dwordx2 v[8:9], v[2:3], off
	v_addc_co_u32_e32 v15, vcc, v3, v6, vcc
	global_load_dwordx2 v[16:17], v[10:11], off
	global_load_dwordx2 v[18:19], v[12:13], off
	;; [unrolled: 1-line block ×3, first 2 shown]
	s_add_i32 s35, s35, 4
	v_add_co_u32_e32 v2, vcc, s24, v2
	v_addc_co_u32_e32 v3, vcc, v3, v7, vcc
	s_cmp_eq_u32 s33, s35
	s_waitcnt vmcnt(2)
	ds_write2_b64 v1, v[8:9], v[16:17] offset1:24
	s_waitcnt vmcnt(0)
	ds_write2_b64 v1, v[18:19], v[20:21] offset0:48 offset1:72
	v_add_u32_e32 v1, 0x300, v1
	s_cbranch_scc0 .LBB92_3
.LBB92_4:
	s_and_b32 s24, s30, 3
	s_cmp_eq_u32 s24, 0
	s_cbranch_scc1 .LBB92_7
; %bb.5:
	s_mul_i32 s25, s33, 0xc0
	v_lshl_add_u32 v1, v0, 3, s25
	s_mul_i32 s25, s23, s33
	s_mul_hi_u32 s26, s22, s33
	s_add_i32 s27, s26, s25
	s_mul_i32 s26, s22, s33
	s_lshl_b64 s[0:1], s[0:1], 3
	s_lshl_b64 s[26:27], s[26:27], 3
	s_add_u32 s25, s0, s26
	s_addc_u32 s26, s1, s27
	s_lshl_b64 s[0:1], s[20:21], 3
	s_add_u32 s0, s25, s0
	s_addc_u32 s1, s26, s1
	s_add_u32 s0, s14, s0
	v_lshlrev_b32_e32 v2, 3, v0
	s_addc_u32 s1, s15, s1
	v_mov_b32_e32 v3, s1
	v_add_co_u32_e32 v2, vcc, s0, v2
	s_lshl_b64 s[0:1], s[22:23], 3
	v_addc_co_u32_e32 v3, vcc, 0, v3, vcc
	v_mov_b32_e32 v4, s1
.LBB92_6:                               ; =>This Inner Loop Header: Depth=1
	global_load_dwordx2 v[6:7], v[2:3], off
	v_add_co_u32_e32 v2, vcc, s0, v2
	s_add_i32 s24, s24, -1
	v_addc_co_u32_e32 v3, vcc, v3, v4, vcc
	s_cmp_lg_u32 s24, 0
	s_waitcnt vmcnt(0)
	ds_write_b64 v1, v[6:7]
	v_add_u32_e32 v1, 0xc0, v1
	s_cbranch_scc1 .LBB92_6
.LBB92_7:
	v_mul_u32_u24_e32 v1, 25, v0
	v_mov_b32_e32 v2, 0
	s_cmpk_lg_i32 s9, 0x84
	v_lshlrev_b32_e32 v1, 3, v1
	v_mov_b32_e32 v3, 0x3ff00000
	s_cbranch_scc0 .LBB92_9
; %bb.8:
	ds_read_b64 v[2:3], v1
	s_waitcnt lgkmcnt(0)
	v_div_scale_f64 v[4:5], s[0:1], v[2:3], v[2:3], 1.0
	v_rcp_f64_e32 v[6:7], v[4:5]
	v_div_scale_f64 v[8:9], vcc, 1.0, v[2:3], 1.0
	v_fma_f64 v[10:11], -v[4:5], v[6:7], 1.0
	v_fmac_f64_e32 v[6:7], v[6:7], v[10:11]
	v_fma_f64 v[10:11], -v[4:5], v[6:7], 1.0
	v_fmac_f64_e32 v[6:7], v[6:7], v[10:11]
	v_mul_f64 v[10:11], v[8:9], v[6:7]
	v_fma_f64 v[4:5], -v[4:5], v[10:11], v[8:9]
	v_div_fmas_f64 v[4:5], v[4:5], v[6:7], v[10:11]
	v_div_fixup_f64 v[2:3], v[4:5], v[2:3], 1.0
.LBB92_9:
	ds_write_b64 v1, v[2:3]
.LBB92_10:
	s_or_b64 exec, exec, s[18:19]
	s_load_dword s9, s[4:5], 0x68
	s_load_dword s22, s[4:5], 0x50
	s_load_dwordx2 s[0:1], s[4:5], 0x58
	s_mov_b32 s18, 0
	s_waitcnt lgkmcnt(0)
	s_ashr_i32 s23, s22, 31
	s_mul_i32 s1, s7, s1
	s_mul_hi_u32 s4, s7, s0
	s_mul_i32 s0, s7, s0
	s_add_i32 s1, s4, s1
	s_lshl_b64 s[0:1], s[0:1], 3
	s_add_u32 s7, s2, s0
	s_addc_u32 s14, s3, s1
	s_lshl_b64 s[4:5], s[16:17], 3
	s_add_u32 s16, s7, s4
	s_mul_i32 s7, s6, 0xffffffe8
	s_addc_u32 s17, s14, s5
	s_add_i32 s9, s9, -1
	s_add_i32 s7, s7, s11
	s_cmp_ge_u32 s6, s9
	s_mul_i32 s6, s6, 24
	s_mul_hi_i32 s15, s22, s6
	s_mul_i32 s14, s22, s6
	s_cselect_b32 s9, s7, 24
	s_ashr_i32 s7, s6, 31
	s_lshl_b64 s[14:15], s[14:15], 3
	s_add_u32 s11, s16, s14
	s_addc_u32 s24, s17, s15
	s_cmp_gt_i32 s10, 0
	v_cmp_gt_i32_e32 vcc, s9, v0
	s_cselect_b64 s[14:15], -1, 0
	s_and_b64 s[14:15], vcc, s[14:15]
	s_and_saveexec_b64 s[16:17], s[14:15]
	s_cbranch_execz .LBB92_17
; %bb.11:
	s_cmp_lt_i32 s10, 8
	s_cbranch_scc1 .LBB92_14
; %bb.12:
	v_mad_i64_i32 v[2:3], s[18:19], s22, v0, 0
	v_lshlrev_b64 v[2:3], 3, v[2:3]
	v_mov_b32_e32 v4, s24
	v_add_co_u32_e32 v1, vcc, s11, v2
	v_addc_co_u32_e32 v2, vcc, v4, v3, vcc
	v_mov_b32_e32 v3, 0x1200
	s_lshl_b32 s9, s30, 3
	v_lshl_or_b32 v3, v0, 3, v3
	s_and_b32 s9, s9, 0xc0
	s_mov_b32 s18, 0
	s_mov_b64 s[20:21], 0
.LBB92_13:                              ; =>This Inner Loop Header: Depth=1
	v_mov_b32_e32 v4, s21
	v_add_co_u32_e32 v20, vcc, s20, v1
	v_addc_co_u32_e32 v21, vcc, v2, v4, vcc
	global_load_dwordx4 v[4:7], v[20:21], off
	global_load_dwordx4 v[8:11], v[20:21], off offset:16
	global_load_dwordx4 v[12:15], v[20:21], off offset:32
	;; [unrolled: 1-line block ×3, first 2 shown]
	s_add_i32 s18, s18, 8
	s_add_u32 s20, s20, 64
	s_addc_u32 s21, s21, 0
	s_cmp_lg_u32 s9, s20
	s_waitcnt vmcnt(3)
	v_mul_f64 v[4:5], v[4:5], s[12:13]
	v_mul_f64 v[6:7], v[6:7], s[12:13]
	s_waitcnt vmcnt(2)
	v_mul_f64 v[8:9], v[8:9], s[12:13]
	v_mul_f64 v[10:11], v[10:11], s[12:13]
	;; [unrolled: 3-line block ×4, first 2 shown]
	ds_write2_b64 v3, v[4:5], v[6:7] offset1:24
	ds_write2_b64 v3, v[8:9], v[10:11] offset0:48 offset1:72
	ds_write2_b64 v3, v[12:13], v[14:15] offset0:96 offset1:120
	;; [unrolled: 1-line block ×3, first 2 shown]
	v_add_u32_e32 v3, 0x600, v3
	s_cbranch_scc1 .LBB92_13
.LBB92_14:
	s_and_b32 s9, s30, 7
	s_cmp_eq_u32 s9, 0
	s_mov_b32 s19, 0
	s_cbranch_scc1 .LBB92_17
; %bb.15:
	s_mul_i32 s20, s18, 0xc0
	v_lshl_add_u32 v1, v0, 3, s20
	s_lshl_b64 s[20:21], s[6:7], 3
	s_lshl_b64 s[18:19], s[18:19], 3
	s_add_u32 s18, s2, s18
	s_addc_u32 s19, s3, s19
	s_add_u32 s18, s18, s4
	s_addc_u32 s19, s19, s5
	v_lshlrev_b32_e32 v2, 3, v0
	s_add_u32 s18, s18, s0
	v_mov_b32_e32 v3, s21
	v_add_co_u32_e32 v4, vcc, s20, v2
	s_addc_u32 s19, s19, s1
	v_addc_co_u32_e32 v5, vcc, 0, v3, vcc
	v_pk_mov_b32 v[2:3], s[18:19], s[18:19] op_sel:[0,1]
	v_mad_u64_u32 v[2:3], s[18:19], v4, s22, v[2:3]
	v_mul_lo_u32 v4, v4, s23
	v_mul_lo_u32 v5, v5, s22
	v_add_u32_e32 v1, 0x1200, v1
	v_add3_u32 v3, v5, v3, v4
.LBB92_16:                              ; =>This Inner Loop Header: Depth=1
	global_load_dwordx2 v[4:5], v[2:3], off
	v_add_co_u32_e32 v2, vcc, 8, v2
	s_add_i32 s9, s9, -1
	v_addc_co_u32_e32 v3, vcc, 0, v3, vcc
	s_cmp_lg_u32 s9, 0
	s_waitcnt vmcnt(0)
	v_mul_f64 v[4:5], v[4:5], s[12:13]
	ds_write_b64 v1, v[4:5]
	v_add_u32_e32 v1, 0xc0, v1
	s_cbranch_scc1 .LBB92_16
.LBB92_17:
	s_or_b64 exec, exec, s[16:17]
	s_cmpk_eq_i32 s8, 0x6f
	s_mov_b64 s[8:9], -1
	s_waitcnt lgkmcnt(0)
	; wave barrier
	s_waitcnt lgkmcnt(0)
	s_cbranch_scc1 .LBB92_38
; %bb.18:
	s_cmp_gt_i32 s10, 23
	s_cselect_b64 s[8:9], -1, 0
	s_mov_b32 s12, 0
	s_and_b64 vcc, exec, s[8:9]
	s_cbranch_vccz .LBB92_20
; %bb.19:
	v_lshlrev_b32_e32 v1, 3, v0
	v_add_u32_e32 v51, 0x1000, v1
	v_add_u32_e32 v50, 0x1800, v1
	v_mov_b32_e32 v54, 0
	ds_read2_b64 v[34:37], v51 offset0:64 offset1:88
	ds_read2_b64 v[38:41], v51 offset0:112 offset1:136
	;; [unrolled: 1-line block ×4, first 2 shown]
	ds_read2_b64 v[30:33], v50 offset1:24
	ds_read2_b64 v[26:29], v50 offset0:48 offset1:72
	ds_read2_b64 v[22:25], v50 offset0:96 offset1:120
	;; [unrolled: 1-line block ×4, first 2 shown]
	ds_read2_b64 v[56:59], v54 offset1:50
	v_add_u32_e32 v55, 0x1c00, v1
	ds_read2_b64 v[10:13], v55 offset0:112 offset1:136
	v_add_u32_e32 v1, 0x2000, v1
	ds_read_b128 v[60:63], v54 offset:192
	ds_read2_b64 v[6:9], v1 offset0:32 offset1:56
	ds_read2_b64 v[2:5], v1 offset0:80 offset1:104
	ds_read_b128 v[64:67], v54 offset:384
	s_waitcnt lgkmcnt(5)
	v_mul_f64 v[34:35], v[56:57], v[34:35]
	s_waitcnt lgkmcnt(3)
	v_fma_f64 v[36:37], -v[34:35], v[60:61], v[36:37]
	v_mul_f64 v[36:37], v[62:63], v[36:37]
	ds_read_b128 v[60:63], v54 offset:576
	s_waitcnt lgkmcnt(1)
	v_fma_f64 v[38:39], -v[34:35], v[64:65], v[38:39]
	v_fma_f64 v[38:39], -v[36:37], v[66:67], v[38:39]
	ds_read_b128 v[64:67], v54 offset:592
	v_mul_f64 v[38:39], v[58:59], v[38:39]
	ds_read_b128 v[56:59], v54 offset:768
	s_waitcnt lgkmcnt(2)
	v_fma_f64 v[40:41], -v[34:35], v[60:61], v[40:41]
	v_fma_f64 v[40:41], -v[36:37], v[62:63], v[40:41]
	ds_read_b128 v[60:63], v54 offset:784
	s_waitcnt lgkmcnt(2)
	v_fma_f64 v[40:41], -v[38:39], v[64:65], v[40:41]
	v_mul_f64 v[40:41], v[66:67], v[40:41]
	ds_write2_b64 v51, v[34:35], v[36:37] offset0:64 offset1:88
	ds_write2_b64 v51, v[38:39], v[40:41] offset0:112 offset1:136
	s_waitcnt lgkmcnt(3)
	v_fma_f64 v[42:43], -v[34:35], v[56:57], v[42:43]
	v_fma_f64 v[42:43], -v[36:37], v[58:59], v[42:43]
	ds_read2_b64 v[56:59], v54 offset0:100 offset1:150
	ds_read_b128 v[64:67], v54 offset:960
	s_waitcnt lgkmcnt(4)
	v_fma_f64 v[42:43], -v[38:39], v[60:61], v[42:43]
	v_fma_f64 v[42:43], -v[40:41], v[62:63], v[42:43]
	ds_read_b128 v[60:63], v54 offset:976
	ds_read_b128 v[68:71], v54 offset:992
	s_waitcnt lgkmcnt(2)
	v_fma_f64 v[44:45], -v[34:35], v[64:65], v[44:45]
	v_fma_f64 v[44:45], -v[36:37], v[66:67], v[44:45]
	v_mul_f64 v[42:43], v[56:57], v[42:43]
	s_waitcnt lgkmcnt(1)
	v_fma_f64 v[44:45], -v[38:39], v[60:61], v[44:45]
	v_fma_f64 v[44:45], -v[40:41], v[62:63], v[44:45]
	ds_read_b128 v[60:63], v54 offset:1152
	ds_read_b128 v[64:67], v54 offset:1168
	s_waitcnt lgkmcnt(2)
	v_fma_f64 v[44:45], -v[42:43], v[68:69], v[44:45]
	v_mul_f64 v[44:45], v[70:71], v[44:45]
	ds_read_b128 v[68:71], v54 offset:1184
	s_waitcnt lgkmcnt(2)
	v_fma_f64 v[46:47], -v[34:35], v[60:61], v[46:47]
	v_fma_f64 v[46:47], -v[36:37], v[62:63], v[46:47]
	ds_read_b128 v[60:63], v54 offset:1344
	s_waitcnt lgkmcnt(2)
	v_fma_f64 v[46:47], -v[38:39], v[64:65], v[46:47]
	v_fma_f64 v[46:47], -v[40:41], v[66:67], v[46:47]
	s_waitcnt lgkmcnt(1)
	v_fma_f64 v[46:47], -v[42:43], v[68:69], v[46:47]
	ds_read_b128 v[64:67], v54 offset:1360
	v_fma_f64 v[46:47], -v[44:45], v[70:71], v[46:47]
	v_mul_f64 v[46:47], v[58:59], v[46:47]
	ds_read_b128 v[56:59], v54 offset:1376
	s_waitcnt lgkmcnt(2)
	v_fma_f64 v[48:49], -v[34:35], v[60:61], v[48:49]
	v_fma_f64 v[48:49], -v[36:37], v[62:63], v[48:49]
	ds_read_b128 v[60:63], v54 offset:1392
	s_waitcnt lgkmcnt(2)
	v_fma_f64 v[48:49], -v[38:39], v[64:65], v[48:49]
	v_fma_f64 v[48:49], -v[40:41], v[66:67], v[48:49]
	s_waitcnt lgkmcnt(1)
	v_fma_f64 v[48:49], -v[42:43], v[56:57], v[48:49]
	v_fma_f64 v[48:49], -v[44:45], v[58:59], v[48:49]
	ds_read_b128 v[56:59], v54 offset:1536
	s_waitcnt lgkmcnt(1)
	v_fma_f64 v[48:49], -v[46:47], v[60:61], v[48:49]
	v_mul_f64 v[48:49], v[62:63], v[48:49]
	ds_read_b128 v[60:63], v54 offset:1552
	ds_read_b128 v[64:67], v54 offset:1568
	s_waitcnt lgkmcnt(2)
	v_fma_f64 v[30:31], -v[34:35], v[56:57], v[30:31]
	v_fma_f64 v[30:31], -v[36:37], v[58:59], v[30:31]
	ds_read_b128 v[56:59], v54 offset:1584
	s_waitcnt lgkmcnt(2)
	v_fma_f64 v[30:31], -v[38:39], v[60:61], v[30:31]
	v_fma_f64 v[30:31], -v[40:41], v[62:63], v[30:31]
	ds_write2_b64 v51, v[42:43], v[44:45] offset0:160 offset1:184
	ds_write2_b64 v51, v[46:47], v[48:49] offset0:208 offset1:232
	s_waitcnt lgkmcnt(3)
	v_fma_f64 v[30:31], -v[42:43], v[64:65], v[30:31]
	v_fma_f64 v[30:31], -v[44:45], v[66:67], v[30:31]
	ds_read2_b64 v[60:63], v54 offset0:200 offset1:250
	ds_read_b128 v[64:67], v54 offset:1728
	s_waitcnt lgkmcnt(4)
	v_fma_f64 v[30:31], -v[46:47], v[56:57], v[30:31]
	v_fma_f64 v[30:31], -v[48:49], v[58:59], v[30:31]
	ds_read_b128 v[56:59], v54 offset:1744
	ds_read_b128 v[68:71], v54 offset:1760
	s_waitcnt lgkmcnt(2)
	v_fma_f64 v[32:33], -v[34:35], v[64:65], v[32:33]
	v_fma_f64 v[32:33], -v[36:37], v[66:67], v[32:33]
	ds_read_b128 v[64:67], v54 offset:1776
	s_waitcnt lgkmcnt(2)
	v_fma_f64 v[32:33], -v[38:39], v[56:57], v[32:33]
	v_fma_f64 v[32:33], -v[40:41], v[58:59], v[32:33]
	;; [unrolled: 4-line block ×3, first 2 shown]
	s_waitcnt lgkmcnt(1)
	v_fma_f64 v[32:33], -v[46:47], v[64:65], v[32:33]
	v_mul_f64 v[30:31], v[60:61], v[30:31]
	v_fma_f64 v[32:33], -v[48:49], v[66:67], v[32:33]
	ds_read_b128 v[64:67], v54 offset:1920
	s_waitcnt lgkmcnt(1)
	v_fma_f64 v[32:33], -v[30:31], v[56:57], v[32:33]
	v_mul_f64 v[32:33], v[58:59], v[32:33]
	ds_read_b128 v[56:59], v54 offset:1936
	ds_read_b128 v[68:71], v54 offset:1952
	s_waitcnt lgkmcnt(2)
	v_fma_f64 v[26:27], -v[34:35], v[64:65], v[26:27]
	v_fma_f64 v[26:27], -v[36:37], v[66:67], v[26:27]
	ds_read_b128 v[64:67], v54 offset:1968
	s_waitcnt lgkmcnt(2)
	v_fma_f64 v[26:27], -v[38:39], v[56:57], v[26:27]
	v_fma_f64 v[26:27], -v[40:41], v[58:59], v[26:27]
	;; [unrolled: 4-line block ×3, first 2 shown]
	s_waitcnt lgkmcnt(1)
	v_fma_f64 v[26:27], -v[46:47], v[64:65], v[26:27]
	v_fma_f64 v[26:27], -v[48:49], v[66:67], v[26:27]
	ds_read_b128 v[64:67], v54 offset:2112
	s_waitcnt lgkmcnt(1)
	v_fma_f64 v[26:27], -v[30:31], v[56:57], v[26:27]
	v_fma_f64 v[26:27], -v[32:33], v[58:59], v[26:27]
	ds_read_b128 v[56:59], v54 offset:2128
	v_mul_f64 v[26:27], v[62:63], v[26:27]
	ds_read_b128 v[60:63], v54 offset:2144
	s_waitcnt lgkmcnt(2)
	v_fma_f64 v[28:29], -v[34:35], v[64:65], v[28:29]
	v_fma_f64 v[28:29], -v[36:37], v[66:67], v[28:29]
	ds_read_b128 v[64:67], v54 offset:2160
	s_waitcnt lgkmcnt(2)
	v_fma_f64 v[28:29], -v[38:39], v[56:57], v[28:29]
	v_fma_f64 v[28:29], -v[40:41], v[58:59], v[28:29]
	;; [unrolled: 4-line block ×4, first 2 shown]
	s_waitcnt lgkmcnt(1)
	v_fma_f64 v[28:29], -v[30:31], v[56:57], v[28:29]
	v_fma_f64 v[28:29], -v[32:33], v[58:59], v[28:29]
	ds_read_b128 v[56:59], v54 offset:2304
	s_waitcnt lgkmcnt(1)
	v_fma_f64 v[28:29], -v[26:27], v[60:61], v[28:29]
	v_mul_f64 v[28:29], v[62:63], v[28:29]
	ds_read_b128 v[60:63], v54 offset:2320
	ds_read_b128 v[64:67], v54 offset:2336
	s_waitcnt lgkmcnt(2)
	v_fma_f64 v[22:23], -v[34:35], v[56:57], v[22:23]
	v_fma_f64 v[22:23], -v[36:37], v[58:59], v[22:23]
	ds_read_b128 v[56:59], v54 offset:2352
	s_waitcnt lgkmcnt(2)
	v_fma_f64 v[22:23], -v[38:39], v[60:61], v[22:23]
	v_fma_f64 v[22:23], -v[40:41], v[62:63], v[22:23]
	;; [unrolled: 4-line block ×3, first 2 shown]
	s_waitcnt lgkmcnt(1)
	v_fma_f64 v[22:23], -v[46:47], v[56:57], v[22:23]
	v_fma_f64 v[22:23], -v[48:49], v[58:59], v[22:23]
	ds_read_b128 v[56:59], v54 offset:2384
	s_waitcnt lgkmcnt(1)
	v_fma_f64 v[22:23], -v[30:31], v[60:61], v[22:23]
	v_fma_f64 v[22:23], -v[32:33], v[62:63], v[22:23]
	s_movk_i32 s12, 0x800
	ds_write2_b64 v50, v[30:31], v[32:33] offset1:24
	s_waitcnt lgkmcnt(1)
	v_fma_f64 v[22:23], -v[26:27], v[56:57], v[22:23]
	v_fma_f64 v[22:23], -v[28:29], v[58:59], v[22:23]
	ds_read_b128 v[56:59], v54 offset:2496
	ds_write2_b64 v50, v[26:27], v[28:29] offset0:48 offset1:72
	v_add_u32_e64 v51, s12, 0
	ds_read2_b64 v[64:67], v51 offset0:44 offset1:94
	ds_read_b128 v[60:63], v54 offset:2512
	ds_read_b128 v[68:71], v54 offset:2528
	;; [unrolled: 1-line block ×3, first 2 shown]
	s_waitcnt lgkmcnt(5)
	v_fma_f64 v[24:25], -v[34:35], v[56:57], v[24:25]
	v_fma_f64 v[24:25], -v[36:37], v[58:59], v[24:25]
	s_waitcnt lgkmcnt(2)
	v_fma_f64 v[24:25], -v[38:39], v[60:61], v[24:25]
	v_fma_f64 v[24:25], -v[40:41], v[62:63], v[24:25]
	ds_read_b128 v[56:59], v54 offset:2560
	ds_read_b128 v[60:63], v54 offset:2576
	s_waitcnt lgkmcnt(3)
	v_fma_f64 v[24:25], -v[42:43], v[68:69], v[24:25]
	v_fma_f64 v[24:25], -v[44:45], v[70:71], v[24:25]
	s_waitcnt lgkmcnt(2)
	v_fma_f64 v[24:25], -v[46:47], v[72:73], v[24:25]
	v_fma_f64 v[24:25], -v[48:49], v[74:75], v[24:25]
	ds_read_b128 v[68:71], v54 offset:2592
	s_waitcnt lgkmcnt(2)
	v_fma_f64 v[24:25], -v[30:31], v[56:57], v[24:25]
	v_fma_f64 v[24:25], -v[32:33], v[58:59], v[24:25]
	ds_read_b128 v[56:59], v54 offset:2688
	s_waitcnt lgkmcnt(2)
	v_fma_f64 v[24:25], -v[26:27], v[60:61], v[24:25]
	v_mul_f64 v[22:23], v[64:65], v[22:23]
	v_fma_f64 v[24:25], -v[28:29], v[62:63], v[24:25]
	ds_read_b128 v[60:63], v54 offset:2704
	s_waitcnt lgkmcnt(2)
	v_fma_f64 v[24:25], -v[22:23], v[68:69], v[24:25]
	v_mul_f64 v[24:25], v[70:71], v[24:25]
	ds_read_b128 v[68:71], v54 offset:2720
	s_waitcnt lgkmcnt(2)
	v_fma_f64 v[18:19], -v[34:35], v[56:57], v[18:19]
	v_fma_f64 v[18:19], -v[36:37], v[58:59], v[18:19]
	ds_read_b128 v[56:59], v54 offset:2736
	s_waitcnt lgkmcnt(2)
	v_fma_f64 v[18:19], -v[38:39], v[60:61], v[18:19]
	v_fma_f64 v[18:19], -v[40:41], v[62:63], v[18:19]
	;; [unrolled: 4-line block ×5, first 2 shown]
	s_waitcnt lgkmcnt(1)
	v_fma_f64 v[18:19], -v[26:27], v[68:69], v[18:19]
	v_fma_f64 v[18:19], -v[28:29], v[70:71], v[18:19]
	s_waitcnt lgkmcnt(0)
	v_fma_f64 v[18:19], -v[22:23], v[56:57], v[18:19]
	v_fma_f64 v[18:19], -v[24:25], v[58:59], v[18:19]
	ds_read_b128 v[56:59], v54 offset:2880
	ds_write2_b64 v50, v[22:23], v[24:25] offset0:96 offset1:120
	v_mul_f64 v[18:19], v[66:67], v[18:19]
	ds_read_b128 v[60:63], v54 offset:2896
	ds_read_b128 v[64:67], v54 offset:2912
	;; [unrolled: 1-line block ×3, first 2 shown]
	s_movk_i32 s12, 0xc00
	s_waitcnt lgkmcnt(4)
	v_fma_f64 v[20:21], -v[34:35], v[56:57], v[20:21]
	v_fma_f64 v[20:21], -v[36:37], v[58:59], v[20:21]
	s_waitcnt lgkmcnt(2)
	v_fma_f64 v[20:21], -v[38:39], v[60:61], v[20:21]
	v_fma_f64 v[20:21], -v[40:41], v[62:63], v[20:21]
	ds_read_b128 v[56:59], v54 offset:2944
	ds_read_b128 v[60:63], v54 offset:2960
	s_waitcnt lgkmcnt(3)
	v_fma_f64 v[20:21], -v[42:43], v[64:65], v[20:21]
	v_fma_f64 v[20:21], -v[44:45], v[66:67], v[20:21]
	s_waitcnt lgkmcnt(2)
	v_fma_f64 v[20:21], -v[46:47], v[68:69], v[20:21]
	v_fma_f64 v[20:21], -v[48:49], v[70:71], v[20:21]
	ds_read_b128 v[64:67], v54 offset:2976
	s_waitcnt lgkmcnt(2)
	v_fma_f64 v[20:21], -v[30:31], v[56:57], v[20:21]
	v_fma_f64 v[20:21], -v[32:33], v[58:59], v[20:21]
	ds_read_b128 v[56:59], v54 offset:2992
	s_waitcnt lgkmcnt(2)
	v_fma_f64 v[20:21], -v[26:27], v[60:61], v[20:21]
	v_fma_f64 v[20:21], -v[28:29], v[62:63], v[20:21]
	s_waitcnt lgkmcnt(1)
	v_fma_f64 v[20:21], -v[22:23], v[64:65], v[20:21]
	v_fma_f64 v[20:21], -v[24:25], v[66:67], v[20:21]
	ds_read_b128 v[60:63], v54 offset:3072
	s_waitcnt lgkmcnt(1)
	v_fma_f64 v[20:21], -v[18:19], v[56:57], v[20:21]
	v_mul_f64 v[20:21], v[58:59], v[20:21]
	ds_read_b128 v[56:59], v54 offset:3088
	ds_read_b128 v[64:67], v54 offset:3104
	s_waitcnt lgkmcnt(2)
	v_fma_f64 v[14:15], -v[34:35], v[60:61], v[14:15]
	v_fma_f64 v[14:15], -v[36:37], v[62:63], v[14:15]
	ds_read_b128 v[60:63], v54 offset:3120
	s_waitcnt lgkmcnt(2)
	v_fma_f64 v[14:15], -v[38:39], v[56:57], v[14:15]
	v_fma_f64 v[14:15], -v[40:41], v[58:59], v[14:15]
	;; [unrolled: 4-line block ×6, first 2 shown]
	s_waitcnt lgkmcnt(1)
	v_fma_f64 v[14:15], -v[22:23], v[60:61], v[14:15]
	v_fma_f64 v[14:15], -v[24:25], v[62:63], v[14:15]
	s_waitcnt lgkmcnt(0)
	v_fma_f64 v[14:15], -v[18:19], v[56:57], v[14:15]
	v_fma_f64 v[14:15], -v[20:21], v[58:59], v[14:15]
	ds_read_b128 v[56:59], v54 offset:3264
	ds_write2_b64 v50, v[18:19], v[20:21] offset0:144 offset1:168
	ds_read2_b64 v[64:67], v51 offset0:144 offset1:194
	ds_read_b128 v[60:63], v54 offset:3280
	ds_read_b128 v[68:71], v54 offset:3296
	;; [unrolled: 1-line block ×3, first 2 shown]
	s_waitcnt lgkmcnt(5)
	v_fma_f64 v[16:17], -v[34:35], v[56:57], v[16:17]
	v_fma_f64 v[16:17], -v[36:37], v[58:59], v[16:17]
	s_waitcnt lgkmcnt(2)
	v_fma_f64 v[16:17], -v[38:39], v[60:61], v[16:17]
	v_fma_f64 v[16:17], -v[40:41], v[62:63], v[16:17]
	ds_read_b128 v[56:59], v54 offset:3328
	ds_read_b128 v[60:63], v54 offset:3344
	s_waitcnt lgkmcnt(3)
	v_fma_f64 v[16:17], -v[42:43], v[68:69], v[16:17]
	v_fma_f64 v[16:17], -v[44:45], v[70:71], v[16:17]
	s_waitcnt lgkmcnt(2)
	v_fma_f64 v[16:17], -v[46:47], v[72:73], v[16:17]
	v_fma_f64 v[16:17], -v[48:49], v[74:75], v[16:17]
	ds_read_b128 v[68:71], v54 offset:3360
	s_waitcnt lgkmcnt(2)
	v_fma_f64 v[16:17], -v[30:31], v[56:57], v[16:17]
	v_fma_f64 v[16:17], -v[32:33], v[58:59], v[16:17]
	ds_read_b128 v[56:59], v54 offset:3376
	;; [unrolled: 4-line block ×3, first 2 shown]
	s_waitcnt lgkmcnt(2)
	v_fma_f64 v[16:17], -v[22:23], v[68:69], v[16:17]
	v_fma_f64 v[16:17], -v[24:25], v[70:71], v[16:17]
	s_waitcnt lgkmcnt(1)
	v_fma_f64 v[16:17], -v[18:19], v[56:57], v[16:17]
	v_mul_f64 v[14:15], v[64:65], v[14:15]
	v_fma_f64 v[16:17], -v[20:21], v[58:59], v[16:17]
	ds_read_b128 v[56:59], v54 offset:3456
	s_waitcnt lgkmcnt(1)
	v_fma_f64 v[16:17], -v[14:15], v[60:61], v[16:17]
	v_mul_f64 v[16:17], v[62:63], v[16:17]
	ds_read_b128 v[60:63], v54 offset:3472
	ds_write2_b64 v50, v[14:15], v[16:17] offset0:192 offset1:216
	ds_read_b128 v[50:53], v54 offset:3488
	s_waitcnt lgkmcnt(3)
	v_fma_f64 v[10:11], -v[34:35], v[56:57], v[10:11]
	v_fma_f64 v[10:11], -v[36:37], v[58:59], v[10:11]
	ds_read_b128 v[56:59], v54 offset:3504
	s_waitcnt lgkmcnt(3)
	v_fma_f64 v[10:11], -v[38:39], v[60:61], v[10:11]
	v_fma_f64 v[10:11], -v[40:41], v[62:63], v[10:11]
	;; [unrolled: 4-line block ×7, first 2 shown]
	s_waitcnt lgkmcnt(1)
	v_fma_f64 v[10:11], -v[18:19], v[60:61], v[10:11]
	ds_read_b128 v[56:59], v54 offset:3648
	v_fma_f64 v[10:11], -v[20:21], v[62:63], v[10:11]
	s_waitcnt lgkmcnt(1)
	v_fma_f64 v[10:11], -v[14:15], v[50:51], v[10:11]
	v_fma_f64 v[10:11], -v[16:17], v[52:53], v[10:11]
	v_mul_f64 v[50:51], v[66:67], v[10:11]
	ds_read_b128 v[60:63], v54 offset:3664
	ds_read_b128 v[64:67], v54 offset:3680
	;; [unrolled: 1-line block ×3, first 2 shown]
	s_waitcnt lgkmcnt(3)
	v_fma_f64 v[10:11], -v[34:35], v[56:57], v[12:13]
	v_fma_f64 v[10:11], -v[36:37], v[58:59], v[10:11]
	s_waitcnt lgkmcnt(2)
	v_fma_f64 v[10:11], -v[38:39], v[60:61], v[10:11]
	v_fma_f64 v[10:11], -v[40:41], v[62:63], v[10:11]
	s_waitcnt lgkmcnt(1)
	v_fma_f64 v[52:53], -v[42:43], v[64:65], v[10:11]
	ds_read_b128 v[10:13], v54 offset:3712
	ds_read_b128 v[56:59], v54 offset:3728
	v_fma_f64 v[52:53], -v[44:45], v[66:67], v[52:53]
	s_waitcnt lgkmcnt(2)
	v_fma_f64 v[52:53], -v[46:47], v[68:69], v[52:53]
	v_fma_f64 v[52:53], -v[48:49], v[70:71], v[52:53]
	s_waitcnt lgkmcnt(1)
	v_fma_f64 v[10:11], -v[30:31], v[10:11], v[52:53]
	ds_read_b128 v[60:63], v54 offset:3744
	v_fma_f64 v[10:11], -v[32:33], v[12:13], v[10:11]
	s_waitcnt lgkmcnt(1)
	v_fma_f64 v[10:11], -v[26:27], v[56:57], v[10:11]
	v_fma_f64 v[52:53], -v[28:29], v[58:59], v[10:11]
	ds_read_b128 v[10:13], v54 offset:3760
	ds_read_b128 v[56:59], v54 offset:3776
	s_waitcnt lgkmcnt(2)
	v_fma_f64 v[52:53], -v[22:23], v[60:61], v[52:53]
	v_fma_f64 v[52:53], -v[24:25], v[62:63], v[52:53]
	ds_read_b128 v[60:63], v54 offset:3792
	s_waitcnt lgkmcnt(2)
	v_fma_f64 v[10:11], -v[18:19], v[10:11], v[52:53]
	v_fma_f64 v[10:11], -v[20:21], v[12:13], v[10:11]
	s_waitcnt lgkmcnt(1)
	v_fma_f64 v[10:11], -v[14:15], v[56:57], v[10:11]
	v_fma_f64 v[10:11], -v[16:17], v[58:59], v[10:11]
	s_waitcnt lgkmcnt(0)
	v_fma_f64 v[10:11], -v[50:51], v[60:61], v[10:11]
	v_mul_f64 v[52:53], v[62:63], v[10:11]
	ds_read_b128 v[10:13], v54 offset:3840
	ds_write2_b64 v55, v[50:51], v[52:53] offset0:112 offset1:136
	ds_read_b128 v[56:59], v54 offset:3856
	ds_read_b128 v[60:63], v54 offset:3872
	;; [unrolled: 1-line block ×3, first 2 shown]
	s_waitcnt lgkmcnt(4)
	v_fma_f64 v[6:7], -v[34:35], v[10:11], v[6:7]
	v_fma_f64 v[6:7], -v[36:37], v[12:13], v[6:7]
	s_waitcnt lgkmcnt(2)
	v_fma_f64 v[6:7], -v[38:39], v[56:57], v[6:7]
	v_fma_f64 v[6:7], -v[40:41], v[58:59], v[6:7]
	ds_read_b128 v[10:13], v54 offset:3904
	ds_read_b128 v[56:59], v54 offset:3920
	s_waitcnt lgkmcnt(3)
	v_fma_f64 v[6:7], -v[42:43], v[60:61], v[6:7]
	v_fma_f64 v[6:7], -v[44:45], v[62:63], v[6:7]
	s_waitcnt lgkmcnt(2)
	v_fma_f64 v[6:7], -v[46:47], v[64:65], v[6:7]
	v_fma_f64 v[6:7], -v[48:49], v[66:67], v[6:7]
	ds_read_b128 v[60:63], v54 offset:3936
	s_waitcnt lgkmcnt(2)
	v_fma_f64 v[6:7], -v[30:31], v[10:11], v[6:7]
	v_fma_f64 v[6:7], -v[32:33], v[12:13], v[6:7]
	ds_read_b128 v[10:13], v54 offset:3952
	s_waitcnt lgkmcnt(2)
	v_fma_f64 v[6:7], -v[26:27], v[56:57], v[6:7]
	v_fma_f64 v[6:7], -v[28:29], v[58:59], v[6:7]
	ds_read_b128 v[56:59], v54 offset:3968
	s_waitcnt lgkmcnt(2)
	v_fma_f64 v[6:7], -v[22:23], v[60:61], v[6:7]
	v_fma_f64 v[6:7], -v[24:25], v[62:63], v[6:7]
	ds_read_b128 v[60:63], v54 offset:3984
	s_waitcnt lgkmcnt(2)
	v_fma_f64 v[6:7], -v[18:19], v[10:11], v[6:7]
	v_fma_f64 v[6:7], -v[20:21], v[12:13], v[6:7]
	s_waitcnt lgkmcnt(1)
	v_fma_f64 v[6:7], -v[14:15], v[56:57], v[6:7]
	v_fma_f64 v[6:7], -v[16:17], v[58:59], v[6:7]
	ds_read_b128 v[56:59], v54 offset:4032
	v_add_u32_e64 v10, s12, 0
	s_waitcnt lgkmcnt(1)
	v_fma_f64 v[6:7], -v[50:51], v[60:61], v[6:7]
	ds_read2_b64 v[10:13], v10 offset0:116 offset1:166
	v_fma_f64 v[6:7], -v[52:53], v[62:63], v[6:7]
	ds_read_b128 v[60:63], v54 offset:4048
	ds_read_b128 v[64:67], v54 offset:4064
	ds_read_b128 v[68:71], v54 offset:4080
	s_waitcnt lgkmcnt(4)
	v_fma_f64 v[8:9], -v[34:35], v[56:57], v[8:9]
	v_fma_f64 v[8:9], -v[36:37], v[58:59], v[8:9]
	s_waitcnt lgkmcnt(2)
	v_fma_f64 v[8:9], -v[38:39], v[60:61], v[8:9]
	v_fma_f64 v[8:9], -v[40:41], v[62:63], v[8:9]
	v_mul_f64 v[6:7], v[10:11], v[6:7]
	s_waitcnt lgkmcnt(1)
	v_fma_f64 v[56:57], -v[42:43], v[64:65], v[8:9]
	ds_read_b128 v[8:11], v54 offset:4096
	v_fma_f64 v[56:57], -v[44:45], v[66:67], v[56:57]
	s_waitcnt lgkmcnt(1)
	v_fma_f64 v[60:61], -v[46:47], v[68:69], v[56:57]
	ds_read_b128 v[56:59], v54 offset:4112
	v_fma_f64 v[60:61], -v[48:49], v[70:71], v[60:61]
	;; [unrolled: 4-line block ×7, first 2 shown]
	s_waitcnt lgkmcnt(1)
	v_fma_f64 v[56:57], -v[50:51], v[60:61], v[56:57]
	v_fma_f64 v[60:61], -v[52:53], v[62:63], v[56:57]
	ds_read_b128 v[56:59], v54 offset:4224
	s_waitcnt lgkmcnt(1)
	v_fma_f64 v[8:9], -v[6:7], v[8:9], v[60:61]
	ds_read_b128 v[60:63], v54 offset:4240
	ds_read_b128 v[64:67], v54 offset:4256
	v_mul_f64 v[8:9], v[10:11], v[8:9]
	s_waitcnt lgkmcnt(2)
	v_fma_f64 v[2:3], -v[34:35], v[56:57], v[2:3]
	v_fma_f64 v[2:3], -v[36:37], v[58:59], v[2:3]
	ds_read_b128 v[56:59], v54 offset:4272
	s_waitcnt lgkmcnt(2)
	v_fma_f64 v[2:3], -v[38:39], v[60:61], v[2:3]
	v_fma_f64 v[2:3], -v[40:41], v[62:63], v[2:3]
	ds_read_b128 v[60:63], v54 offset:4288
	;; [unrolled: 4-line block ×4, first 2 shown]
	s_waitcnt lgkmcnt(2)
	v_fma_f64 v[2:3], -v[30:31], v[60:61], v[2:3]
	v_fma_f64 v[2:3], -v[32:33], v[62:63], v[2:3]
	s_waitcnt lgkmcnt(1)
	v_fma_f64 v[2:3], -v[26:27], v[64:65], v[2:3]
	ds_read_b128 v[60:63], v54 offset:4336
	v_fma_f64 v[2:3], -v[28:29], v[66:67], v[2:3]
	s_waitcnt lgkmcnt(1)
	v_fma_f64 v[2:3], -v[22:23], v[56:57], v[2:3]
	v_fma_f64 v[2:3], -v[24:25], v[58:59], v[2:3]
	ds_read_b128 v[56:59], v54 offset:4352
	ds_read_b128 v[64:67], v54 offset:4368
	s_waitcnt lgkmcnt(2)
	v_fma_f64 v[2:3], -v[18:19], v[60:61], v[2:3]
	v_fma_f64 v[2:3], -v[20:21], v[62:63], v[2:3]
	ds_read_b128 v[60:63], v54 offset:4384
	s_waitcnt lgkmcnt(2)
	v_fma_f64 v[2:3], -v[14:15], v[56:57], v[2:3]
	v_fma_f64 v[2:3], -v[16:17], v[58:59], v[2:3]
	s_waitcnt lgkmcnt(1)
	v_fma_f64 v[2:3], -v[50:51], v[64:65], v[2:3]
	ds_read_b128 v[56:59], v54 offset:4416
	v_fma_f64 v[2:3], -v[52:53], v[66:67], v[2:3]
	s_waitcnt lgkmcnt(1)
	v_fma_f64 v[2:3], -v[6:7], v[60:61], v[2:3]
	ds_write2_b64 v1, v[6:7], v[8:9] offset0:32 offset1:56
	v_fma_f64 v[2:3], -v[8:9], v[62:63], v[2:3]
	v_mul_f64 v[68:69], v[12:13], v[2:3]
	ds_read_b128 v[10:13], v54 offset:4432
	ds_read_b128 v[60:63], v54 offset:4448
	;; [unrolled: 1-line block ×3, first 2 shown]
	s_waitcnt lgkmcnt(4)
	v_fma_f64 v[2:3], -v[34:35], v[56:57], v[4:5]
	v_fma_f64 v[2:3], -v[36:37], v[58:59], v[2:3]
	s_waitcnt lgkmcnt(2)
	v_fma_f64 v[2:3], -v[38:39], v[10:11], v[2:3]
	v_fma_f64 v[2:3], -v[40:41], v[12:13], v[2:3]
	s_waitcnt lgkmcnt(1)
	v_fma_f64 v[10:11], -v[42:43], v[60:61], v[2:3]
	ds_read_b128 v[2:5], v54 offset:4480
	v_fma_f64 v[10:11], -v[44:45], v[62:63], v[10:11]
	s_waitcnt lgkmcnt(1)
	v_fma_f64 v[34:35], -v[46:47], v[64:65], v[10:11]
	ds_read_b128 v[10:13], v54 offset:4496
	;; [unrolled: 4-line block ×5, first 2 shown]
	v_fma_f64 v[22:23], -v[24:25], v[36:37], v[22:23]
	s_waitcnt lgkmcnt(1)
	v_fma_f64 v[2:3], -v[18:19], v[2:3], v[22:23]
	v_fma_f64 v[18:19], -v[20:21], v[4:5], v[2:3]
	ds_read_b128 v[2:5], v54 offset:4560
	s_waitcnt lgkmcnt(1)
	v_fma_f64 v[10:11], -v[14:15], v[10:11], v[18:19]
	ds_read_b128 v[18:21], v54 offset:4576
	v_fma_f64 v[14:15], -v[16:17], v[12:13], v[10:11]
	ds_read_b128 v[10:13], v54 offset:4592
	s_waitcnt lgkmcnt(2)
	v_fma_f64 v[2:3], -v[50:51], v[2:3], v[14:15]
	v_fma_f64 v[2:3], -v[52:53], v[4:5], v[2:3]
	s_waitcnt lgkmcnt(1)
	v_fma_f64 v[2:3], -v[6:7], v[18:19], v[2:3]
	v_fma_f64 v[2:3], -v[8:9], v[20:21], v[2:3]
	s_waitcnt lgkmcnt(0)
	v_fma_f64 v[2:3], -v[68:69], v[10:11], v[2:3]
	v_mul_f64 v[2:3], v[12:13], v[2:3]
	s_mov_b32 s12, 24
	ds_write2_b64 v1, v[68:69], v[2:3] offset0:80 offset1:104
.LBB92_20:
	s_cmp_lt_i32 s12, s30
	s_cbranch_scc0 .LBB92_37
; %bb.21:
	s_add_i32 s13, s12, 19
	s_cmp_ge_u32 s13, s30
	s_cbranch_scc1 .LBB92_26
; %bb.22:
	s_mul_i32 s16, s12, 24
	v_add_lshl_u32 v1, s16, v0, 3
	v_add_u32_e32 v2, 0x1000, v1
	ds_read2_b64 v[34:37], v2 offset0:64 offset1:88
	ds_read2_b64 v[30:33], v2 offset0:112 offset1:136
	;; [unrolled: 1-line block ×4, first 2 shown]
	v_add_u32_e32 v2, 0x1800, v1
	ds_read2_b64 v[18:21], v2 offset1:24
	ds_read2_b64 v[14:17], v2 offset0:48 offset1:72
	ds_read2_b64 v[10:13], v2 offset0:96 offset1:120
	;; [unrolled: 1-line block ×4, first 2 shown]
	s_add_i32 s17, s16, 0x1c8
	v_add_lshl_u32 v38, s17, v0, 3
	ds_read_b64 v[48:49], v1 offset:8064
	ds_read_b64 v[46:47], v38 offset:4608
	s_andn2_b64 vcc, exec, s[8:9]
	s_cbranch_vccnz .LBB92_25
; %bb.23:
	v_mov_b32_e32 v38, 0x1200
	s_mul_i32 s8, s12, 0xc0
	v_lshl_or_b32 v38, v0, 3, v38
	s_mov_b32 s9, 0
.LBB92_24:                              ; =>This Inner Loop Header: Depth=1
	v_mov_b32_e32 v39, s8
	v_add_u32_e32 v66, 0x400, v39
	ds_read_b64 v[44:45], v38
	ds_read2_b64 v[40:43], v39 offset1:24
	ds_read2_b64 v[50:53], v39 offset0:48 offset1:72
	ds_read2_b64 v[54:57], v39 offset0:96 offset1:120
	;; [unrolled: 1-line block ×4, first 2 shown]
	v_add_u32_e32 v39, 0x800, v39
	ds_read2_b64 v[66:69], v66 offset0:112 offset1:136
	ds_read2_b64 v[70:73], v39 offset0:32 offset1:56
	;; [unrolled: 1-line block ×5, first 2 shown]
	s_add_i32 s9, s9, 1
	s_add_i32 s8, s8, 8
	v_add_u32_e32 v38, 0xc0, v38
	s_cmp_lt_u32 s9, s12
	s_waitcnt lgkmcnt(9)
	v_fma_f64 v[34:35], -v[44:45], v[40:41], v[34:35]
	v_fma_f64 v[36:37], -v[44:45], v[42:43], v[36:37]
	s_waitcnt lgkmcnt(8)
	v_fma_f64 v[30:31], -v[44:45], v[50:51], v[30:31]
	v_fma_f64 v[32:33], -v[44:45], v[52:53], v[32:33]
	;; [unrolled: 3-line block ×10, first 2 shown]
	s_cbranch_scc1 .LBB92_24
.LBB92_25:
	s_mul_i32 s8, s12, 0xc8
	s_add_i32 s9, s16, 24
	v_add_u32_e32 v50, 0x1200, v1
	v_mov_b32_e32 v1, s8
	s_add_i32 s8, s9, s12
	s_lshl_b32 s8, s8, 3
	ds_read2_b64 v[38:41], v1 offset1:50
	v_mov_b32_e32 v42, s8
	ds_read_b128 v[42:45], v42
	s_mul_i32 s13, s13, 24
	s_add_i32 s8, s12, 20
	s_waitcnt lgkmcnt(1)
	v_mul_f64 v[34:35], v[38:39], v[34:35]
	ds_write_b64 v50, v[34:35]
	s_waitcnt lgkmcnt(1)
	v_fma_f64 v[36:37], -v[34:35], v[42:43], v[36:37]
	v_add_lshl_u32 v42, s9, v0, 3
	s_add_i32 s9, s16, 48
	s_add_i32 s17, s9, s12
	v_mul_f64 v[36:37], v[44:45], v[36:37]
	s_lshl_b32 s17, s17, 3
	ds_write_b64 v42, v[36:37] offset:4608
	v_mov_b32_e32 v42, s17
	ds_read_b128 v[42:45], v42
	s_add_i32 s17, s16, 0x48
	s_add_i32 s18, s17, s12
	s_lshl_b32 s18, s18, 3
	v_mov_b32_e32 v54, s18
	ds_read_b128 v[50:53], v54
	s_waitcnt lgkmcnt(1)
	v_fma_f64 v[30:31], -v[34:35], v[42:43], v[30:31]
	v_fma_f64 v[30:31], -v[36:37], v[44:45], v[30:31]
	v_mul_f64 v[30:31], v[40:41], v[30:31]
	v_add_lshl_u32 v40, s9, v0, 3
	s_add_i32 s9, s16, 0x60
	s_or_b32 s18, s9, s12
	s_lshl_b32 s18, s18, 3
	s_waitcnt lgkmcnt(0)
	v_fma_f64 v[32:33], -v[34:35], v[50:51], v[32:33]
	v_mov_b32_e32 v44, s18
	ds_write_b64 v40, v[30:31] offset:4608
	v_fma_f64 v[32:33], -v[36:37], v[52:53], v[32:33]
	ds_read_b128 v[40:43], v54 offset:16
	ds_read_b128 v[50:53], v44
	ds_read_b64 v[38:39], v1 offset:3600
	s_waitcnt lgkmcnt(2)
	v_fma_f64 v[32:33], -v[30:31], v[40:41], v[32:33]
	s_waitcnt lgkmcnt(1)
	v_fma_f64 v[26:27], -v[34:35], v[50:51], v[26:27]
	v_add_lshl_u32 v40, s17, v0, 3
	v_fma_f64 v[26:27], -v[36:37], v[52:53], v[26:27]
	s_add_i32 s17, s16, 0x78
	ds_read_b128 v[50:53], v44 offset:16
	s_add_i32 s18, s17, s12
	v_mul_f64 v[32:33], v[42:43], v[32:33]
	s_lshl_b32 s18, s18, 3
	ds_write_b64 v40, v[32:33] offset:4608
	ds_read2_b64 v[40:43], v1 offset0:100 offset1:150
	v_mov_b32_e32 v44, s18
	ds_read_b128 v[54:57], v44
	s_waitcnt lgkmcnt(3)
	v_fma_f64 v[26:27], -v[30:31], v[50:51], v[26:27]
	v_fma_f64 v[26:27], -v[32:33], v[52:53], v[26:27]
	ds_read_b128 v[50:53], v44 offset:16
	s_waitcnt lgkmcnt(2)
	v_mul_f64 v[26:27], v[40:41], v[26:27]
	v_add_lshl_u32 v40, s9, v0, 3
	s_add_i32 s9, s16, 0x90
	s_waitcnt lgkmcnt(1)
	v_fma_f64 v[28:29], -v[34:35], v[54:55], v[28:29]
	s_add_i32 s18, s9, s12
	v_fma_f64 v[28:29], -v[36:37], v[56:57], v[28:29]
	s_lshl_b32 s18, s18, 3
	ds_write_b64 v40, v[26:27] offset:4608
	s_waitcnt lgkmcnt(1)
	v_fma_f64 v[28:29], -v[30:31], v[50:51], v[28:29]
	v_mov_b32_e32 v40, s18
	v_fma_f64 v[28:29], -v[32:33], v[52:53], v[28:29]
	ds_read_b128 v[50:53], v40
	ds_read_b128 v[54:57], v40 offset:16
	ds_read_b128 v[58:61], v44 offset:32
	v_add_lshl_u32 v41, s17, v0, 3
	s_add_i32 s17, s16, 0xa8
	s_waitcnt lgkmcnt(2)
	v_fma_f64 v[22:23], -v[34:35], v[50:51], v[22:23]
	v_fma_f64 v[22:23], -v[36:37], v[52:53], v[22:23]
	ds_read_b128 v[50:53], v40 offset:32
	s_add_i32 s18, s17, s12
	s_waitcnt lgkmcnt(2)
	v_fma_f64 v[22:23], -v[30:31], v[54:55], v[22:23]
	s_lshl_b32 s18, s18, 3
	s_waitcnt lgkmcnt(1)
	v_fma_f64 v[28:29], -v[26:27], v[58:59], v[28:29]
	v_fma_f64 v[22:23], -v[32:33], v[56:57], v[22:23]
	v_mov_b32_e32 v44, s18
	v_mul_f64 v[28:29], v[60:61], v[28:29]
	ds_read_b128 v[54:57], v44
	s_waitcnt lgkmcnt(1)
	v_fma_f64 v[22:23], -v[26:27], v[50:51], v[22:23]
	v_fma_f64 v[22:23], -v[28:29], v[52:53], v[22:23]
	ds_write_b64 v41, v[28:29] offset:4608
	v_mul_f64 v[22:23], v[42:43], v[22:23]
	ds_read_b128 v[40:43], v44 offset:16
	ds_read_b128 v[50:53], v44 offset:32
	v_add_lshl_u32 v45, s9, v0, 3
	s_waitcnt lgkmcnt(3)
	v_fma_f64 v[24:25], -v[34:35], v[54:55], v[24:25]
	s_add_i32 s9, s16, 0xc0
	v_fma_f64 v[24:25], -v[36:37], v[56:57], v[24:25]
	s_or_b32 s18, s9, s12
	s_waitcnt lgkmcnt(1)
	v_fma_f64 v[24:25], -v[30:31], v[40:41], v[24:25]
	s_lshl_b32 s18, s18, 3
	v_fma_f64 v[24:25], -v[32:33], v[42:43], v[24:25]
	v_mov_b32_e32 v62, s18
	ds_read_b128 v[54:57], v62 offset:16
	s_waitcnt lgkmcnt(1)
	v_fma_f64 v[24:25], -v[26:27], v[50:51], v[24:25]
	ds_write_b64 v45, v[22:23] offset:4608
	v_fma_f64 v[24:25], -v[28:29], v[52:53], v[24:25]
	ds_read_b64 v[44:45], v44 offset:48
	ds_read_b128 v[50:53], v62
	ds_read2_b64 v[40:43], v1 offset0:175 offset1:200
	ds_read_b128 v[58:61], v62 offset:32
	s_waitcnt lgkmcnt(3)
	v_fma_f64 v[24:25], -v[22:23], v[44:45], v[24:25]
	s_waitcnt lgkmcnt(2)
	v_fma_f64 v[18:19], -v[34:35], v[50:51], v[18:19]
	v_fma_f64 v[18:19], -v[36:37], v[52:53], v[18:19]
	ds_read_b128 v[50:53], v62 offset:48
	s_waitcnt lgkmcnt(2)
	v_mul_f64 v[24:25], v[40:41], v[24:25]
	v_add_lshl_u32 v40, s17, v0, 3
	v_fma_f64 v[18:19], -v[30:31], v[54:55], v[18:19]
	s_add_i32 s17, s16, 0xd8
	v_fma_f64 v[18:19], -v[32:33], v[56:57], v[18:19]
	s_add_i32 s18, s17, s12
	s_waitcnt lgkmcnt(1)
	v_fma_f64 v[18:19], -v[26:27], v[58:59], v[18:19]
	s_lshl_b32 s18, s18, 3
	v_fma_f64 v[18:19], -v[28:29], v[60:61], v[18:19]
	v_mov_b32_e32 v44, s18
	ds_read_b128 v[54:57], v44
	s_waitcnt lgkmcnt(1)
	v_fma_f64 v[18:19], -v[22:23], v[50:51], v[18:19]
	v_fma_f64 v[18:19], -v[24:25], v[52:53], v[18:19]
	ds_write_b64 v40, v[24:25] offset:4608
	v_mul_f64 v[18:19], v[42:43], v[18:19]
	ds_read_b128 v[40:43], v44 offset:16
	s_waitcnt lgkmcnt(2)
	v_fma_f64 v[20:21], -v[34:35], v[54:55], v[20:21]
	ds_read_b128 v[50:53], v44 offset:32
	v_fma_f64 v[20:21], -v[36:37], v[56:57], v[20:21]
	v_add_lshl_u32 v45, s9, v0, 3
	s_waitcnt lgkmcnt(1)
	v_fma_f64 v[20:21], -v[30:31], v[40:41], v[20:21]
	v_fma_f64 v[20:21], -v[32:33], v[42:43], v[20:21]
	ds_read_b128 v[40:43], v44 offset:48
	ds_write_b64 v45, v[18:19] offset:4608
	s_waitcnt lgkmcnt(2)
	v_fma_f64 v[20:21], -v[26:27], v[50:51], v[20:21]
	ds_read_b64 v[44:45], v44 offset:64
	ds_read2_b64 v[54:57], v1 offset0:225 offset1:250
	v_fma_f64 v[20:21], -v[28:29], v[52:53], v[20:21]
	s_waitcnt lgkmcnt(3)
	v_fma_f64 v[20:21], -v[22:23], v[40:41], v[20:21]
	v_fma_f64 v[20:21], -v[24:25], v[42:43], v[20:21]
	s_add_i32 s9, s16, 0xf0
	s_waitcnt lgkmcnt(1)
	v_fma_f64 v[20:21], -v[18:19], v[44:45], v[20:21]
	v_add_lshl_u32 v44, s17, v0, 3
	s_add_i32 s17, s9, s12
	s_lshl_b32 s17, s17, 3
	v_mov_b32_e32 v45, s17
	ds_read_b128 v[40:43], v45
	s_waitcnt lgkmcnt(1)
	v_mul_f64 v[20:21], v[54:55], v[20:21]
	ds_write_b64 v44, v[20:21] offset:4608
	ds_read_b128 v[50:53], v45 offset:16
	ds_read_b128 v[58:61], v45 offset:32
	;; [unrolled: 1-line block ×3, first 2 shown]
	s_add_i32 s17, s16, 0x108
	s_waitcnt lgkmcnt(4)
	v_fma_f64 v[14:15], -v[34:35], v[40:41], v[14:15]
	v_fma_f64 v[14:15], -v[36:37], v[42:43], v[14:15]
	s_waitcnt lgkmcnt(2)
	v_fma_f64 v[14:15], -v[30:31], v[50:51], v[14:15]
	v_fma_f64 v[14:15], -v[32:33], v[52:53], v[14:15]
	ds_read_b128 v[40:43], v45 offset:64
	s_waitcnt lgkmcnt(2)
	v_fma_f64 v[14:15], -v[26:27], v[58:59], v[14:15]
	s_add_i32 s18, s17, s12
	v_fma_f64 v[14:15], -v[28:29], v[60:61], v[14:15]
	s_lshl_b32 s18, s18, 3
	s_waitcnt lgkmcnt(1)
	v_fma_f64 v[14:15], -v[22:23], v[62:63], v[14:15]
	v_mov_b32_e32 v44, s18
	v_fma_f64 v[14:15], -v[24:25], v[64:65], v[14:15]
	ds_read_b128 v[50:53], v44
	s_waitcnt lgkmcnt(1)
	v_fma_f64 v[14:15], -v[18:19], v[40:41], v[14:15]
	v_fma_f64 v[14:15], -v[20:21], v[42:43], v[14:15]
	ds_read_b128 v[40:43], v44 offset:16
	v_mul_f64 v[14:15], v[56:57], v[14:15]
	ds_read_b128 v[54:57], v44 offset:32
	s_waitcnt lgkmcnt(2)
	v_fma_f64 v[16:17], -v[34:35], v[50:51], v[16:17]
	v_fma_f64 v[16:17], -v[36:37], v[52:53], v[16:17]
	ds_read_b128 v[50:53], v44 offset:48
	s_waitcnt lgkmcnt(2)
	v_fma_f64 v[16:17], -v[30:31], v[40:41], v[16:17]
	v_add_lshl_u32 v45, s9, v0, 3
	v_fma_f64 v[16:17], -v[32:33], v[42:43], v[16:17]
	s_add_i32 s9, s16, 0x120
	s_waitcnt lgkmcnt(1)
	v_fma_f64 v[16:17], -v[26:27], v[54:55], v[16:17]
	s_or_b32 s18, s9, s12
	v_fma_f64 v[16:17], -v[28:29], v[56:57], v[16:17]
	s_lshl_b32 s18, s18, 3
	s_waitcnt lgkmcnt(0)
	v_fma_f64 v[16:17], -v[22:23], v[50:51], v[16:17]
	v_mov_b32_e32 v62, s18
	ds_read_b128 v[40:43], v44 offset:64
	v_fma_f64 v[16:17], -v[24:25], v[52:53], v[16:17]
	ds_read_b128 v[50:53], v62
	ds_write_b64 v45, v[14:15] offset:4608
	ds_read_b64 v[44:45], v44 offset:80
	ds_read_b128 v[54:57], v62 offset:16
	ds_read_b128 v[58:61], v62 offset:32
	s_waitcnt lgkmcnt(4)
	v_fma_f64 v[10:11], -v[34:35], v[50:51], v[10:11]
	v_fma_f64 v[10:11], -v[36:37], v[52:53], v[10:11]
	ds_read_b128 v[50:53], v62 offset:48
	v_fma_f64 v[16:17], -v[18:19], v[40:41], v[16:17]
	v_add_u32_e32 v1, 0x800, v1
	s_waitcnt lgkmcnt(2)
	v_fma_f64 v[10:11], -v[30:31], v[54:55], v[10:11]
	v_fma_f64 v[16:17], -v[20:21], v[42:43], v[16:17]
	ds_read2_b64 v[40:43], v1 offset0:19 offset1:44
	v_fma_f64 v[10:11], -v[32:33], v[56:57], v[10:11]
	s_waitcnt lgkmcnt(2)
	v_fma_f64 v[10:11], -v[26:27], v[58:59], v[10:11]
	ds_read_b128 v[54:57], v62 offset:64
	v_fma_f64 v[10:11], -v[28:29], v[60:61], v[10:11]
	s_waitcnt lgkmcnt(2)
	v_fma_f64 v[10:11], -v[22:23], v[50:51], v[10:11]
	v_fma_f64 v[16:17], -v[14:15], v[44:45], v[16:17]
	;; [unrolled: 1-line block ×3, first 2 shown]
	ds_read_b128 v[50:53], v62 offset:80
	s_waitcnt lgkmcnt(2)
	v_mul_f64 v[16:17], v[40:41], v[16:17]
	v_add_lshl_u32 v40, s17, v0, 3
	s_add_i32 s17, s16, 0x138
	s_add_i32 s18, s17, s12
	s_waitcnt lgkmcnt(1)
	v_fma_f64 v[10:11], -v[18:19], v[54:55], v[10:11]
	s_lshl_b32 s18, s18, 3
	v_fma_f64 v[10:11], -v[20:21], v[56:57], v[10:11]
	v_mov_b32_e32 v44, s18
	ds_read_b128 v[54:57], v44
	s_waitcnt lgkmcnt(1)
	v_fma_f64 v[10:11], -v[14:15], v[50:51], v[10:11]
	v_fma_f64 v[10:11], -v[16:17], v[52:53], v[10:11]
	ds_write_b64 v40, v[16:17] offset:4608
	v_mul_f64 v[10:11], v[42:43], v[10:11]
	ds_read_b128 v[40:43], v44 offset:16
	ds_read_b128 v[50:53], v44 offset:32
	s_waitcnt lgkmcnt(3)
	v_fma_f64 v[12:13], -v[34:35], v[54:55], v[12:13]
	v_fma_f64 v[12:13], -v[36:37], v[56:57], v[12:13]
	ds_read_b128 v[54:57], v44 offset:48
	s_waitcnt lgkmcnt(2)
	v_fma_f64 v[12:13], -v[30:31], v[40:41], v[12:13]
	v_fma_f64 v[12:13], -v[32:33], v[42:43], v[12:13]
	;; [unrolled: 4-line block ×3, first 2 shown]
	ds_read_b128 v[50:53], v44 offset:80
	s_waitcnt lgkmcnt(2)
	v_fma_f64 v[12:13], -v[22:23], v[54:55], v[12:13]
	v_add_lshl_u32 v45, s9, v0, 3
	v_fma_f64 v[12:13], -v[24:25], v[56:57], v[12:13]
	ds_read_b128 v[54:57], v44 offset:96
	s_add_i32 s9, s16, 0x150
	s_waitcnt lgkmcnt(2)
	v_fma_f64 v[12:13], -v[18:19], v[40:41], v[12:13]
	v_add_lshl_u32 v44, s17, v0, 3
	s_add_i32 s17, s9, s12
	v_fma_f64 v[12:13], -v[20:21], v[42:43], v[12:13]
	s_lshl_b32 s17, s17, 3
	ds_write_b64 v45, v[10:11] offset:4608
	s_waitcnt lgkmcnt(2)
	v_fma_f64 v[12:13], -v[14:15], v[50:51], v[12:13]
	v_mov_b32_e32 v45, s17
	v_fma_f64 v[12:13], -v[16:17], v[52:53], v[12:13]
	ds_read_b128 v[40:43], v45
	s_waitcnt lgkmcnt(2)
	v_fma_f64 v[12:13], -v[10:11], v[54:55], v[12:13]
	v_mul_f64 v[12:13], v[56:57], v[12:13]
	ds_write_b64 v44, v[12:13] offset:4608
	ds_read_b128 v[50:53], v45 offset:16
	ds_read_b128 v[54:57], v45 offset:32
	;; [unrolled: 1-line block ×3, first 2 shown]
	s_waitcnt lgkmcnt(4)
	v_fma_f64 v[6:7], -v[34:35], v[40:41], v[6:7]
	v_fma_f64 v[6:7], -v[36:37], v[42:43], v[6:7]
	s_waitcnt lgkmcnt(2)
	v_fma_f64 v[6:7], -v[30:31], v[50:51], v[6:7]
	v_fma_f64 v[6:7], -v[32:33], v[52:53], v[6:7]
	ds_read_b128 v[40:43], v45 offset:64
	ds_read_b128 v[50:53], v45 offset:80
	s_waitcnt lgkmcnt(3)
	v_fma_f64 v[6:7], -v[26:27], v[54:55], v[6:7]
	v_fma_f64 v[6:7], -v[28:29], v[56:57], v[6:7]
	s_waitcnt lgkmcnt(2)
	v_fma_f64 v[6:7], -v[22:23], v[58:59], v[6:7]
	v_fma_f64 v[6:7], -v[24:25], v[60:61], v[6:7]
	;; [unrolled: 3-line block ×4, first 2 shown]
	s_add_i32 s17, s16, 0x168
	ds_read_b128 v[50:53], v45 offset:96
	s_add_i32 s18, s17, s12
	s_lshl_b32 s18, s18, 3
	ds_read2_b64 v[40:43], v1 offset0:94 offset1:144
	v_mov_b32_e32 v1, s18
	ds_read_b128 v[54:57], v1
	s_waitcnt lgkmcnt(2)
	v_fma_f64 v[6:7], -v[10:11], v[50:51], v[6:7]
	v_fma_f64 v[6:7], -v[12:13], v[52:53], v[6:7]
	ds_read_b128 v[50:53], v1 offset:16
	s_waitcnt lgkmcnt(2)
	v_mul_f64 v[44:45], v[40:41], v[6:7]
	v_add_lshl_u32 v6, s9, v0, 3
	ds_write_b64 v6, v[44:45] offset:4608
	ds_read_b128 v[58:61], v1 offset:32
	s_waitcnt lgkmcnt(3)
	v_fma_f64 v[6:7], -v[34:35], v[54:55], v[8:9]
	v_fma_f64 v[6:7], -v[36:37], v[56:57], v[6:7]
	s_waitcnt lgkmcnt(2)
	v_fma_f64 v[40:41], -v[30:31], v[50:51], v[6:7]
	ds_read_b128 v[6:9], v1 offset:48
	v_fma_f64 v[40:41], -v[32:33], v[52:53], v[40:41]
	ds_read_b128 v[50:53], v1 offset:64
	ds_read_b128 v[54:57], v1 offset:80
	s_waitcnt lgkmcnt(3)
	v_fma_f64 v[40:41], -v[26:27], v[58:59], v[40:41]
	v_fma_f64 v[40:41], -v[28:29], v[60:61], v[40:41]
	s_waitcnt lgkmcnt(2)
	v_fma_f64 v[6:7], -v[22:23], v[6:7], v[40:41]
	v_fma_f64 v[40:41], -v[24:25], v[8:9], v[6:7]
	ds_read_b128 v[6:9], v1 offset:96
	s_waitcnt lgkmcnt(2)
	v_fma_f64 v[40:41], -v[18:19], v[50:51], v[40:41]
	v_fma_f64 v[40:41], -v[20:21], v[52:53], v[40:41]
	s_waitcnt lgkmcnt(1)
	v_fma_f64 v[40:41], -v[14:15], v[54:55], v[40:41]
	v_fma_f64 v[40:41], -v[16:17], v[56:57], v[40:41]
	s_waitcnt lgkmcnt(0)
	v_fma_f64 v[6:7], -v[10:11], v[6:7], v[40:41]
	v_fma_f64 v[40:41], -v[12:13], v[8:9], v[6:7]
	s_add_i32 s9, s16, 0x180
	ds_read_b128 v[6:9], v1 offset:112
	s_or_b32 s18, s9, s12
	s_lshl_b32 s18, s18, 3
	v_mov_b32_e32 v1, s18
	ds_read_b128 v[50:53], v1
	s_waitcnt lgkmcnt(1)
	v_fma_f64 v[6:7], -v[44:45], v[6:7], v[40:41]
	v_mul_f64 v[58:59], v[8:9], v[6:7]
	ds_read_b128 v[6:9], v1 offset:16
	ds_read_b128 v[54:57], v1 offset:32
	s_waitcnt lgkmcnt(2)
	v_fma_f64 v[2:3], -v[34:35], v[50:51], v[2:3]
	v_fma_f64 v[2:3], -v[36:37], v[52:53], v[2:3]
	ds_read_b128 v[50:53], v1 offset:48
	s_waitcnt lgkmcnt(2)
	v_fma_f64 v[2:3], -v[30:31], v[6:7], v[2:3]
	v_fma_f64 v[2:3], -v[32:33], v[8:9], v[2:3]
	;; [unrolled: 4-line block ×4, first 2 shown]
	ds_read_b128 v[50:53], v1 offset:96
	s_waitcnt lgkmcnt(2)
	v_fma_f64 v[2:3], -v[18:19], v[6:7], v[2:3]
	v_add_lshl_u32 v40, s17, v0, 3
	v_fma_f64 v[2:3], -v[20:21], v[8:9], v[2:3]
	ds_read_b128 v[6:9], v1 offset:112
	s_add_i32 s17, s16, 0x198
	s_waitcnt lgkmcnt(2)
	v_fma_f64 v[2:3], -v[14:15], v[54:55], v[2:3]
	s_add_i32 s18, s17, s12
	v_fma_f64 v[2:3], -v[16:17], v[56:57], v[2:3]
	s_lshl_b32 s18, s18, 3
	s_waitcnt lgkmcnt(1)
	v_fma_f64 v[2:3], -v[10:11], v[50:51], v[2:3]
	v_mov_b32_e32 v1, s18
	v_fma_f64 v[2:3], -v[12:13], v[52:53], v[2:3]
	ds_read_b128 v[50:53], v1
	s_waitcnt lgkmcnt(1)
	v_fma_f64 v[2:3], -v[44:45], v[6:7], v[2:3]
	v_fma_f64 v[2:3], -v[58:59], v[8:9], v[2:3]
	ds_read_b128 v[6:9], v1 offset:16
	ds_write_b64 v40, v[58:59] offset:4608
	v_mul_f64 v[54:55], v[42:43], v[2:3]
	v_add_lshl_u32 v2, s9, v0, 3
	ds_read_b128 v[40:43], v1 offset:32
	ds_write_b64 v2, v[54:55] offset:4608
	s_waitcnt lgkmcnt(4)
	v_fma_f64 v[2:3], -v[34:35], v[50:51], v[4:5]
	v_fma_f64 v[2:3], -v[36:37], v[52:53], v[2:3]
	s_waitcnt lgkmcnt(3)
	v_fma_f64 v[6:7], -v[30:31], v[6:7], v[2:3]
	ds_read_b128 v[2:5], v1 offset:48
	v_fma_f64 v[6:7], -v[32:33], v[8:9], v[6:7]
	s_waitcnt lgkmcnt(2)
	v_fma_f64 v[40:41], -v[26:27], v[40:41], v[6:7]
	ds_read_b128 v[6:9], v1 offset:64
	;; [unrolled: 4-line block ×3, first 2 shown]
	v_fma_f64 v[2:3], -v[24:25], v[4:5], v[2:3]
	s_waitcnt lgkmcnt(1)
	v_fma_f64 v[2:3], -v[18:19], v[6:7], v[2:3]
	v_fma_f64 v[6:7], -v[20:21], v[8:9], v[2:3]
	ds_read_b128 v[2:5], v1 offset:96
	s_waitcnt lgkmcnt(1)
	v_fma_f64 v[40:41], -v[14:15], v[40:41], v[6:7]
	ds_read_b128 v[6:9], v1 offset:112
	v_fma_f64 v[50:51], -v[16:17], v[42:43], v[40:41]
	ds_read_b128 v[40:43], v1 offset:128
	s_waitcnt lgkmcnt(2)
	v_fma_f64 v[2:3], -v[10:11], v[2:3], v[50:51]
	v_fma_f64 v[2:3], -v[12:13], v[4:5], v[2:3]
	s_add_i32 s9, s16, 0x1b0
	s_waitcnt lgkmcnt(1)
	v_fma_f64 v[2:3], -v[44:45], v[6:7], v[2:3]
	s_add_i32 s16, s9, s12
	v_fma_f64 v[2:3], -v[58:59], v[8:9], v[2:3]
	s_lshl_b32 s16, s16, 3
	s_waitcnt lgkmcnt(0)
	v_fma_f64 v[2:3], -v[54:55], v[40:41], v[2:3]
	v_mov_b32_e32 v60, s16
	v_mul_f64 v[56:57], v[42:43], v[2:3]
	ds_read_b128 v[2:5], v60
	v_add_lshl_u32 v1, s17, v0, 3
	ds_write_b64 v1, v[56:57] offset:4608
	ds_read_b128 v[6:9], v60 offset:16
	ds_read_b128 v[40:43], v60 offset:32
	;; [unrolled: 1-line block ×3, first 2 shown]
	s_add_i32 s12, s13, s12
	s_waitcnt lgkmcnt(4)
	v_fma_f64 v[2:3], -v[34:35], v[2:3], v[48:49]
	v_fma_f64 v[2:3], -v[36:37], v[4:5], v[2:3]
	s_waitcnt lgkmcnt(2)
	v_fma_f64 v[2:3], -v[30:31], v[6:7], v[2:3]
	v_fma_f64 v[2:3], -v[32:33], v[8:9], v[2:3]
	s_waitcnt lgkmcnt(1)
	v_fma_f64 v[6:7], -v[26:27], v[40:41], v[2:3]
	ds_read_b128 v[2:5], v60 offset:64
	v_fma_f64 v[6:7], -v[28:29], v[42:43], v[6:7]
	s_waitcnt lgkmcnt(1)
	v_fma_f64 v[6:7], -v[22:23], v[50:51], v[6:7]
	v_fma_f64 v[40:41], -v[24:25], v[52:53], v[6:7]
	ds_read_b128 v[6:9], v60 offset:80
	s_waitcnt lgkmcnt(1)
	v_fma_f64 v[2:3], -v[18:19], v[2:3], v[40:41]
	ds_read_b128 v[40:43], v60 offset:96
	v_fma_f64 v[48:49], -v[20:21], v[4:5], v[2:3]
	ds_read_b128 v[2:5], v60 offset:112
	s_waitcnt lgkmcnt(2)
	v_fma_f64 v[6:7], -v[14:15], v[6:7], v[48:49]
	v_fma_f64 v[6:7], -v[16:17], v[8:9], v[6:7]
	s_waitcnt lgkmcnt(1)
	v_fma_f64 v[6:7], -v[10:11], v[40:41], v[6:7]
	v_fma_f64 v[6:7], -v[12:13], v[42:43], v[6:7]
	;; [unrolled: 3-line block ×3, first 2 shown]
	ds_read_b128 v[2:5], v60 offset:128
	s_lshl_b32 s12, s12, 3
	v_mov_b32_e32 v1, s12
	ds_read_b128 v[6:9], v1
	s_mov_b32 s12, s8
	s_waitcnt lgkmcnt(1)
	v_fma_f64 v[2:3], -v[54:55], v[2:3], v[40:41]
	v_fma_f64 v[2:3], -v[56:57], v[4:5], v[2:3]
	v_mul_f64 v[42:43], v[38:39], v[2:3]
	ds_read_b128 v[2:5], v1 offset:16
	v_add_lshl_u32 v38, s9, v0, 3
	ds_write_b64 v38, v[42:43] offset:4608
	ds_read_b128 v[38:41], v1 offset:32
	s_waitcnt lgkmcnt(3)
	v_fma_f64 v[6:7], -v[34:35], v[6:7], v[46:47]
	v_fma_f64 v[6:7], -v[36:37], v[8:9], v[6:7]
	s_waitcnt lgkmcnt(2)
	v_fma_f64 v[2:3], -v[30:31], v[2:3], v[6:7]
	ds_read_b128 v[6:9], v1 offset:48
	v_fma_f64 v[2:3], -v[32:33], v[4:5], v[2:3]
	s_waitcnt lgkmcnt(1)
	v_fma_f64 v[26:27], -v[26:27], v[38:39], v[2:3]
	ds_read_b128 v[2:5], v1 offset:64
	;; [unrolled: 4-line block ×4, first 2 shown]
	v_fma_f64 v[2:3], -v[20:21], v[4:5], v[2:3]
	s_waitcnt lgkmcnt(1)
	v_fma_f64 v[2:3], -v[14:15], v[26:27], v[2:3]
	v_fma_f64 v[14:15], -v[16:17], v[28:29], v[2:3]
	ds_read_b128 v[2:5], v1 offset:112
	s_waitcnt lgkmcnt(1)
	v_fma_f64 v[6:7], -v[10:11], v[6:7], v[14:15]
	ds_read_b128 v[14:17], v1 offset:128
	v_fma_f64 v[10:11], -v[12:13], v[8:9], v[6:7]
	ds_read_b128 v[6:9], v1 offset:144
	s_waitcnt lgkmcnt(2)
	v_fma_f64 v[2:3], -v[44:45], v[2:3], v[10:11]
	v_fma_f64 v[2:3], -v[58:59], v[4:5], v[2:3]
	s_waitcnt lgkmcnt(1)
	v_fma_f64 v[2:3], -v[54:55], v[14:15], v[2:3]
	v_fma_f64 v[2:3], -v[56:57], v[16:17], v[2:3]
	s_waitcnt lgkmcnt(0)
	v_fma_f64 v[2:3], -v[42:43], v[6:7], v[2:3]
	v_mul_f64 v[2:3], v[8:9], v[2:3]
	v_add_lshl_u32 v1, s13, v0, 3
	ds_write_b64 v1, v[2:3] offset:4608
.LBB92_26:
	s_cmp_ge_i32 s12, s30
	s_cbranch_scc1 .LBB92_37
; %bb.27:
	v_mov_b32_e32 v1, 0x1200
	s_add_i32 s8, s12, -1
	s_mul_i32 s9, s12, 0xc0
	v_lshl_or_b32 v1, v0, 3, v1
	s_mov_b32 s13, 0
	s_mov_b32 s16, s12
	s_branch .LBB92_29
.LBB92_28:                              ;   in Loop: Header=BB92_29 Depth=1
	s_mul_i32 s17, s12, 0xc8
	v_mov_b32_e32 v5, s17
	ds_read_b64 v[6:7], v5
	s_add_i32 s12, s12, 1
	s_add_i32 s13, s13, 1
	s_addk_i32 s9, 0xc0
	v_add_u16_e64 v5, s16, 1
	v_add_u32_e32 v4, 0x1200, v4
	s_waitcnt lgkmcnt(0)
	v_mul_f64 v[2:3], v[6:7], v[2:3]
	s_cmp_ge_i32 s12, s30
	v_readfirstlane_b32 s16, v5
	ds_write_b64 v4, v[2:3]
	s_cbranch_scc1 .LBB92_37
.LBB92_29:                              ; =>This Loop Header: Depth=1
                                        ;     Child Loop BB92_32 Depth 2
                                        ;     Child Loop BB92_36 Depth 2
	s_mul_i32 s17, s12, 24
	v_add_lshl_u32 v4, s17, v0, 3
	ds_read_b64 v[2:3], v4 offset:4608
	s_cmp_eq_u32 s12, 0
	s_cbranch_scc1 .LBB92_28
; %bb.30:                               ;   in Loop: Header=BB92_29 Depth=1
	s_add_i32 s17, s8, s13
	s_cmp_lt_u32 s17, 7
	s_cbranch_scc1 .LBB92_34
; %bb.31:                               ;   in Loop: Header=BB92_29 Depth=1
	s_and_b32 s17, s12, -8
	s_mov_b32 s18, 0
	v_mov_b32_e32 v5, v1
	s_mov_b32 s19, s9
.LBB92_32:                              ;   Parent Loop BB92_29 Depth=1
                                        ; =>  This Inner Loop Header: Depth=2
	ds_read2_b64 v[6:9], v5 offset1:24
	v_mov_b32_e32 v34, s19
	ds_read2_b64 v[10:13], v5 offset0:48 offset1:72
	ds_read2_b64 v[14:17], v5 offset0:96 offset1:120
	;; [unrolled: 1-line block ×3, first 2 shown]
	ds_read_b128 v[22:25], v34
	ds_read_b128 v[26:29], v34 offset:16
	ds_read_b128 v[30:33], v34 offset:32
	;; [unrolled: 1-line block ×3, first 2 shown]
	s_add_i32 s18, s18, 8
	s_waitcnt lgkmcnt(3)
	v_fma_f64 v[2:3], -v[6:7], v[22:23], v[2:3]
	v_fma_f64 v[2:3], -v[8:9], v[24:25], v[2:3]
	s_waitcnt lgkmcnt(2)
	v_fma_f64 v[2:3], -v[10:11], v[26:27], v[2:3]
	v_fma_f64 v[2:3], -v[12:13], v[28:29], v[2:3]
	;; [unrolled: 3-line block ×3, first 2 shown]
	s_add_i32 s19, s19, 64
	s_waitcnt lgkmcnt(0)
	v_fma_f64 v[2:3], -v[18:19], v[34:35], v[2:3]
	v_add_u32_e32 v5, 0x600, v5
	s_cmp_lg_u32 s17, s18
	v_fma_f64 v[2:3], -v[20:21], v[36:37], v[2:3]
	s_cbranch_scc1 .LBB92_32
; %bb.33:                               ;   in Loop: Header=BB92_29 Depth=1
	s_and_b32 s18, s12, 7
	s_cmp_eq_u32 s18, 0
	s_cbranch_scc0 .LBB92_35
	s_branch .LBB92_28
.LBB92_34:                              ;   in Loop: Header=BB92_29 Depth=1
	s_mov_b32 s17, 0
	s_and_b32 s18, s12, 7
	s_cmp_eq_u32 s18, 0
	s_cbranch_scc1 .LBB92_28
.LBB92_35:                              ;   in Loop: Header=BB92_29 Depth=1
	s_lshl_b32 s19, s17, 3
	s_mulk_i32 s17, 0xc0
	s_and_b32 s18, s16, 7
	v_add_u32_e32 v5, s17, v1
.LBB92_36:                              ;   Parent Loop BB92_29 Depth=1
                                        ; =>  This Inner Loop Header: Depth=2
	s_add_i32 s17, s9, s19
	v_mov_b32_e32 v8, s17
	ds_read_b64 v[6:7], v5
	ds_read_b64 v[8:9], v8
	s_add_i32 s19, s19, 8
	s_add_i32 s18, s18, -1
	v_add_u32_e32 v5, 0xc0, v5
	s_cmp_lg_u32 s18, 0
	s_waitcnt lgkmcnt(0)
	v_fma_f64 v[2:3], -v[6:7], v[8:9], v[2:3]
	s_cbranch_scc1 .LBB92_36
	s_branch .LBB92_28
.LBB92_37:
	s_mov_b64 s[8:9], 0
.LBB92_38:
	s_and_b64 vcc, exec, s[8:9]
	s_cbranch_vccz .LBB92_60
; %bb.39:
	s_cmp_gt_i32 s10, 23
	s_mov_b32 s8, s31
	s_cbranch_scc0 .LBB92_41
; %bb.40:
	s_mul_i32 s8, s31, 24
	s_mul_i32 s40, s30, 24
	v_add_lshl_u32 v1, s8, v0, 3
	s_sub_i32 s39, s40, 48
	s_add_i32 s38, s40, 0xffffffb8
	s_add_i32 s37, s40, 0xffffffa0
	;; [unrolled: 1-line block ×22, first 2 shown]
	s_sub_i32 s40, s40, 24
	v_add_lshl_u32 v50, s39, v0, 3
	v_add_lshl_u32 v55, s38, v0, 3
	;; [unrolled: 1-line block ×3, first 2 shown]
	ds_read_b64 v[34:35], v1 offset:4608
	ds_read_b64 v[40:41], v50 offset:4608
	;; [unrolled: 1-line block ×4, first 2 shown]
	v_add_lshl_u32 v1, s41, v0, 3
	s_add_i32 s41, s30, s40
	s_lshl_b32 s41, s41, 3
	s_add_i32 s41, s41, -16
	v_add_lshl_u32 v59, s36, v0, 3
	v_add_lshl_u32 v67, s29, v0, 3
	;; [unrolled: 1-line block ×5, first 2 shown]
	v_mov_b32_e32 v36, s41
	s_mul_i32 s41, s31, 0xc8
	v_add_lshl_u32 v61, s35, v0, 3
	v_add_lshl_u32 v63, s34, v0, 3
	v_add_lshl_u32 v65, s33, v0, 3
	ds_read_b64 v[84:85], v59 offset:4608
	ds_read_b64 v[94:95], v61 offset:4608
	ds_read_b64 v[46:47], v63 offset:4608
	ds_read_b64 v[48:49], v65 offset:4608
	v_add_lshl_u32 v54, s28, v0, 3
	v_add_lshl_u32 v56, s27, v0, 3
	v_add_lshl_u32 v58, s26, v0, 3
	ds_read_b64 v[30:31], v67 offset:4608
	ds_read_b64 v[24:25], v54 offset:4608
	ds_read_b64 v[22:23], v56 offset:4608
	ds_read_b64 v[20:21], v58 offset:4608
	v_add_lshl_u32 v62, s21, v0, 3
	v_add_lshl_u32 v64, s20, v0, 3
	v_add_lshl_u32 v66, s19, v0, 3
	ds_read_b64 v[18:19], v60 offset:4608
	ds_read_b64 v[16:17], v62 offset:4608
	ds_read_b64 v[8:9], v64 offset:4608
	ds_read_b64 v[6:7], v66 offset:4608
	v_add_lshl_u32 v70, s17, v0, 3
	v_add_lshl_u32 v72, s16, v0, 3
	v_add_lshl_u32 v74, s13, v0, 3
	ds_read_b64 v[4:5], v68 offset:4608
	ds_read_b64 v[2:3], v70 offset:4608
	ds_read_b64 v[14:15], v72 offset:4608
	ds_read_b64 v[12:13], v74 offset:4608
	v_add_lshl_u32 v79, s9, v0, 3
	v_add_lshl_u32 v78, s8, v0, 3
	ds_read_b64 v[10:11], v76 offset:4608
	ds_read_b64 v[28:29], v79 offset:4608
	;; [unrolled: 1-line block ×4, first 2 shown]
	ds_read2_b64 v[36:39], v36 offset1:1
	s_add_i32 s42, s41, 0xffffff38
	v_mov_b32_e32 v42, s42
	ds_read_b64 v[42:43], v42
	s_add_i32 s42, s30, -4
	s_add_i32 s43, s42, s40
	s_waitcnt lgkmcnt(1)
	v_mul_f64 v[34:35], v[38:39], v[34:35]
	v_add_lshl_u32 v38, s40, v0, 3
	s_lshl_b32 s43, s43, 3
	ds_write_b64 v38, v[34:35] offset:4608
	v_fma_f64 v[36:37], -v[34:35], v[36:37], v[40:41]
	v_mov_b32_e32 v38, s43
	s_waitcnt lgkmcnt(1)
	v_mul_f64 v[36:37], v[42:43], v[36:37]
	ds_read2_b64 v[40:43], v38 offset1:1
	s_add_i32 s43, s42, s39
	s_lshl_b32 s43, s43, 3
	v_mov_b32_e32 v38, s43
	ds_write_b64 v50, v[36:37] offset:4608
	ds_read2_b64 v[50:53], v38 offset1:1
	s_add_i32 s42, s42, s38
	s_lshl_b32 s42, s42, 3
	s_waitcnt lgkmcnt(2)
	v_fma_f64 v[38:39], -v[34:35], v[42:43], v[44:45]
	v_mov_b32_e32 v42, s42
	ds_read2_b64 v[42:45], v42 offset1:1
	s_add_i32 s42, s41, 0xfffffda8
	s_waitcnt lgkmcnt(1)
	v_fma_f64 v[38:39], -v[36:37], v[52:53], v[38:39]
	v_mov_b32_e32 v52, s42
	ds_read_b64 v[86:87], v52
	s_add_i32 s42, s30, -6
	s_add_i32 s43, s42, s40
	s_lshl_b32 s43, s43, 3
	s_waitcnt lgkmcnt(1)
	v_mul_f64 v[38:39], v[44:45], v[38:39]
	v_mov_b32_e32 v44, s43
	s_add_i32 s43, s42, s39
	ds_write_b64 v55, v[38:39] offset:4608
	v_fma_f64 v[40:41], -v[34:35], v[40:41], v[80:81]
	s_lshl_b32 s43, s43, 3
	v_fma_f64 v[40:41], -v[36:37], v[50:51], v[40:41]
	v_mov_b32_e32 v45, s43
	ds_read2_b64 v[50:53], v44 offset1:1
	ds_read2_b64 v[80:83], v45 offset1:1
	s_add_i32 s43, s42, s38
	s_lshl_b32 s43, s43, 3
	v_mov_b32_e32 v44, s43
	s_add_i32 s43, s42, s37
	v_fma_f64 v[40:41], -v[38:39], v[42:43], v[40:41]
	s_waitcnt lgkmcnt(1)
	v_fma_f64 v[42:43], -v[34:35], v[52:53], v[84:85]
	s_lshl_b32 s43, s43, 3
	s_add_i32 s42, s42, s36
	s_waitcnt lgkmcnt(0)
	v_fma_f64 v[42:43], -v[36:37], v[82:83], v[42:43]
	ds_read2_b64 v[82:85], v44 offset1:1
	v_mov_b32_e32 v44, s43
	s_lshl_b32 s42, s42, 3
	v_mul_f64 v[40:41], v[86:87], v[40:41]
	ds_read2_b64 v[86:89], v44 offset1:1
	v_mov_b32_e32 v44, s42
	ds_read2_b64 v[90:93], v44 offset1:1
	s_add_i32 s42, s41, 0xfffffc18
	v_mov_b32_e32 v44, s42
	v_fma_f64 v[50:51], -v[34:35], v[50:51], v[94:95]
	s_add_i32 s42, s30, -8
	s_waitcnt lgkmcnt(2)
	v_fma_f64 v[42:43], -v[38:39], v[84:85], v[42:43]
	v_fma_f64 v[50:51], -v[36:37], v[80:81], v[50:51]
	s_add_i32 s43, s42, s40
	s_waitcnt lgkmcnt(1)
	v_fma_f64 v[42:43], -v[40:41], v[88:89], v[42:43]
	v_fma_f64 v[50:51], -v[38:39], v[82:83], v[50:51]
	s_lshl_b32 s43, s43, 3
	s_waitcnt lgkmcnt(0)
	v_mul_f64 v[42:43], v[92:93], v[42:43]
	v_fma_f64 v[84:85], -v[40:41], v[86:87], v[50:51]
	v_mov_b32_e32 v50, s43
	s_add_i32 s43, s42, s39
	ds_write_b64 v57, v[40:41] offset:4608
	ds_write_b64 v59, v[42:43] offset:4608
	s_lshl_b32 s43, s43, 3
	ds_read_b64 v[44:45], v44
	v_mov_b32_e32 v55, s43
	ds_read2_b64 v[50:53], v50 offset1:1
	ds_read2_b64 v[80:83], v55 offset1:1
	s_add_i32 s43, s42, s38
	s_lshl_b32 s43, s43, 3
	v_fma_f64 v[84:85], -v[42:43], v[90:91], v[84:85]
	s_waitcnt lgkmcnt(1)
	v_fma_f64 v[46:47], -v[34:35], v[52:53], v[46:47]
	v_mov_b32_e32 v52, s43
	s_add_i32 s43, s42, s37
	s_lshl_b32 s43, s43, 3
	v_mul_f64 v[44:45], v[44:45], v[84:85]
	v_mov_b32_e32 v53, s43
	s_add_i32 s43, s42, s36
	ds_write_b64 v61, v[44:45] offset:4608
	s_lshl_b32 s43, s43, 3
	s_waitcnt lgkmcnt(1)
	v_fma_f64 v[46:47], -v[36:37], v[82:83], v[46:47]
	ds_read2_b64 v[82:85], v52 offset1:1
	ds_read2_b64 v[86:89], v53 offset1:1
	v_mov_b32_e32 v52, s43
	s_add_i32 s43, s42, s35
	s_lshl_b32 s43, s43, 3
	v_mov_b32_e32 v53, s43
	s_add_i32 s43, s41, 0xfffffb50
	ds_read2_b64 v[90:93], v52 offset1:1
	ds_read2_b64 v[94:97], v53 offset1:1
	v_mov_b32_e32 v52, s43
	ds_read_b64 v[52:53], v52
	s_add_i32 s42, s42, s34
	s_waitcnt lgkmcnt(4)
	v_fma_f64 v[46:47], -v[38:39], v[84:85], v[46:47]
	s_lshl_b32 s42, s42, 3
	s_waitcnt lgkmcnt(3)
	v_fma_f64 v[46:47], -v[40:41], v[88:89], v[46:47]
	v_fma_f64 v[48:49], -v[34:35], v[50:51], v[48:49]
	v_mov_b32_e32 v50, s42
	s_waitcnt lgkmcnt(2)
	v_fma_f64 v[46:47], -v[42:43], v[92:93], v[46:47]
	v_fma_f64 v[48:49], -v[36:37], v[80:81], v[48:49]
	ds_read_b64 v[50:51], v50
	s_waitcnt lgkmcnt(2)
	v_fma_f64 v[46:47], -v[44:45], v[96:97], v[46:47]
	v_fma_f64 v[48:49], -v[38:39], v[82:83], v[48:49]
	s_add_i32 s42, s41, 0xfffffa88
	s_waitcnt lgkmcnt(1)
	v_mul_f64 v[46:47], v[52:53], v[46:47]
	v_mov_b32_e32 v52, s42
	v_fma_f64 v[48:49], -v[40:41], v[86:87], v[48:49]
	s_add_i32 s42, s30, -10
	v_fma_f64 v[48:49], -v[42:43], v[90:91], v[48:49]
	s_add_i32 s43, s42, s40
	v_fma_f64 v[48:49], -v[44:45], v[94:95], v[48:49]
	s_lshl_b32 s43, s43, 3
	s_waitcnt lgkmcnt(0)
	v_fma_f64 v[48:49], -v[46:47], v[50:51], v[48:49]
	v_mov_b32_e32 v50, s43
	s_add_i32 s43, s42, s39
	s_lshl_b32 s43, s43, 3
	v_mov_b32_e32 v51, s43
	s_add_i32 s43, s42, s38
	ds_write_b64 v63, v[46:47] offset:4608
	s_lshl_b32 s43, s43, 3
	ds_read_b64 v[52:53], v52
	ds_read2_b64 v[80:83], v50 offset1:1
	ds_read2_b64 v[84:87], v51 offset1:1
	v_mov_b32_e32 v50, s43
	s_add_i32 s43, s42, s37
	s_lshl_b32 s43, s43, 3
	v_mov_b32_e32 v51, s43
	s_add_i32 s43, s42, s36
	ds_read2_b64 v[88:91], v50 offset1:1
	ds_read2_b64 v[92:95], v51 offset1:1
	s_lshl_b32 s43, s43, 3
	v_mov_b32_e32 v50, s43
	s_add_i32 s43, s42, s35
	s_waitcnt lgkmcnt(3)
	v_fma_f64 v[30:31], -v[34:35], v[82:83], v[30:31]
	s_lshl_b32 s43, s43, 3
	v_mul_f64 v[48:49], v[52:53], v[48:49]
	s_waitcnt lgkmcnt(2)
	v_fma_f64 v[30:31], -v[36:37], v[86:87], v[30:31]
	v_mov_b32_e32 v51, s43
	s_add_i32 s43, s42, s34
	ds_write_b64 v65, v[48:49] offset:4608
	s_waitcnt lgkmcnt(2)
	v_fma_f64 v[30:31], -v[38:39], v[90:91], v[30:31]
	s_lshl_b32 s43, s43, 3
	s_waitcnt lgkmcnt(1)
	v_fma_f64 v[30:31], -v[40:41], v[94:95], v[30:31]
	ds_read2_b64 v[94:97], v50 offset1:1
	ds_read2_b64 v[98:101], v51 offset1:1
	v_mov_b32_e32 v50, s43
	s_add_i32 s43, s42, s33
	s_lshl_b32 s43, s43, 3
	v_mov_b32_e32 v51, s43
	s_add_i32 s43, s41, 0xfffff9c0
	ds_read2_b64 v[102:105], v50 offset1:1
	ds_read2_b64 v[106:109], v51 offset1:1
	v_mov_b32_e32 v50, s43
	ds_read_b64 v[50:51], v50
	s_waitcnt lgkmcnt(4)
	v_fma_f64 v[30:31], -v[42:43], v[96:97], v[30:31]
	s_waitcnt lgkmcnt(3)
	v_fma_f64 v[30:31], -v[44:45], v[100:101], v[30:31]
	;; [unrolled: 2-line block ×3, first 2 shown]
	v_fma_f64 v[24:25], -v[34:35], v[80:81], v[24:25]
	s_add_i32 s42, s42, s29
	s_waitcnt lgkmcnt(1)
	v_fma_f64 v[30:31], -v[48:49], v[108:109], v[30:31]
	v_fma_f64 v[24:25], -v[36:37], v[84:85], v[24:25]
	s_lshl_b32 s42, s42, 3
	s_waitcnt lgkmcnt(0)
	v_mul_f64 v[50:51], v[50:51], v[30:31]
	v_fma_f64 v[24:25], -v[38:39], v[88:89], v[24:25]
	v_mov_b32_e32 v30, s42
	s_addk_i32 s41, 0xf8f8
	v_fma_f64 v[24:25], -v[40:41], v[92:93], v[24:25]
	ds_read_b64 v[30:31], v30
	v_mov_b32_e32 v52, s41
	v_fma_f64 v[24:25], -v[42:43], v[94:95], v[24:25]
	ds_read_b64 v[52:53], v52
	v_fma_f64 v[24:25], -v[44:45], v[98:99], v[24:25]
	v_fma_f64 v[24:25], -v[46:47], v[102:103], v[24:25]
	s_add_i32 s41, s30, -12
	v_fma_f64 v[24:25], -v[48:49], v[106:107], v[24:25]
	s_add_i32 s42, s41, s40
	s_waitcnt lgkmcnt(1)
	v_fma_f64 v[24:25], -v[50:51], v[30:31], v[24:25]
	s_lshl_b32 s42, s42, 3
	s_waitcnt lgkmcnt(0)
	v_mul_f64 v[52:53], v[52:53], v[24:25]
	v_mov_b32_e32 v24, s42
	s_add_i32 s42, s41, s39
	s_lshl_b32 s42, s42, 3
	v_mov_b32_e32 v25, s42
	s_add_i32 s42, s41, s38
	ds_write_b64 v67, v[50:51] offset:4608
	s_lshl_b32 s42, s42, 3
	ds_read2_b64 v[80:83], v24 offset1:1
	ds_read2_b64 v[84:87], v25 offset1:1
	v_mov_b32_e32 v24, s42
	s_add_i32 s42, s41, s37
	s_lshl_b32 s42, s42, 3
	v_mov_b32_e32 v25, s42
	ds_read2_b64 v[88:91], v24 offset1:1
	ds_read2_b64 v[92:95], v25 offset1:1
	s_waitcnt lgkmcnt(3)
	v_fma_f64 v[22:23], -v[34:35], v[82:83], v[22:23]
	s_waitcnt lgkmcnt(2)
	v_fma_f64 v[22:23], -v[36:37], v[86:87], v[22:23]
	s_add_i32 s42, s41, s36
	s_waitcnt lgkmcnt(1)
	v_fma_f64 v[22:23], -v[38:39], v[90:91], v[22:23]
	s_lshl_b32 s42, s42, 3
	s_waitcnt lgkmcnt(0)
	v_fma_f64 v[30:31], -v[40:41], v[94:95], v[22:23]
	v_mov_b32_e32 v22, s42
	ds_read2_b64 v[22:25], v22 offset1:1
	s_add_i32 s42, s41, s35
	s_lshl_b32 s42, s42, 3
	ds_write_b64 v54, v[52:53] offset:4608
	v_mov_b32_e32 v54, s42
	ds_read2_b64 v[94:97], v54 offset1:1
	s_add_i32 s42, s41, s34
	s_lshl_b32 s42, s42, 3
	s_waitcnt lgkmcnt(2)
	v_fma_f64 v[24:25], -v[42:43], v[24:25], v[30:31]
	v_mov_b32_e32 v30, s42
	s_add_i32 s42, s41, s33
	s_lshl_b32 s42, s42, 3
	v_mov_b32_e32 v31, s42
	s_add_i32 s42, s41, s29
	s_lshl_b32 s42, s42, 3
	ds_read2_b64 v[98:101], v30 offset1:1
	ds_read2_b64 v[102:105], v31 offset1:1
	v_mov_b32_e32 v30, s42
	s_add_i32 s42, s41, s28
	s_lshl_b32 s42, s42, 3
	v_mov_b32_e32 v31, s42
	ds_read2_b64 v[106:109], v30 offset1:1
	ds_read2_b64 v[110:113], v31 offset1:1
	s_waitcnt lgkmcnt(4)
	v_fma_f64 v[24:25], -v[44:45], v[96:97], v[24:25]
	v_fma_f64 v[20:21], -v[34:35], v[80:81], v[20:21]
	s_waitcnt lgkmcnt(3)
	v_fma_f64 v[24:25], -v[46:47], v[100:101], v[24:25]
	s_add_i32 s41, s41, s27
	v_fma_f64 v[20:21], -v[36:37], v[84:85], v[20:21]
	s_waitcnt lgkmcnt(2)
	v_fma_f64 v[24:25], -v[48:49], v[104:105], v[24:25]
	s_lshl_b32 s41, s41, 3
	v_fma_f64 v[20:21], -v[38:39], v[88:89], v[20:21]
	s_waitcnt lgkmcnt(1)
	v_fma_f64 v[24:25], -v[50:51], v[108:109], v[24:25]
	v_mov_b32_e32 v30, s41
	s_mul_i32 s41, s30, 0xc8
	v_fma_f64 v[20:21], -v[40:41], v[92:93], v[20:21]
	s_waitcnt lgkmcnt(0)
	v_fma_f64 v[24:25], -v[52:53], v[112:113], v[24:25]
	ds_read2_b64 v[112:115], v30 offset1:1
	s_add_i32 s42, s41, 0xfffff6a0
	v_fma_f64 v[20:21], -v[42:43], v[22:23], v[20:21]
	v_mov_b32_e32 v30, s42
	v_fma_f64 v[20:21], -v[44:45], v[94:95], v[20:21]
	ds_read_b64 v[30:31], v30
	v_fma_f64 v[20:21], -v[46:47], v[98:99], v[20:21]
	v_fma_f64 v[20:21], -v[48:49], v[102:103], v[20:21]
	v_fma_f64 v[20:21], -v[50:51], v[106:107], v[20:21]
	s_add_i32 s42, s30, -14
	s_waitcnt lgkmcnt(1)
	v_mul_f64 v[54:55], v[114:115], v[24:25]
	v_fma_f64 v[20:21], -v[52:53], v[110:111], v[20:21]
	s_add_i32 s43, s42, s40
	v_fma_f64 v[20:21], -v[54:55], v[112:113], v[20:21]
	s_lshl_b32 s43, s43, 3
	ds_write_b64 v56, v[54:55] offset:4608
	s_waitcnt lgkmcnt(1)
	v_mul_f64 v[56:57], v[30:31], v[20:21]
	v_mov_b32_e32 v20, s43
	s_add_i32 s43, s42, s39
	s_lshl_b32 s43, s43, 3
	v_mov_b32_e32 v24, s43
	s_add_i32 s43, s42, s38
	s_lshl_b32 s43, s43, 3
	ds_read2_b64 v[20:23], v20 offset1:1
	ds_read2_b64 v[80:83], v24 offset1:1
	v_mov_b32_e32 v24, s43
	s_add_i32 s43, s42, s37
	s_lshl_b32 s43, s43, 3
	v_mov_b32_e32 v25, s43
	s_add_i32 s43, s42, s36
	s_lshl_b32 s43, s43, 3
	ds_read2_b64 v[84:87], v24 offset1:1
	ds_read2_b64 v[88:91], v25 offset1:1
	s_waitcnt lgkmcnt(3)
	v_fma_f64 v[18:19], -v[34:35], v[22:23], v[18:19]
	v_mov_b32_e32 v22, s43
	ds_read2_b64 v[22:25], v22 offset1:1
	s_add_i32 s43, s42, s35
	s_waitcnt lgkmcnt(3)
	v_fma_f64 v[18:19], -v[36:37], v[82:83], v[18:19]
	s_lshl_b32 s43, s43, 3
	s_waitcnt lgkmcnt(2)
	v_fma_f64 v[18:19], -v[38:39], v[86:87], v[18:19]
	v_mov_b32_e32 v30, s43
	s_add_i32 s43, s42, s34
	s_waitcnt lgkmcnt(1)
	v_fma_f64 v[18:19], -v[40:41], v[90:91], v[18:19]
	ds_read2_b64 v[90:93], v30 offset1:1
	s_lshl_b32 s43, s43, 3
	s_waitcnt lgkmcnt(1)
	v_fma_f64 v[18:19], -v[42:43], v[24:25], v[18:19]
	v_mov_b32_e32 v24, s43
	s_add_i32 s43, s42, s33
	s_lshl_b32 s43, s43, 3
	v_mov_b32_e32 v25, s43
	s_add_i32 s43, s42, s29
	ds_write_b64 v58, v[56:57] offset:4608
	s_lshl_b32 s43, s43, 3
	ds_read2_b64 v[94:97], v24 offset1:1
	ds_read2_b64 v[98:101], v25 offset1:1
	v_mov_b32_e32 v24, s43
	s_add_i32 s43, s42, s28
	s_lshl_b32 s43, s43, 3
	v_mov_b32_e32 v25, s43
	ds_read2_b64 v[102:105], v24 offset1:1
	ds_read2_b64 v[106:109], v25 offset1:1
	s_waitcnt lgkmcnt(5)
	v_fma_f64 v[18:19], -v[44:45], v[92:93], v[18:19]
	s_add_i32 s43, s42, s27
	v_fma_f64 v[16:17], -v[34:35], v[20:21], v[16:17]
	s_waitcnt lgkmcnt(3)
	v_fma_f64 v[18:19], -v[46:47], v[96:97], v[18:19]
	s_lshl_b32 s43, s43, 3
	v_fma_f64 v[16:17], -v[36:37], v[80:81], v[16:17]
	s_waitcnt lgkmcnt(2)
	v_fma_f64 v[18:19], -v[48:49], v[100:101], v[18:19]
	v_mov_b32_e32 v24, s43
	s_add_i32 s43, s42, s26
	v_fma_f64 v[16:17], -v[38:39], v[84:85], v[16:17]
	s_waitcnt lgkmcnt(1)
	v_fma_f64 v[18:19], -v[50:51], v[104:105], v[18:19]
	s_lshl_b32 s43, s43, 3
	s_add_i32 s42, s42, s25
	v_fma_f64 v[16:17], -v[40:41], v[88:89], v[16:17]
	s_waitcnt lgkmcnt(0)
	v_fma_f64 v[18:19], -v[52:53], v[108:109], v[18:19]
	ds_read2_b64 v[108:111], v24 offset1:1
	v_mov_b32_e32 v24, s43
	s_lshl_b32 s42, s42, 3
	v_fma_f64 v[16:17], -v[42:43], v[22:23], v[16:17]
	ds_read2_b64 v[112:115], v24 offset1:1
	v_mov_b32_e32 v24, s42
	v_fma_f64 v[16:17], -v[44:45], v[90:91], v[16:17]
	ds_read2_b64 v[116:119], v24 offset1:1
	s_add_i32 s42, s41, 0xfffff510
	v_fma_f64 v[16:17], -v[46:47], v[94:95], v[16:17]
	v_mov_b32_e32 v24, s42
	v_fma_f64 v[16:17], -v[48:49], v[98:99], v[16:17]
	ds_read_b64 v[24:25], v24
	v_fma_f64 v[16:17], -v[50:51], v[102:103], v[16:17]
	s_waitcnt lgkmcnt(3)
	v_fma_f64 v[18:19], -v[54:55], v[110:111], v[18:19]
	v_fma_f64 v[16:17], -v[52:53], v[106:107], v[16:17]
	s_waitcnt lgkmcnt(2)
	v_fma_f64 v[18:19], -v[56:57], v[114:115], v[18:19]
	v_fma_f64 v[16:17], -v[54:55], v[108:109], v[16:17]
	s_add_i32 s42, s30, -16
	s_waitcnt lgkmcnt(1)
	v_mul_f64 v[58:59], v[118:119], v[18:19]
	v_fma_f64 v[16:17], -v[56:57], v[112:113], v[16:17]
	s_add_i32 s43, s42, s40
	v_fma_f64 v[16:17], -v[58:59], v[116:117], v[16:17]
	s_lshl_b32 s43, s43, 3
	ds_write_b64 v60, v[58:59] offset:4608
	s_waitcnt lgkmcnt(1)
	v_mul_f64 v[60:61], v[24:25], v[16:17]
	v_mov_b32_e32 v16, s43
	ds_read2_b64 v[16:19], v16 offset1:1
	s_add_i32 s43, s42, s39
	s_lshl_b32 s43, s43, 3
	v_mov_b32_e32 v20, s43
	ds_read2_b64 v[20:23], v20 offset1:1
	s_add_i32 s43, s42, s38
	s_lshl_b32 s43, s43, 3
	s_waitcnt lgkmcnt(1)
	v_fma_f64 v[8:9], -v[34:35], v[18:19], v[8:9]
	v_mov_b32_e32 v18, s43
	s_add_i32 s43, s42, s37
	s_lshl_b32 s43, s43, 3
	v_mov_b32_e32 v19, s43
	s_add_i32 s43, s42, s36
	ds_write_b64 v62, v[60:61] offset:4608
	s_lshl_b32 s43, s43, 3
	ds_read2_b64 v[80:83], v18 offset1:1
	ds_read2_b64 v[84:87], v19 offset1:1
	v_mov_b32_e32 v18, s43
	s_add_i32 s43, s42, s35
	s_lshl_b32 s43, s43, 3
	v_mov_b32_e32 v19, s43
	s_add_i32 s43, s42, s34
	ds_read2_b64 v[88:91], v18 offset1:1
	ds_read2_b64 v[92:95], v19 offset1:1
	s_lshl_b32 s43, s43, 3
	s_waitcnt lgkmcnt(5)
	v_fma_f64 v[8:9], -v[36:37], v[22:23], v[8:9]
	v_mov_b32_e32 v18, s43
	s_add_i32 s43, s42, s33
	s_waitcnt lgkmcnt(3)
	v_fma_f64 v[8:9], -v[38:39], v[82:83], v[8:9]
	s_lshl_b32 s43, s43, 3
	s_waitcnt lgkmcnt(2)
	v_fma_f64 v[8:9], -v[40:41], v[86:87], v[8:9]
	ds_read2_b64 v[22:25], v18 offset1:1
	v_mov_b32_e32 v18, s43
	s_add_i32 s43, s42, s29
	s_waitcnt lgkmcnt(2)
	v_fma_f64 v[8:9], -v[42:43], v[90:91], v[8:9]
	s_lshl_b32 s43, s43, 3
	s_waitcnt lgkmcnt(1)
	v_fma_f64 v[8:9], -v[44:45], v[94:95], v[8:9]
	ds_read2_b64 v[94:97], v18 offset1:1
	v_mov_b32_e32 v18, s43
	s_add_i32 s43, s42, s28
	s_lshl_b32 s43, s43, 3
	v_mov_b32_e32 v19, s43
	s_add_i32 s43, s42, s27
	s_lshl_b32 s43, s43, 3
	ds_read2_b64 v[98:101], v18 offset1:1
	ds_read2_b64 v[102:105], v19 offset1:1
	v_mov_b32_e32 v18, s43
	s_add_i32 s43, s42, s26
	v_fma_f64 v[6:7], -v[34:35], v[16:17], v[6:7]
	s_lshl_b32 s43, s43, 3
	v_fma_f64 v[6:7], -v[36:37], v[20:21], v[6:7]
	s_waitcnt lgkmcnt(3)
	v_fma_f64 v[8:9], -v[46:47], v[24:25], v[8:9]
	v_mov_b32_e32 v19, s43
	ds_read2_b64 v[106:109], v18 offset1:1
	ds_read2_b64 v[110:113], v19 offset1:1
	v_fma_f64 v[6:7], -v[38:39], v[80:81], v[6:7]
	s_waitcnt lgkmcnt(4)
	v_fma_f64 v[8:9], -v[48:49], v[96:97], v[8:9]
	s_add_i32 s43, s42, s25
	v_fma_f64 v[6:7], -v[40:41], v[84:85], v[6:7]
	s_waitcnt lgkmcnt(3)
	v_fma_f64 v[8:9], -v[50:51], v[100:101], v[8:9]
	s_lshl_b32 s43, s43, 3
	v_fma_f64 v[6:7], -v[42:43], v[88:89], v[6:7]
	s_waitcnt lgkmcnt(2)
	v_fma_f64 v[8:9], -v[52:53], v[104:105], v[8:9]
	v_mov_b32_e32 v18, s43
	s_add_i32 s43, s42, s21
	v_fma_f64 v[6:7], -v[44:45], v[92:93], v[6:7]
	s_waitcnt lgkmcnt(1)
	v_fma_f64 v[8:9], -v[54:55], v[108:109], v[8:9]
	s_lshl_b32 s43, s43, 3
	s_add_i32 s42, s42, s20
	v_fma_f64 v[6:7], -v[46:47], v[22:23], v[6:7]
	s_waitcnt lgkmcnt(0)
	v_fma_f64 v[8:9], -v[56:57], v[112:113], v[8:9]
	ds_read2_b64 v[112:115], v18 offset1:1
	v_mov_b32_e32 v18, s43
	s_lshl_b32 s42, s42, 3
	v_fma_f64 v[6:7], -v[48:49], v[94:95], v[6:7]
	ds_read2_b64 v[116:119], v18 offset1:1
	v_mov_b32_e32 v18, s42
	v_fma_f64 v[6:7], -v[50:51], v[98:99], v[6:7]
	ds_read2_b64 v[120:123], v18 offset1:1
	s_add_i32 s42, s41, 0xfffff380
	v_fma_f64 v[6:7], -v[52:53], v[102:103], v[6:7]
	v_mov_b32_e32 v18, s42
	v_fma_f64 v[6:7], -v[54:55], v[106:107], v[6:7]
	s_sub_i32 s42, s30, 18
	v_fma_f64 v[6:7], -v[56:57], v[110:111], v[6:7]
	s_add_i32 s43, s42, s40
	s_waitcnt lgkmcnt(2)
	v_fma_f64 v[8:9], -v[58:59], v[114:115], v[8:9]
	v_fma_f64 v[6:7], -v[58:59], v[112:113], v[6:7]
	s_lshl_b32 s43, s43, 3
	s_waitcnt lgkmcnt(1)
	v_fma_f64 v[8:9], -v[60:61], v[118:119], v[8:9]
	v_fma_f64 v[20:21], -v[60:61], v[116:117], v[6:7]
	v_mov_b32_e32 v6, s43
	s_add_i32 s43, s42, s39
	s_waitcnt lgkmcnt(0)
	v_mul_f64 v[62:63], v[122:123], v[8:9]
	s_lshl_b32 s43, s43, 3
	ds_write_b64 v64, v[62:63] offset:4608
	v_mov_b32_e32 v16, s43
	ds_read_b64 v[24:25], v18
	ds_read2_b64 v[6:9], v6 offset1:1
	ds_read2_b64 v[16:19], v16 offset1:1
	s_add_i32 s43, s42, s38
	s_lshl_b32 s43, s43, 3
	v_fma_f64 v[20:21], -v[62:63], v[120:121], v[20:21]
	s_waitcnt lgkmcnt(1)
	v_fma_f64 v[4:5], -v[34:35], v[8:9], v[4:5]
	v_mov_b32_e32 v8, s43
	s_add_i32 s43, s42, s37
	s_lshl_b32 s43, s43, 3
	v_mul_f64 v[64:65], v[24:25], v[20:21]
	s_waitcnt lgkmcnt(0)
	v_fma_f64 v[4:5], -v[36:37], v[18:19], v[4:5]
	ds_read2_b64 v[18:21], v8 offset1:1
	v_mov_b32_e32 v8, s43
	s_add_i32 s43, s42, s36
	s_lshl_b32 s43, s43, 3
	ds_read2_b64 v[22:25], v8 offset1:1
	v_mov_b32_e32 v8, s43
	s_add_i32 s43, s42, s35
	s_lshl_b32 s43, s43, 3
	v_mov_b32_e32 v9, s43
	s_add_i32 s43, s42, s34
	ds_write_b64 v66, v[64:65] offset:4608
	s_lshl_b32 s43, s43, 3
	ds_read2_b64 v[80:83], v8 offset1:1
	ds_read2_b64 v[84:87], v9 offset1:1
	v_mov_b32_e32 v8, s43
	s_add_i32 s43, s42, s33
	s_lshl_b32 s43, s43, 3
	s_waitcnt lgkmcnt(4)
	v_fma_f64 v[4:5], -v[38:39], v[20:21], v[4:5]
	v_mov_b32_e32 v9, s43
	ds_read2_b64 v[88:91], v8 offset1:1
	ds_read2_b64 v[92:95], v9 offset1:1
	s_waitcnt lgkmcnt(5)
	v_fma_f64 v[4:5], -v[40:41], v[24:25], v[4:5]
	s_add_i32 s43, s42, s29
	s_waitcnt lgkmcnt(3)
	v_fma_f64 v[4:5], -v[42:43], v[82:83], v[4:5]
	s_lshl_b32 s43, s43, 3
	s_waitcnt lgkmcnt(2)
	v_fma_f64 v[4:5], -v[44:45], v[86:87], v[4:5]
	v_mov_b32_e32 v8, s43
	s_add_i32 s43, s42, s28
	s_waitcnt lgkmcnt(1)
	v_fma_f64 v[4:5], -v[46:47], v[90:91], v[4:5]
	s_lshl_b32 s43, s43, 3
	s_waitcnt lgkmcnt(0)
	v_fma_f64 v[4:5], -v[48:49], v[94:95], v[4:5]
	ds_read2_b64 v[94:97], v8 offset1:1
	v_mov_b32_e32 v8, s43
	s_add_i32 s43, s42, s27
	s_lshl_b32 s43, s43, 3
	ds_read2_b64 v[98:101], v8 offset1:1
	v_mov_b32_e32 v8, s43
	s_add_i32 s43, s42, s26
	s_lshl_b32 s43, s43, 3
	v_mov_b32_e32 v9, s43
	s_add_i32 s43, s42, s25
	s_lshl_b32 s43, s43, 3
	v_fma_f64 v[2:3], -v[34:35], v[6:7], v[2:3]
	ds_read2_b64 v[102:105], v8 offset1:1
	ds_read2_b64 v[106:109], v9 offset1:1
	v_mov_b32_e32 v8, s43
	s_add_i32 s43, s42, s21
	v_fma_f64 v[2:3], -v[36:37], v[16:17], v[2:3]
	s_lshl_b32 s43, s43, 3
	v_fma_f64 v[2:3], -v[38:39], v[18:19], v[2:3]
	s_waitcnt lgkmcnt(3)
	v_fma_f64 v[4:5], -v[50:51], v[96:97], v[4:5]
	v_mov_b32_e32 v9, s43
	ds_read2_b64 v[110:113], v8 offset1:1
	ds_read2_b64 v[114:117], v9 offset1:1
	v_fma_f64 v[2:3], -v[40:41], v[22:23], v[2:3]
	s_waitcnt lgkmcnt(4)
	v_fma_f64 v[4:5], -v[52:53], v[100:101], v[4:5]
	s_add_i32 s43, s42, s20
	v_fma_f64 v[2:3], -v[42:43], v[80:81], v[2:3]
	s_waitcnt lgkmcnt(3)
	v_fma_f64 v[4:5], -v[54:55], v[104:105], v[4:5]
	s_lshl_b32 s43, s43, 3
	v_fma_f64 v[2:3], -v[44:45], v[84:85], v[2:3]
	s_waitcnt lgkmcnt(2)
	v_fma_f64 v[4:5], -v[56:57], v[108:109], v[4:5]
	v_mov_b32_e32 v8, s43
	s_add_i32 s43, s42, s19
	v_fma_f64 v[2:3], -v[46:47], v[88:89], v[2:3]
	s_waitcnt lgkmcnt(1)
	v_fma_f64 v[4:5], -v[58:59], v[112:113], v[4:5]
	s_lshl_b32 s43, s43, 3
	s_add_i32 s42, s42, s18
	v_fma_f64 v[2:3], -v[48:49], v[92:93], v[2:3]
	s_waitcnt lgkmcnt(0)
	v_fma_f64 v[4:5], -v[60:61], v[116:117], v[4:5]
	ds_read2_b64 v[116:119], v8 offset1:1
	v_mov_b32_e32 v8, s43
	s_lshl_b32 s42, s42, 3
	v_fma_f64 v[2:3], -v[50:51], v[94:95], v[2:3]
	ds_read2_b64 v[120:123], v8 offset1:1
	v_mov_b32_e32 v8, s42
	v_fma_f64 v[2:3], -v[52:53], v[98:99], v[2:3]
	ds_read2_b64 v[124:127], v8 offset1:1
	s_add_i32 s42, s41, 0xfffff1f0
	v_fma_f64 v[2:3], -v[54:55], v[102:103], v[2:3]
	v_mov_b32_e32 v8, s42
	v_fma_f64 v[2:3], -v[56:57], v[106:107], v[2:3]
	ds_read_b64 v[8:9], v8
	v_fma_f64 v[2:3], -v[58:59], v[110:111], v[2:3]
	s_waitcnt lgkmcnt(3)
	v_fma_f64 v[4:5], -v[62:63], v[118:119], v[4:5]
	v_fma_f64 v[2:3], -v[60:61], v[114:115], v[2:3]
	s_waitcnt lgkmcnt(2)
	v_fma_f64 v[4:5], -v[64:65], v[122:123], v[4:5]
	v_fma_f64 v[2:3], -v[62:63], v[116:117], v[2:3]
	s_sub_i32 s42, s30, 20
	s_waitcnt lgkmcnt(1)
	v_mul_f64 v[66:67], v[126:127], v[4:5]
	v_fma_f64 v[2:3], -v[64:65], v[120:121], v[2:3]
	s_add_i32 s43, s42, s40
	v_fma_f64 v[2:3], -v[66:67], v[124:125], v[2:3]
	s_lshl_b32 s43, s43, 3
	ds_write_b64 v68, v[66:67] offset:4608
	s_waitcnt lgkmcnt(1)
	v_mul_f64 v[68:69], v[8:9], v[2:3]
	v_mov_b32_e32 v2, s43
	s_add_i32 s43, s42, s39
	s_lshl_b32 s43, s43, 3
	v_mov_b32_e32 v6, s43
	s_add_i32 s43, s42, s38
	s_lshl_b32 s43, s43, 3
	v_mov_b32_e32 v16, s43
	s_add_i32 s43, s42, s37
	ds_read2_b64 v[2:5], v2 offset1:1
	ds_read2_b64 v[6:9], v6 offset1:1
	s_lshl_b32 s43, s43, 3
	v_mov_b32_e32 v20, s43
	ds_read2_b64 v[16:19], v16 offset1:1
	ds_read2_b64 v[20:23], v20 offset1:1
	s_add_i32 s43, s42, s36
	s_waitcnt lgkmcnt(3)
	v_fma_f64 v[4:5], -v[34:35], v[4:5], v[14:15]
	s_lshl_b32 s43, s43, 3
	s_waitcnt lgkmcnt(2)
	v_fma_f64 v[4:5], -v[36:37], v[8:9], v[4:5]
	v_mov_b32_e32 v8, s43
	s_add_i32 s43, s42, s35
	s_waitcnt lgkmcnt(1)
	v_fma_f64 v[4:5], -v[38:39], v[18:19], v[4:5]
	s_lshl_b32 s43, s43, 3
	s_waitcnt lgkmcnt(0)
	v_fma_f64 v[4:5], -v[40:41], v[22:23], v[4:5]
	ds_read2_b64 v[22:25], v8 offset1:1
	v_mov_b32_e32 v8, s43
	s_add_i32 s43, s42, s34
	s_lshl_b32 s43, s43, 3
	ds_read2_b64 v[80:83], v8 offset1:1
	v_mov_b32_e32 v8, s43
	s_add_i32 s43, s42, s33
	s_lshl_b32 s43, s43, 3
	v_mov_b32_e32 v9, s43
	s_add_i32 s43, s42, s29
	ds_write_b64 v70, v[68:69] offset:4608
	s_lshl_b32 s43, s43, 3
	ds_read2_b64 v[84:87], v8 offset1:1
	ds_read2_b64 v[88:91], v9 offset1:1
	v_mov_b32_e32 v8, s43
	s_add_i32 s43, s42, s28
	s_lshl_b32 s43, s43, 3
	s_waitcnt lgkmcnt(4)
	v_fma_f64 v[4:5], -v[42:43], v[24:25], v[4:5]
	v_mov_b32_e32 v9, s43
	ds_read2_b64 v[92:95], v8 offset1:1
	ds_read2_b64 v[96:99], v9 offset1:1
	s_waitcnt lgkmcnt(5)
	v_fma_f64 v[4:5], -v[44:45], v[82:83], v[4:5]
	s_add_i32 s43, s42, s27
	s_waitcnt lgkmcnt(3)
	v_fma_f64 v[4:5], -v[46:47], v[86:87], v[4:5]
	s_lshl_b32 s43, s43, 3
	s_waitcnt lgkmcnt(2)
	v_fma_f64 v[4:5], -v[48:49], v[90:91], v[4:5]
	v_mov_b32_e32 v8, s43
	s_add_i32 s43, s42, s26
	s_waitcnt lgkmcnt(1)
	v_fma_f64 v[4:5], -v[50:51], v[94:95], v[4:5]
	s_lshl_b32 s43, s43, 3
	s_waitcnt lgkmcnt(0)
	v_fma_f64 v[4:5], -v[52:53], v[98:99], v[4:5]
	ds_read2_b64 v[98:101], v8 offset1:1
	v_mov_b32_e32 v8, s43
	s_add_i32 s43, s42, s25
	s_lshl_b32 s43, s43, 3
	ds_read2_b64 v[102:105], v8 offset1:1
	v_mov_b32_e32 v8, s43
	s_add_i32 s43, s42, s21
	s_lshl_b32 s43, s43, 3
	v_fma_f64 v[2:3], -v[34:35], v[2:3], v[12:13]
	v_mov_b32_e32 v9, s43
	s_add_i32 s43, s42, s20
	v_fma_f64 v[2:3], -v[36:37], v[6:7], v[2:3]
	s_lshl_b32 s43, s43, 3
	v_fma_f64 v[2:3], -v[38:39], v[16:17], v[2:3]
	ds_read2_b64 v[106:109], v8 offset1:1
	ds_read2_b64 v[110:113], v9 offset1:1
	v_mov_b32_e32 v8, s43
	s_add_i32 s43, s42, s19
	v_fma_f64 v[2:3], -v[40:41], v[20:21], v[2:3]
	s_lshl_b32 s43, s43, 3
	v_fma_f64 v[2:3], -v[42:43], v[22:23], v[2:3]
	s_waitcnt lgkmcnt(3)
	v_fma_f64 v[4:5], -v[54:55], v[100:101], v[4:5]
	v_mov_b32_e32 v9, s43
	ds_read2_b64 v[114:117], v8 offset1:1
	ds_read2_b64 v[118:121], v9 offset1:1
	v_fma_f64 v[2:3], -v[44:45], v[80:81], v[2:3]
	s_waitcnt lgkmcnt(4)
	v_fma_f64 v[4:5], -v[56:57], v[104:105], v[4:5]
	s_add_i32 s43, s42, s18
	v_fma_f64 v[2:3], -v[46:47], v[84:85], v[2:3]
	s_waitcnt lgkmcnt(3)
	v_fma_f64 v[4:5], -v[58:59], v[108:109], v[4:5]
	s_lshl_b32 s43, s43, 3
	v_fma_f64 v[2:3], -v[48:49], v[88:89], v[2:3]
	s_waitcnt lgkmcnt(2)
	v_fma_f64 v[4:5], -v[60:61], v[112:113], v[4:5]
	v_mov_b32_e32 v8, s43
	s_add_i32 s43, s42, s17
	v_fma_f64 v[2:3], -v[50:51], v[92:93], v[2:3]
	s_waitcnt lgkmcnt(1)
	v_fma_f64 v[4:5], -v[62:63], v[116:117], v[4:5]
	s_lshl_b32 s43, s43, 3
	s_add_i32 s42, s42, s16
	v_fma_f64 v[2:3], -v[52:53], v[96:97], v[2:3]
	s_waitcnt lgkmcnt(0)
	v_fma_f64 v[4:5], -v[64:65], v[120:121], v[4:5]
	ds_read2_b64 v[120:123], v8 offset1:1
	v_mov_b32_e32 v8, s43
	s_lshl_b32 s42, s42, 3
	v_fma_f64 v[2:3], -v[54:55], v[98:99], v[2:3]
	ds_read2_b64 v[124:127], v8 offset1:1
	v_mov_b32_e32 v8, s42
	v_fma_f64 v[2:3], -v[56:57], v[102:103], v[2:3]
	ds_read2_b64 v[128:131], v8 offset1:1
	s_add_i32 s42, s41, 0xfffff060
	v_fma_f64 v[2:3], -v[58:59], v[106:107], v[2:3]
	v_mov_b32_e32 v8, s42
	v_fma_f64 v[2:3], -v[60:61], v[110:111], v[2:3]
	ds_read_b64 v[8:9], v8
	v_fma_f64 v[2:3], -v[62:63], v[114:115], v[2:3]
	s_waitcnt lgkmcnt(3)
	v_fma_f64 v[4:5], -v[66:67], v[122:123], v[4:5]
	v_fma_f64 v[2:3], -v[64:65], v[118:119], v[2:3]
	s_waitcnt lgkmcnt(2)
	v_fma_f64 v[4:5], -v[68:69], v[126:127], v[4:5]
	v_fma_f64 v[2:3], -v[66:67], v[120:121], v[2:3]
	s_sub_i32 s42, s30, 22
	s_waitcnt lgkmcnt(1)
	v_mul_f64 v[70:71], v[130:131], v[4:5]
	v_fma_f64 v[2:3], -v[68:69], v[124:125], v[2:3]
	s_add_i32 s43, s42, s40
	v_fma_f64 v[2:3], -v[70:71], v[128:129], v[2:3]
	s_lshl_b32 s43, s43, 3
	ds_write_b64 v72, v[70:71] offset:4608
	s_waitcnt lgkmcnt(1)
	v_mul_f64 v[72:73], v[8:9], v[2:3]
	v_mov_b32_e32 v2, s43
	ds_read2_b64 v[2:5], v2 offset1:1
	s_add_i32 s43, s42, s39
	s_lshl_b32 s43, s43, 3
	v_mov_b32_e32 v6, s43
	ds_read2_b64 v[6:9], v6 offset1:1
	s_add_i32 s43, s42, s38
	s_lshl_b32 s43, s43, 3
	s_waitcnt lgkmcnt(1)
	v_fma_f64 v[4:5], -v[34:35], v[4:5], v[10:11]
	v_mov_b32_e32 v10, s43
	s_add_i32 s43, s42, s37
	s_lshl_b32 s43, s43, 3
	v_mov_b32_e32 v14, s43
	s_add_i32 s43, s42, s36
	s_lshl_b32 s43, s43, 3
	;; [unrolled: 3-line block ×4, first 2 shown]
	s_waitcnt lgkmcnt(0)
	v_fma_f64 v[4:5], -v[36:37], v[8:9], v[4:5]
	v_mov_b32_e32 v8, s43
	s_add_i32 s43, s42, s33
	ds_write_b64 v74, v[72:73] offset:4608
	s_lshl_b32 s43, s43, 3
	ds_read2_b64 v[10:13], v10 offset1:1
	ds_read2_b64 v[14:17], v14 offset1:1
	;; [unrolled: 1-line block ×5, first 2 shown]
	v_mov_b32_e32 v8, s43
	s_add_i32 s43, s42, s29
	s_lshl_b32 s43, s43, 3
	ds_read2_b64 v[84:87], v8 offset1:1
	v_mov_b32_e32 v8, s43
	s_add_i32 s43, s42, s28
	s_lshl_b32 s43, s43, 3
	s_waitcnt lgkmcnt(5)
	v_fma_f64 v[4:5], -v[38:39], v[12:13], v[4:5]
	v_mov_b32_e32 v9, s43
	s_add_i32 s43, s42, s27
	s_waitcnt lgkmcnt(4)
	v_fma_f64 v[4:5], -v[40:41], v[16:17], v[4:5]
	s_lshl_b32 s43, s43, 3
	s_waitcnt lgkmcnt(3)
	v_fma_f64 v[4:5], -v[42:43], v[20:21], v[4:5]
	ds_read2_b64 v[88:91], v8 offset1:1
	ds_read2_b64 v[92:95], v9 offset1:1
	v_mov_b32_e32 v8, s43
	s_add_i32 s43, s42, s26
	s_waitcnt lgkmcnt(4)
	v_fma_f64 v[4:5], -v[44:45], v[24:25], v[4:5]
	s_lshl_b32 s43, s43, 3
	s_waitcnt lgkmcnt(3)
	v_fma_f64 v[4:5], -v[46:47], v[82:83], v[4:5]
	v_mov_b32_e32 v9, s43
	ds_read2_b64 v[96:99], v8 offset1:1
	ds_read2_b64 v[100:103], v9 offset1:1
	s_waitcnt lgkmcnt(4)
	v_fma_f64 v[4:5], -v[48:49], v[86:87], v[4:5]
	s_add_i32 s43, s42, s25
	s_waitcnt lgkmcnt(3)
	v_fma_f64 v[4:5], -v[50:51], v[90:91], v[4:5]
	s_lshl_b32 s43, s43, 3
	s_waitcnt lgkmcnt(2)
	v_fma_f64 v[4:5], -v[52:53], v[94:95], v[4:5]
	v_mov_b32_e32 v8, s43
	s_add_i32 s43, s42, s21
	s_waitcnt lgkmcnt(1)
	v_fma_f64 v[4:5], -v[54:55], v[98:99], v[4:5]
	s_lshl_b32 s43, s43, 3
	s_waitcnt lgkmcnt(0)
	v_fma_f64 v[4:5], -v[56:57], v[102:103], v[4:5]
	ds_read2_b64 v[102:105], v8 offset1:1
	v_mov_b32_e32 v8, s43
	s_add_i32 s43, s42, s20
	s_lshl_b32 s43, s43, 3
	ds_read2_b64 v[106:109], v8 offset1:1
	v_mov_b32_e32 v8, s43
	s_add_i32 s43, s42, s19
	v_fma_f64 v[2:3], -v[34:35], v[2:3], v[28:29]
	s_lshl_b32 s43, s43, 3
	v_fma_f64 v[2:3], -v[36:37], v[6:7], v[2:3]
	v_mov_b32_e32 v9, s43
	s_add_i32 s43, s42, s18
	v_fma_f64 v[2:3], -v[38:39], v[10:11], v[2:3]
	s_lshl_b32 s43, s43, 3
	v_fma_f64 v[2:3], -v[40:41], v[14:15], v[2:3]
	ds_read2_b64 v[110:113], v8 offset1:1
	ds_read2_b64 v[114:117], v9 offset1:1
	v_mov_b32_e32 v8, s43
	s_add_i32 s43, s42, s17
	v_fma_f64 v[2:3], -v[42:43], v[18:19], v[2:3]
	s_lshl_b32 s43, s43, 3
	v_fma_f64 v[2:3], -v[44:45], v[22:23], v[2:3]
	s_waitcnt lgkmcnt(3)
	v_fma_f64 v[4:5], -v[58:59], v[104:105], v[4:5]
	v_mov_b32_e32 v9, s43
	ds_read2_b64 v[118:121], v8 offset1:1
	ds_read2_b64 v[122:125], v9 offset1:1
	v_fma_f64 v[2:3], -v[46:47], v[80:81], v[2:3]
	s_waitcnt lgkmcnt(4)
	v_fma_f64 v[4:5], -v[60:61], v[108:109], v[4:5]
	s_add_i32 s43, s42, s16
	v_fma_f64 v[2:3], -v[48:49], v[84:85], v[2:3]
	s_waitcnt lgkmcnt(3)
	v_fma_f64 v[4:5], -v[62:63], v[112:113], v[4:5]
	s_lshl_b32 s43, s43, 3
	v_fma_f64 v[2:3], -v[50:51], v[88:89], v[2:3]
	s_waitcnt lgkmcnt(2)
	v_fma_f64 v[4:5], -v[64:65], v[116:117], v[4:5]
	v_mov_b32_e32 v8, s43
	s_add_i32 s43, s42, s13
	v_fma_f64 v[2:3], -v[52:53], v[92:93], v[2:3]
	s_waitcnt lgkmcnt(1)
	v_fma_f64 v[4:5], -v[66:67], v[120:121], v[4:5]
	s_lshl_b32 s43, s43, 3
	s_add_i32 s42, s42, s12
	v_fma_f64 v[2:3], -v[54:55], v[96:97], v[2:3]
	s_waitcnt lgkmcnt(0)
	v_fma_f64 v[4:5], -v[68:69], v[124:125], v[4:5]
	ds_read2_b64 v[124:127], v8 offset1:1
	v_mov_b32_e32 v8, s43
	s_lshl_b32 s42, s42, 3
	v_fma_f64 v[2:3], -v[56:57], v[100:101], v[2:3]
	ds_read2_b64 v[128:131], v8 offset1:1
	v_mov_b32_e32 v8, s42
	v_fma_f64 v[2:3], -v[58:59], v[102:103], v[2:3]
	ds_read2_b64 v[132:135], v8 offset1:1
	v_fma_f64 v[2:3], -v[60:61], v[106:107], v[2:3]
	v_fma_f64 v[2:3], -v[62:63], v[110:111], v[2:3]
	s_add_i32 s42, s41, 0xffffeed0
	v_fma_f64 v[2:3], -v[64:65], v[114:115], v[2:3]
	s_waitcnt lgkmcnt(2)
	v_fma_f64 v[4:5], -v[70:71], v[126:127], v[4:5]
	v_mov_b32_e32 v8, s42
	v_fma_f64 v[2:3], -v[66:67], v[118:119], v[2:3]
	s_sub_i32 s42, s30, 24
	s_waitcnt lgkmcnt(1)
	v_fma_f64 v[4:5], -v[72:73], v[130:131], v[4:5]
	v_fma_f64 v[2:3], -v[68:69], v[122:123], v[2:3]
	s_add_i32 s40, s42, s40
	s_add_i32 s39, s42, s39
	s_waitcnt lgkmcnt(0)
	v_mul_f64 v[74:75], v[134:135], v[4:5]
	v_fma_f64 v[2:3], -v[70:71], v[124:125], v[2:3]
	s_lshl_b32 s40, s40, 3
	s_lshl_b32 s39, s39, 3
	ds_write_b64 v76, v[74:75] offset:4608
	v_fma_f64 v[10:11], -v[72:73], v[128:129], v[2:3]
	v_mov_b32_e32 v2, s40
	v_mov_b32_e32 v6, s39
	ds_read_b64 v[12:13], v8
	ds_read2_b64 v[2:5], v2 offset1:1
	ds_read2_b64 v[6:9], v6 offset1:1
	s_add_i32 s38, s42, s38
	s_lshl_b32 s38, s38, 3
	v_fma_f64 v[10:11], -v[74:75], v[132:133], v[10:11]
	s_waitcnt lgkmcnt(1)
	v_fma_f64 v[4:5], -v[34:35], v[4:5], v[26:27]
	s_waitcnt lgkmcnt(0)
	v_fma_f64 v[4:5], -v[36:37], v[8:9], v[4:5]
	v_mov_b32_e32 v8, s38
	v_mul_f64 v[76:77], v[12:13], v[10:11]
	ds_read2_b64 v[8:11], v8 offset1:1
	s_add_i32 s37, s42, s37
	s_lshl_b32 s37, s37, 3
	v_mov_b32_e32 v12, s37
	ds_read2_b64 v[12:15], v12 offset1:1
	s_add_i32 s36, s42, s36
	s_lshl_b32 s36, s36, 3
	s_add_i32 s35, s42, s35
	ds_write_b64 v79, v[76:77] offset:4608
	s_waitcnt lgkmcnt(2)
	v_fma_f64 v[4:5], -v[38:39], v[10:11], v[4:5]
	v_mov_b32_e32 v10, s36
	s_lshl_b32 s35, s35, 3
	s_add_i32 s34, s42, s34
	v_mov_b32_e32 v11, s35
	ds_read2_b64 v[16:19], v10 offset1:1
	ds_read2_b64 v[20:23], v11 offset1:1
	s_lshl_b32 s34, s34, 3
	s_add_i32 s33, s42, s33
	s_add_i32 s29, s42, s29
	v_mov_b32_e32 v10, s34
	s_lshl_b32 s33, s33, 3
	s_lshl_b32 s29, s29, 3
	s_add_i32 s28, s42, s28
	v_mov_b32_e32 v11, s33
	ds_read2_b64 v[24:27], v10 offset1:1
	ds_read2_b64 v[28:31], v11 offset1:1
	v_mov_b32_e32 v10, s29
	s_lshl_b32 s28, s28, 3
	s_waitcnt lgkmcnt(5)
	v_fma_f64 v[4:5], -v[40:41], v[14:15], v[4:5]
	ds_read2_b64 v[80:83], v10 offset1:1
	v_mov_b32_e32 v10, s28
	s_add_i32 s27, s42, s27
	s_waitcnt lgkmcnt(4)
	v_fma_f64 v[4:5], -v[42:43], v[18:19], v[4:5]
	ds_read2_b64 v[84:87], v10 offset1:1
	s_lshl_b32 s27, s27, 3
	s_add_i32 s26, s42, s26
	s_waitcnt lgkmcnt(4)
	v_fma_f64 v[4:5], -v[44:45], v[22:23], v[4:5]
	v_mov_b32_e32 v10, s27
	s_lshl_b32 s26, s26, 3
	s_add_i32 s25, s42, s25
	s_waitcnt lgkmcnt(3)
	v_fma_f64 v[4:5], -v[46:47], v[26:27], v[4:5]
	v_mov_b32_e32 v11, s26
	ds_read2_b64 v[88:91], v10 offset1:1
	ds_read2_b64 v[92:95], v11 offset1:1
	s_lshl_b32 s25, s25, 3
	s_add_i32 s21, s42, s21
	s_waitcnt lgkmcnt(4)
	v_fma_f64 v[4:5], -v[48:49], v[30:31], v[4:5]
	v_mov_b32_e32 v10, s25
	s_lshl_b32 s21, s21, 3
	s_waitcnt lgkmcnt(3)
	v_fma_f64 v[4:5], -v[50:51], v[82:83], v[4:5]
	v_mov_b32_e32 v11, s21
	ds_read2_b64 v[96:99], v10 offset1:1
	ds_read2_b64 v[100:103], v11 offset1:1
	s_waitcnt lgkmcnt(4)
	v_fma_f64 v[4:5], -v[52:53], v[86:87], v[4:5]
	v_fma_f64 v[2:3], -v[34:35], v[2:3], v[32:33]
	s_waitcnt lgkmcnt(3)
	v_fma_f64 v[4:5], -v[54:55], v[90:91], v[4:5]
	s_add_i32 s20, s42, s20
	v_fma_f64 v[2:3], -v[36:37], v[6:7], v[2:3]
	s_waitcnt lgkmcnt(2)
	v_fma_f64 v[4:5], -v[56:57], v[94:95], v[4:5]
	s_lshl_b32 s20, s20, 3
	s_add_i32 s19, s42, s19
	v_fma_f64 v[2:3], -v[38:39], v[8:9], v[2:3]
	s_waitcnt lgkmcnt(1)
	v_fma_f64 v[4:5], -v[58:59], v[98:99], v[4:5]
	v_mov_b32_e32 v10, s20
	s_lshl_b32 s19, s19, 3
	v_fma_f64 v[2:3], -v[40:41], v[12:13], v[2:3]
	s_waitcnt lgkmcnt(0)
	v_fma_f64 v[4:5], -v[60:61], v[102:103], v[4:5]
	ds_read2_b64 v[102:105], v10 offset1:1
	v_mov_b32_e32 v10, s19
	s_add_i32 s18, s42, s18
	v_fma_f64 v[2:3], -v[42:43], v[16:17], v[2:3]
	ds_read2_b64 v[106:109], v10 offset1:1
	s_lshl_b32 s18, s18, 3
	s_add_i32 s17, s42, s17
	v_fma_f64 v[2:3], -v[44:45], v[20:21], v[2:3]
	v_mov_b32_e32 v10, s18
	s_lshl_b32 s17, s17, 3
	s_add_i32 s16, s42, s16
	v_fma_f64 v[2:3], -v[46:47], v[24:25], v[2:3]
	v_mov_b32_e32 v11, s17
	ds_read2_b64 v[110:113], v10 offset1:1
	ds_read2_b64 v[114:117], v11 offset1:1
	s_lshl_b32 s16, s16, 3
	s_add_i32 s13, s42, s13
	v_fma_f64 v[2:3], -v[48:49], v[28:29], v[2:3]
	v_mov_b32_e32 v10, s16
	s_lshl_b32 s13, s13, 3
	v_fma_f64 v[2:3], -v[50:51], v[80:81], v[2:3]
	s_waitcnt lgkmcnt(3)
	v_fma_f64 v[4:5], -v[62:63], v[104:105], v[4:5]
	v_mov_b32_e32 v11, s13
	ds_read2_b64 v[118:121], v10 offset1:1
	ds_read2_b64 v[122:125], v11 offset1:1
	v_fma_f64 v[2:3], -v[52:53], v[84:85], v[2:3]
	s_waitcnt lgkmcnt(4)
	v_fma_f64 v[4:5], -v[64:65], v[108:109], v[4:5]
	v_fma_f64 v[2:3], -v[54:55], v[88:89], v[2:3]
	s_waitcnt lgkmcnt(3)
	v_fma_f64 v[4:5], -v[66:67], v[112:113], v[4:5]
	s_add_i32 s12, s42, s12
	v_fma_f64 v[2:3], -v[56:57], v[92:93], v[2:3]
	s_waitcnt lgkmcnt(2)
	v_fma_f64 v[4:5], -v[68:69], v[116:117], v[4:5]
	s_lshl_b32 s12, s12, 3
	s_add_i32 s9, s42, s9
	v_fma_f64 v[2:3], -v[58:59], v[96:97], v[2:3]
	s_waitcnt lgkmcnt(1)
	v_fma_f64 v[4:5], -v[70:71], v[120:121], v[4:5]
	v_mov_b32_e32 v10, s12
	s_lshl_b32 s9, s9, 3
	s_add_i32 s42, s42, s8
	v_fma_f64 v[2:3], -v[60:61], v[100:101], v[2:3]
	s_waitcnt lgkmcnt(0)
	v_fma_f64 v[4:5], -v[72:73], v[124:125], v[4:5]
	ds_read2_b64 v[124:127], v10 offset1:1
	v_mov_b32_e32 v10, s9
	s_lshl_b32 s8, s42, 3
	v_fma_f64 v[2:3], -v[62:63], v[102:103], v[2:3]
	ds_read2_b64 v[128:131], v10 offset1:1
	v_mov_b32_e32 v10, s8
	v_fma_f64 v[2:3], -v[64:65], v[106:107], v[2:3]
	ds_read2_b64 v[132:135], v10 offset1:1
	s_add_i32 s8, s41, 0xffffed40
	v_fma_f64 v[2:3], -v[66:67], v[110:111], v[2:3]
	v_mov_b32_e32 v10, s8
	v_fma_f64 v[2:3], -v[68:69], v[114:115], v[2:3]
	ds_read_b64 v[10:11], v10
	v_fma_f64 v[2:3], -v[70:71], v[118:119], v[2:3]
	s_waitcnt lgkmcnt(3)
	v_fma_f64 v[4:5], -v[74:75], v[126:127], v[4:5]
	v_fma_f64 v[2:3], -v[72:73], v[122:123], v[2:3]
	s_waitcnt lgkmcnt(2)
	v_fma_f64 v[4:5], -v[76:77], v[130:131], v[4:5]
	v_fma_f64 v[2:3], -v[74:75], v[124:125], v[2:3]
	s_waitcnt lgkmcnt(1)
	v_mul_f64 v[4:5], v[134:135], v[4:5]
	v_fma_f64 v[2:3], -v[76:77], v[128:129], v[2:3]
	v_fma_f64 v[2:3], -v[4:5], v[132:133], v[2:3]
	s_waitcnt lgkmcnt(0)
	v_mul_f64 v[2:3], v[10:11], v[2:3]
	s_sub_i32 s8, s30, 25
	ds_write_b64 v78, v[4:5] offset:4608
	ds_write_b64 v1, v[2:3] offset:4608
.LBB92_41:
	s_cmp_gt_i32 s8, -1
	s_cbranch_scc0 .LBB92_60
; %bb.42:
	s_cmp_lt_u32 s8, 19
	s_cbranch_scc1 .LBB92_47
; %bb.43:
	s_mul_i32 s9, s8, 24
	v_add_lshl_u32 v1, s9, v0, 3
	s_sub_i32 s12, s9, 24
	v_add_u32_e32 v2, 0xc00, v1
	v_add_lshl_u32 v42, s12, v0, 3
	ds_read_b64 v[38:39], v1 offset:4608
	ds_read_b64 v[40:41], v42 offset:4608
	ds_read2_b64 v[34:37], v2 offset0:120 offset1:144
	v_add_u32_e32 v2, 0x800, v1
	ds_read2_b64 v[30:33], v2 offset0:200 offset1:224
	ds_read2_b64 v[26:29], v2 offset0:152 offset1:176
	;; [unrolled: 1-line block ×8, first 2 shown]
	s_cmp_le_i32 s31, s8
	s_cbranch_scc1 .LBB92_46
; %bb.44:
	s_mul_i32 s16, s30, 0xc0
	s_lshl_b32 s13, s8, 3
	s_add_i32 s13, s16, s13
	v_lshl_add_u32 v43, v0, 3, s16
	s_addk_i32 s13, 0xfea8
	v_add_u32_e32 v43, 0x1140, v43
	s_mov_b32 s16, s31
.LBB92_45:                              ; =>This Inner Loop Header: Depth=1
	v_mov_b32_e32 v80, s13
	ds_read_b64 v[84:85], v43
	ds_read2_b64 v[44:47], v80 offset0:18 offset1:19
	ds_read2_b64 v[48:51], v80 offset0:16 offset1:17
	;; [unrolled: 1-line block ×9, first 2 shown]
	ds_read2_b64 v[80:83], v80 offset1:1
	s_add_i32 s16, s16, -1
	s_addk_i32 s13, 0xff40
	v_add_u32_e32 v43, 0xffffff40, v43
	s_cmp_gt_i32 s16, s8
	s_waitcnt lgkmcnt(9)
	v_fma_f64 v[38:39], -v[84:85], v[46:47], v[38:39]
	v_fma_f64 v[40:41], -v[84:85], v[44:45], v[40:41]
	s_waitcnt lgkmcnt(8)
	v_fma_f64 v[36:37], -v[84:85], v[50:51], v[36:37]
	v_fma_f64 v[34:35], -v[84:85], v[48:49], v[34:35]
	;; [unrolled: 3-line block ×10, first 2 shown]
	s_cbranch_scc1 .LBB92_45
.LBB92_46:
	s_mul_i32 s13, s8, 0xc8
	s_add_i32 s16, s13, -8
	v_add_u32_e32 v43, 0x1200, v1
	v_add_u32_e32 v1, 0x1200, v42
	v_mov_b32_e32 v42, s16
	ds_read2_b64 v[44:47], v42 offset1:1
	s_add_i32 s16, s13, 0xffffff38
	v_mov_b32_e32 v42, s16
	ds_read_b64 v[48:49], v42
	s_add_i32 s17, s8, -3
	s_waitcnt lgkmcnt(1)
	v_mul_f64 v[38:39], v[46:47], v[38:39]
	v_fma_f64 v[40:41], -v[38:39], v[44:45], v[40:41]
	s_add_i32 s16, s17, s9
	s_waitcnt lgkmcnt(0)
	v_mul_f64 v[40:41], v[48:49], v[40:41]
	s_lshl_b32 s16, s16, 3
	ds_write_b64 v1, v[40:41]
	v_mov_b32_e32 v1, s16
	s_add_i32 s16, s17, s12
	s_lshl_b32 s16, s16, 3
	ds_write_b64 v43, v[38:39]
	ds_read2_b64 v[42:45], v1 offset1:1
	v_mov_b32_e32 v1, s16
	s_sub_i32 s16, s12, 24
	s_add_i32 s17, s17, s16
	s_lshl_b32 s17, s17, 3
	ds_read2_b64 v[46:49], v1 offset1:1
	v_mov_b32_e32 v1, s17
	ds_read2_b64 v[50:53], v1 offset1:1
	s_waitcnt lgkmcnt(2)
	v_fma_f64 v[36:37], -v[38:39], v[44:45], v[36:37]
	s_add_i32 s17, s13, 0xfffffda8
	s_add_i32 s19, s8, -5
	s_waitcnt lgkmcnt(1)
	v_fma_f64 v[36:37], -v[40:41], v[48:49], v[36:37]
	v_mov_b32_e32 v1, s17
	s_add_i32 s18, s19, s9
	ds_read_b64 v[54:55], v1
	s_waitcnt lgkmcnt(1)
	v_mul_f64 v[36:37], v[52:53], v[36:37]
	v_add_lshl_u32 v1, s16, v0, 3
	s_lshl_b32 s18, s18, 3
	ds_write_b64 v1, v[36:37] offset:4608
	v_mov_b32_e32 v1, s18
	s_add_i32 s18, s19, s12
	v_fma_f64 v[34:35], -v[38:39], v[42:43], v[34:35]
	s_lshl_b32 s18, s18, 3
	v_fma_f64 v[34:35], -v[40:41], v[46:47], v[34:35]
	v_mov_b32_e32 v46, s18
	ds_read2_b64 v[42:45], v1 offset1:1
	ds_read2_b64 v[46:49], v46 offset1:1
	v_fma_f64 v[34:35], -v[36:37], v[50:51], v[34:35]
	s_sub_i32 s17, s12, 48
	s_add_i32 s18, s19, s16
	s_waitcnt lgkmcnt(3)
	v_mul_f64 v[34:35], v[54:55], v[34:35]
	v_add_lshl_u32 v1, s17, v0, 3
	s_lshl_b32 s18, s18, 3
	ds_write_b64 v1, v[34:35] offset:4608
	v_mov_b32_e32 v1, s18
	s_add_i32 s18, s19, s17
	s_waitcnt lgkmcnt(2)
	v_fma_f64 v[32:33], -v[38:39], v[44:45], v[32:33]
	s_lshl_b32 s18, s18, 3
	s_waitcnt lgkmcnt(1)
	v_fma_f64 v[32:33], -v[40:41], v[48:49], v[32:33]
	ds_read2_b64 v[48:51], v1 offset1:1
	v_mov_b32_e32 v1, s18
	s_add_i32 s18, s12, 0xffffffb8
	s_add_i32 s19, s19, s18
	s_lshl_b32 s19, s19, 3
	ds_read2_b64 v[52:55], v1 offset1:1
	v_mov_b32_e32 v1, s19
	ds_read2_b64 v[56:59], v1 offset1:1
	s_waitcnt lgkmcnt(2)
	v_fma_f64 v[32:33], -v[36:37], v[50:51], v[32:33]
	s_add_i32 s19, s13, 0xfffffc18
	s_add_i32 s21, s8, -7
	s_waitcnt lgkmcnt(1)
	v_fma_f64 v[32:33], -v[34:35], v[54:55], v[32:33]
	v_mov_b32_e32 v1, s19
	s_add_i32 s20, s21, s9
	ds_read_b64 v[50:51], v1
	s_waitcnt lgkmcnt(1)
	v_mul_f64 v[32:33], v[58:59], v[32:33]
	v_add_lshl_u32 v1, s18, v0, 3
	s_lshl_b32 s20, s20, 3
	ds_write_b64 v1, v[32:33] offset:4608
	v_fma_f64 v[30:31], -v[38:39], v[42:43], v[30:31]
	v_mov_b32_e32 v1, s20
	s_add_i32 s20, s21, s12
	v_fma_f64 v[30:31], -v[40:41], v[46:47], v[30:31]
	s_lshl_b32 s20, s20, 3
	v_fma_f64 v[30:31], -v[36:37], v[48:49], v[30:31]
	v_mov_b32_e32 v46, s20
	v_fma_f64 v[30:31], -v[34:35], v[52:53], v[30:31]
	ds_read2_b64 v[42:45], v1 offset1:1
	ds_read2_b64 v[46:49], v46 offset1:1
	v_fma_f64 v[30:31], -v[32:33], v[56:57], v[30:31]
	s_add_i32 s19, s12, 0xffffffa0
	s_add_i32 s20, s21, s16
	s_waitcnt lgkmcnt(3)
	v_mul_f64 v[30:31], v[50:51], v[30:31]
	v_add_lshl_u32 v1, s19, v0, 3
	s_lshl_b32 s20, s20, 3
	ds_write_b64 v1, v[30:31] offset:4608
	v_mov_b32_e32 v1, s20
	s_add_i32 s20, s21, s17
	s_waitcnt lgkmcnt(2)
	v_fma_f64 v[28:29], -v[38:39], v[44:45], v[28:29]
	s_lshl_b32 s20, s20, 3
	s_waitcnt lgkmcnt(1)
	v_fma_f64 v[28:29], -v[40:41], v[48:49], v[28:29]
	ds_read2_b64 v[48:51], v1 offset1:1
	v_mov_b32_e32 v1, s20
	s_add_i32 s20, s21, s18
	s_lshl_b32 s20, s20, 3
	ds_read2_b64 v[52:55], v1 offset1:1
	v_mov_b32_e32 v1, s20
	s_add_i32 s20, s21, s19
	s_lshl_b32 s20, s20, 3
	v_mov_b32_e32 v44, s20
	s_add_i32 s20, s13, 0xfffffb50
	ds_read2_b64 v[56:59], v1 offset1:1
	ds_read2_b64 v[60:63], v44 offset1:1
	v_mov_b32_e32 v1, s20
	ds_read_b64 v[44:45], v1
	s_waitcnt lgkmcnt(4)
	v_fma_f64 v[28:29], -v[36:37], v[50:51], v[28:29]
	s_waitcnt lgkmcnt(3)
	v_fma_f64 v[28:29], -v[34:35], v[54:55], v[28:29]
	;; [unrolled: 2-line block ×3, first 2 shown]
	s_add_i32 s20, s12, 0xffffff88
	s_waitcnt lgkmcnt(1)
	v_fma_f64 v[28:29], -v[30:31], v[62:63], v[28:29]
	s_add_i32 s21, s21, s20
	s_waitcnt lgkmcnt(0)
	v_mul_f64 v[28:29], v[44:45], v[28:29]
	v_add_lshl_u32 v1, s20, v0, 3
	s_lshl_b32 s21, s21, 3
	ds_write_b64 v1, v[28:29] offset:4608
	v_fma_f64 v[26:27], -v[38:39], v[42:43], v[26:27]
	v_mov_b32_e32 v1, s21
	v_fma_f64 v[26:27], -v[40:41], v[46:47], v[26:27]
	ds_read_b64 v[42:43], v1
	v_fma_f64 v[26:27], -v[36:37], v[48:49], v[26:27]
	v_fma_f64 v[26:27], -v[34:35], v[52:53], v[26:27]
	s_add_i32 s26, s8, -9
	s_add_i32 s21, s13, 0xfffffa88
	v_fma_f64 v[26:27], -v[32:33], v[56:57], v[26:27]
	s_add_i32 s25, s26, s9
	v_mov_b32_e32 v1, s21
	v_fma_f64 v[26:27], -v[30:31], v[60:61], v[26:27]
	s_lshl_b32 s25, s25, 3
	ds_read_b64 v[44:45], v1
	s_waitcnt lgkmcnt(1)
	v_fma_f64 v[26:27], -v[28:29], v[42:43], v[26:27]
	v_mov_b32_e32 v42, s25
	s_add_i32 s25, s26, s12
	s_lshl_b32 s25, s25, 3
	v_mov_b32_e32 v46, s25
	s_add_i32 s25, s26, s16
	s_lshl_b32 s25, s25, 3
	v_mov_b32_e32 v50, s25
	s_add_i32 s25, s26, s17
	s_waitcnt lgkmcnt(0)
	v_mul_f64 v[26:27], v[44:45], v[26:27]
	ds_read2_b64 v[42:45], v42 offset1:1
	ds_read2_b64 v[46:49], v46 offset1:1
	s_lshl_b32 s25, s25, 3
	v_mov_b32_e32 v54, s25
	ds_read2_b64 v[50:53], v50 offset1:1
	ds_read2_b64 v[54:57], v54 offset1:1
	s_add_i32 s21, s12, 0xffffff70
	s_add_i32 s25, s26, s18
	v_add_lshl_u32 v1, s21, v0, 3
	s_waitcnt lgkmcnt(3)
	v_fma_f64 v[24:25], -v[38:39], v[44:45], v[24:25]
	s_lshl_b32 s25, s25, 3
	ds_write_b64 v1, v[26:27] offset:4608
	s_waitcnt lgkmcnt(3)
	v_fma_f64 v[24:25], -v[40:41], v[48:49], v[24:25]
	v_mov_b32_e32 v1, s25
	s_add_i32 s25, s26, s19
	s_waitcnt lgkmcnt(2)
	v_fma_f64 v[24:25], -v[36:37], v[52:53], v[24:25]
	s_lshl_b32 s25, s25, 3
	s_waitcnt lgkmcnt(1)
	v_fma_f64 v[24:25], -v[34:35], v[56:57], v[24:25]
	ds_read2_b64 v[56:59], v1 offset1:1
	v_mov_b32_e32 v1, s25
	s_add_i32 s25, s26, s20
	s_lshl_b32 s25, s25, 3
	ds_read2_b64 v[60:63], v1 offset1:1
	v_mov_b32_e32 v1, s25
	s_add_i32 s25, s26, s21
	s_lshl_b32 s25, s25, 3
	v_mov_b32_e32 v44, s25
	s_add_i32 s25, s13, 0xfffff9c0
	ds_read2_b64 v[64:67], v1 offset1:1
	ds_read2_b64 v[68:71], v44 offset1:1
	v_mov_b32_e32 v1, s25
	ds_read_b64 v[44:45], v1
	s_waitcnt lgkmcnt(4)
	v_fma_f64 v[24:25], -v[32:33], v[58:59], v[24:25]
	s_waitcnt lgkmcnt(3)
	v_fma_f64 v[24:25], -v[30:31], v[62:63], v[24:25]
	;; [unrolled: 2-line block ×3, first 2 shown]
	s_add_i32 s25, s12, 0xffffff58
	s_waitcnt lgkmcnt(1)
	v_fma_f64 v[24:25], -v[26:27], v[70:71], v[24:25]
	v_fma_f64 v[22:23], -v[38:39], v[42:43], v[22:23]
	s_add_i32 s26, s26, s25
	s_waitcnt lgkmcnt(0)
	v_mul_f64 v[24:25], v[44:45], v[24:25]
	v_add_lshl_u32 v1, s25, v0, 3
	v_fma_f64 v[22:23], -v[40:41], v[46:47], v[22:23]
	s_lshl_b32 s26, s26, 3
	ds_write_b64 v1, v[24:25] offset:4608
	v_fma_f64 v[22:23], -v[36:37], v[50:51], v[22:23]
	v_mov_b32_e32 v1, s26
	v_fma_f64 v[22:23], -v[34:35], v[54:55], v[22:23]
	ds_read_b64 v[42:43], v1
	v_fma_f64 v[22:23], -v[32:33], v[56:57], v[22:23]
	v_fma_f64 v[22:23], -v[30:31], v[60:61], v[22:23]
	s_add_i32 s27, s13, 0xfffff8f8
	s_add_i32 s28, s8, -11
	v_fma_f64 v[22:23], -v[28:29], v[64:65], v[22:23]
	v_mov_b32_e32 v1, s27
	s_add_i32 s27, s28, s9
	v_fma_f64 v[22:23], -v[26:27], v[68:69], v[22:23]
	s_lshl_b32 s27, s27, 3
	s_waitcnt lgkmcnt(0)
	v_fma_f64 v[22:23], -v[24:25], v[42:43], v[22:23]
	ds_read_b64 v[42:43], v1
	v_mov_b32_e32 v1, s27
	s_add_i32 s27, s28, s12
	s_lshl_b32 s27, s27, 3
	v_mov_b32_e32 v48, s27
	ds_read2_b64 v[44:47], v1 offset1:1
	ds_read2_b64 v[48:51], v48 offset1:1
	s_add_i32 s26, s12, 0xffffff40
	s_add_i32 s27, s28, s16
	s_waitcnt lgkmcnt(2)
	v_mul_f64 v[22:23], v[42:43], v[22:23]
	v_add_lshl_u32 v1, s26, v0, 3
	s_lshl_b32 s27, s27, 3
	ds_write_b64 v1, v[22:23] offset:4608
	v_mov_b32_e32 v1, s27
	s_add_i32 s27, s28, s17
	s_waitcnt lgkmcnt(2)
	v_fma_f64 v[20:21], -v[38:39], v[46:47], v[20:21]
	s_lshl_b32 s27, s27, 3
	s_waitcnt lgkmcnt(1)
	v_fma_f64 v[20:21], -v[40:41], v[50:51], v[20:21]
	ds_read2_b64 v[50:53], v1 offset1:1
	v_mov_b32_e32 v1, s27
	s_add_i32 s27, s28, s18
	s_lshl_b32 s27, s27, 3
	ds_read2_b64 v[54:57], v1 offset1:1
	v_mov_b32_e32 v1, s27
	s_add_i32 s27, s28, s19
	s_lshl_b32 s27, s27, 3
	v_mov_b32_e32 v42, s27
	s_add_i32 s27, s28, s20
	s_lshl_b32 s27, s27, 3
	ds_read2_b64 v[58:61], v1 offset1:1
	ds_read2_b64 v[62:65], v42 offset1:1
	v_mov_b32_e32 v1, s27
	s_add_i32 s27, s28, s21
	s_lshl_b32 s27, s27, 3
	s_waitcnt lgkmcnt(3)
	v_fma_f64 v[20:21], -v[36:37], v[52:53], v[20:21]
	v_mov_b32_e32 v42, s27
	ds_read2_b64 v[66:69], v1 offset1:1
	ds_read2_b64 v[70:73], v42 offset1:1
	s_waitcnt lgkmcnt(4)
	v_fma_f64 v[20:21], -v[34:35], v[56:57], v[20:21]
	s_add_i32 s27, s28, s25
	s_waitcnt lgkmcnt(3)
	v_fma_f64 v[20:21], -v[32:33], v[60:61], v[20:21]
	s_lshl_b32 s27, s27, 3
	s_waitcnt lgkmcnt(2)
	v_fma_f64 v[20:21], -v[30:31], v[64:65], v[20:21]
	v_mov_b32_e32 v1, s27
	s_add_i32 s27, s28, s26
	s_waitcnt lgkmcnt(1)
	v_fma_f64 v[20:21], -v[28:29], v[68:69], v[20:21]
	s_lshl_b32 s27, s27, 3
	s_waitcnt lgkmcnt(0)
	v_fma_f64 v[20:21], -v[26:27], v[72:73], v[20:21]
	ds_read2_b64 v[72:75], v1 offset1:1
	v_mov_b32_e32 v1, s27
	s_add_i32 s27, s9, 0xffffff10
	v_fma_f64 v[18:19], -v[38:39], v[44:45], v[18:19]
	s_add_i32 s28, s28, s27
	v_fma_f64 v[18:19], -v[40:41], v[48:49], v[18:19]
	s_lshl_b32 s28, s28, 3
	v_fma_f64 v[18:19], -v[36:37], v[50:51], v[18:19]
	ds_read2_b64 v[76:79], v1 offset1:1
	v_mov_b32_e32 v1, s28
	v_fma_f64 v[18:19], -v[34:35], v[54:55], v[18:19]
	ds_read2_b64 v[80:83], v1 offset1:1
	s_add_i32 s28, s13, 0xfffff768
	v_fma_f64 v[18:19], -v[32:33], v[58:59], v[18:19]
	v_mov_b32_e32 v1, s28
	v_fma_f64 v[18:19], -v[30:31], v[62:63], v[18:19]
	ds_read_b64 v[46:47], v1
	v_fma_f64 v[18:19], -v[28:29], v[66:67], v[18:19]
	s_waitcnt lgkmcnt(3)
	v_fma_f64 v[20:21], -v[24:25], v[74:75], v[20:21]
	v_fma_f64 v[18:19], -v[26:27], v[70:71], v[18:19]
	s_waitcnt lgkmcnt(2)
	v_fma_f64 v[20:21], -v[22:23], v[78:79], v[20:21]
	v_fma_f64 v[18:19], -v[24:25], v[72:73], v[18:19]
	s_add_i32 s33, s8, -13
	s_waitcnt lgkmcnt(1)
	v_mul_f64 v[42:43], v[82:83], v[20:21]
	v_fma_f64 v[18:19], -v[22:23], v[76:77], v[18:19]
	s_add_i32 s29, s33, s9
	v_fma_f64 v[18:19], -v[42:43], v[80:81], v[18:19]
	s_lshl_b32 s29, s29, 3
	s_waitcnt lgkmcnt(0)
	v_mul_f64 v[44:45], v[46:47], v[18:19]
	v_mov_b32_e32 v18, s29
	s_add_i32 s29, s33, s12
	s_lshl_b32 s29, s29, 3
	v_add_lshl_u32 v1, s27, v0, 3
	v_mov_b32_e32 v46, s29
	s_add_i32 s29, s33, s16
	ds_write_b64 v1, v[42:43] offset:4608
	s_lshl_b32 s29, s29, 3
	ds_read2_b64 v[18:21], v18 offset1:1
	ds_read2_b64 v[48:51], v46 offset1:1
	v_mov_b32_e32 v46, s29
	s_add_i32 s29, s33, s17
	s_lshl_b32 s29, s29, 3
	v_mov_b32_e32 v47, s29
	ds_read2_b64 v[52:55], v46 offset1:1
	ds_read2_b64 v[56:59], v47 offset1:1
	s_add_i32 s28, s9, 0xfffffef8
	s_add_i32 s29, s33, s18
	v_add_lshl_u32 v1, s28, v0, 3
	s_waitcnt lgkmcnt(3)
	v_fma_f64 v[16:17], -v[38:39], v[20:21], v[16:17]
	s_lshl_b32 s29, s29, 3
	ds_write_b64 v1, v[44:45] offset:4608
	s_waitcnt lgkmcnt(3)
	v_fma_f64 v[16:17], -v[40:41], v[50:51], v[16:17]
	v_mov_b32_e32 v1, s29
	s_add_i32 s29, s33, s19
	s_waitcnt lgkmcnt(2)
	v_fma_f64 v[16:17], -v[36:37], v[54:55], v[16:17]
	s_lshl_b32 s29, s29, 3
	s_waitcnt lgkmcnt(1)
	v_fma_f64 v[16:17], -v[34:35], v[58:59], v[16:17]
	ds_read2_b64 v[58:61], v1 offset1:1
	v_mov_b32_e32 v1, s29
	s_add_i32 s29, s33, s20
	s_lshl_b32 s29, s29, 3
	ds_read2_b64 v[62:65], v1 offset1:1
	v_mov_b32_e32 v1, s29
	s_add_i32 s29, s33, s21
	s_lshl_b32 s29, s29, 3
	v_mov_b32_e32 v20, s29
	s_add_i32 s29, s33, s25
	s_lshl_b32 s29, s29, 3
	ds_read2_b64 v[66:69], v1 offset1:1
	ds_read2_b64 v[70:73], v20 offset1:1
	v_mov_b32_e32 v1, s29
	s_add_i32 s29, s33, s26
	s_lshl_b32 s29, s29, 3
	s_waitcnt lgkmcnt(3)
	v_fma_f64 v[16:17], -v[32:33], v[60:61], v[16:17]
	v_mov_b32_e32 v20, s29
	ds_read2_b64 v[74:77], v1 offset1:1
	ds_read2_b64 v[78:81], v20 offset1:1
	s_waitcnt lgkmcnt(4)
	v_fma_f64 v[16:17], -v[30:31], v[64:65], v[16:17]
	s_add_i32 s29, s33, s27
	s_waitcnt lgkmcnt(3)
	v_fma_f64 v[16:17], -v[28:29], v[68:69], v[16:17]
	s_lshl_b32 s29, s29, 3
	s_waitcnt lgkmcnt(2)
	v_fma_f64 v[16:17], -v[26:27], v[72:73], v[16:17]
	v_mov_b32_e32 v1, s29
	s_add_i32 s29, s33, s28
	v_fma_f64 v[14:15], -v[38:39], v[18:19], v[14:15]
	s_waitcnt lgkmcnt(1)
	v_fma_f64 v[16:17], -v[24:25], v[76:77], v[16:17]
	s_lshl_b32 s29, s29, 3
	v_fma_f64 v[14:15], -v[40:41], v[48:49], v[14:15]
	s_waitcnt lgkmcnt(0)
	v_fma_f64 v[16:17], -v[22:23], v[80:81], v[16:17]
	ds_read2_b64 v[80:83], v1 offset1:1
	v_mov_b32_e32 v1, s29
	s_add_i32 s29, s9, 0xfffffee0
	v_fma_f64 v[14:15], -v[36:37], v[52:53], v[14:15]
	s_add_i32 s33, s33, s29
	v_fma_f64 v[14:15], -v[34:35], v[56:57], v[14:15]
	s_lshl_b32 s33, s33, 3
	v_fma_f64 v[14:15], -v[32:33], v[58:59], v[14:15]
	ds_read2_b64 v[84:87], v1 offset1:1
	v_mov_b32_e32 v1, s33
	v_fma_f64 v[14:15], -v[30:31], v[62:63], v[14:15]
	ds_read2_b64 v[88:91], v1 offset1:1
	s_add_i32 s33, s13, 0xfffff5d8
	v_fma_f64 v[14:15], -v[28:29], v[66:67], v[14:15]
	v_mov_b32_e32 v1, s33
	v_fma_f64 v[14:15], -v[26:27], v[70:71], v[14:15]
	ds_read_b64 v[20:21], v1
	v_fma_f64 v[14:15], -v[24:25], v[74:75], v[14:15]
	s_waitcnt lgkmcnt(3)
	v_fma_f64 v[16:17], -v[42:43], v[82:83], v[16:17]
	v_fma_f64 v[14:15], -v[22:23], v[78:79], v[14:15]
	s_waitcnt lgkmcnt(2)
	v_fma_f64 v[16:17], -v[44:45], v[86:87], v[16:17]
	v_fma_f64 v[14:15], -v[42:43], v[80:81], v[14:15]
	s_waitcnt lgkmcnt(1)
	v_mul_f64 v[46:47], v[90:91], v[16:17]
	v_fma_f64 v[14:15], -v[44:45], v[84:85], v[14:15]
	s_add_i32 s35, s8, -15
	v_add_lshl_u32 v1, s29, v0, 3
	v_fma_f64 v[14:15], -v[46:47], v[88:89], v[14:15]
	s_add_i32 s33, s9, 0xfffffec8
	s_add_i32 s34, s35, s9
	ds_write_b64 v1, v[46:47] offset:4608
	s_waitcnt lgkmcnt(1)
	v_mul_f64 v[48:49], v[20:21], v[14:15]
	v_add_lshl_u32 v1, s33, v0, 3
	s_lshl_b32 s34, s34, 3
	ds_write_b64 v1, v[48:49] offset:4608
	v_mov_b32_e32 v1, s34
	s_add_i32 s34, s35, s12
	ds_read2_b64 v[14:17], v1 offset1:1
	s_lshl_b32 s34, s34, 3
	v_mov_b32_e32 v1, s34
	s_add_i32 s34, s35, s16
	s_lshl_b32 s34, s34, 3
	ds_read2_b64 v[18:21], v1 offset1:1
	v_mov_b32_e32 v1, s34
	s_add_i32 s34, s35, s17
	s_lshl_b32 s34, s34, 3
	s_waitcnt lgkmcnt(1)
	v_fma_f64 v[12:13], -v[38:39], v[16:17], v[12:13]
	v_mov_b32_e32 v16, s34
	s_add_i32 s34, s35, s18
	s_lshl_b32 s34, s34, 3
	ds_read2_b64 v[52:55], v1 offset1:1
	ds_read2_b64 v[56:59], v16 offset1:1
	v_mov_b32_e32 v1, s34
	s_add_i32 s34, s35, s19
	s_lshl_b32 s34, s34, 3
	v_mov_b32_e32 v16, s34
	ds_read2_b64 v[60:63], v1 offset1:1
	ds_read2_b64 v[64:67], v16 offset1:1
	s_waitcnt lgkmcnt(4)
	v_fma_f64 v[12:13], -v[40:41], v[20:21], v[12:13]
	s_add_i32 s34, s35, s20
	s_waitcnt lgkmcnt(3)
	v_fma_f64 v[12:13], -v[36:37], v[54:55], v[12:13]
	s_lshl_b32 s34, s34, 3
	s_waitcnt lgkmcnt(2)
	v_fma_f64 v[12:13], -v[34:35], v[58:59], v[12:13]
	v_mov_b32_e32 v1, s34
	s_add_i32 s34, s35, s21
	s_waitcnt lgkmcnt(1)
	v_fma_f64 v[12:13], -v[32:33], v[62:63], v[12:13]
	s_lshl_b32 s34, s34, 3
	s_waitcnt lgkmcnt(0)
	v_fma_f64 v[12:13], -v[30:31], v[66:67], v[12:13]
	ds_read2_b64 v[66:69], v1 offset1:1
	v_mov_b32_e32 v1, s34
	s_add_i32 s34, s35, s25
	s_lshl_b32 s34, s34, 3
	ds_read2_b64 v[70:73], v1 offset1:1
	v_mov_b32_e32 v1, s34
	s_add_i32 s34, s35, s26
	s_lshl_b32 s34, s34, 3
	v_mov_b32_e32 v16, s34
	s_add_i32 s34, s35, s27
	s_lshl_b32 s34, s34, 3
	ds_read2_b64 v[74:77], v1 offset1:1
	ds_read2_b64 v[78:81], v16 offset1:1
	v_mov_b32_e32 v1, s34
	s_add_i32 s34, s35, s28
	s_lshl_b32 s34, s34, 3
	s_waitcnt lgkmcnt(3)
	v_fma_f64 v[12:13], -v[28:29], v[68:69], v[12:13]
	v_mov_b32_e32 v16, s34
	ds_read2_b64 v[82:85], v1 offset1:1
	ds_read2_b64 v[86:89], v16 offset1:1
	s_waitcnt lgkmcnt(4)
	v_fma_f64 v[12:13], -v[26:27], v[72:73], v[12:13]
	s_add_i32 s34, s35, s29
	s_waitcnt lgkmcnt(3)
	v_fma_f64 v[12:13], -v[24:25], v[76:77], v[12:13]
	s_lshl_b32 s34, s34, 3
	s_waitcnt lgkmcnt(2)
	v_fma_f64 v[12:13], -v[22:23], v[80:81], v[12:13]
	v_mov_b32_e32 v1, s34
	s_add_i32 s34, s35, s33
	s_waitcnt lgkmcnt(1)
	v_fma_f64 v[12:13], -v[42:43], v[84:85], v[12:13]
	s_lshl_b32 s34, s34, 3
	v_fma_f64 v[10:11], -v[38:39], v[14:15], v[10:11]
	s_waitcnt lgkmcnt(0)
	v_fma_f64 v[12:13], -v[44:45], v[88:89], v[12:13]
	ds_read2_b64 v[88:91], v1 offset1:1
	v_mov_b32_e32 v1, s34
	s_add_i32 s34, s9, 0xfffffeb0
	v_fma_f64 v[10:11], -v[40:41], v[18:19], v[10:11]
	s_add_i32 s35, s35, s34
	v_fma_f64 v[10:11], -v[36:37], v[52:53], v[10:11]
	s_lshl_b32 s35, s35, 3
	v_fma_f64 v[10:11], -v[34:35], v[56:57], v[10:11]
	ds_read2_b64 v[92:95], v1 offset1:1
	v_mov_b32_e32 v1, s35
	v_fma_f64 v[10:11], -v[32:33], v[60:61], v[10:11]
	ds_read2_b64 v[96:99], v1 offset1:1
	v_fma_f64 v[10:11], -v[30:31], v[64:65], v[10:11]
	v_fma_f64 v[10:11], -v[28:29], v[66:67], v[10:11]
	v_fma_f64 v[10:11], -v[26:27], v[70:71], v[10:11]
	s_waitcnt lgkmcnt(2)
	v_fma_f64 v[12:13], -v[46:47], v[90:91], v[12:13]
	s_add_i32 s35, s13, 0xfffff448
	v_fma_f64 v[10:11], -v[24:25], v[74:75], v[10:11]
	s_sub_i32 s37, s8, 17
	s_waitcnt lgkmcnt(1)
	v_fma_f64 v[12:13], -v[48:49], v[94:95], v[12:13]
	v_mov_b32_e32 v1, s35
	v_fma_f64 v[10:11], -v[22:23], v[78:79], v[10:11]
	s_add_i32 s36, s37, s9
	ds_read_b64 v[20:21], v1
	s_waitcnt lgkmcnt(1)
	v_mul_f64 v[50:51], v[98:99], v[12:13]
	v_add_lshl_u32 v1, s34, v0, 3
	v_fma_f64 v[10:11], -v[42:43], v[82:83], v[10:11]
	s_lshl_b32 s36, s36, 3
	ds_write_b64 v1, v[50:51] offset:4608
	v_fma_f64 v[10:11], -v[44:45], v[86:87], v[10:11]
	v_mov_b32_e32 v1, s36
	s_add_i32 s36, s37, s12
	v_fma_f64 v[10:11], -v[46:47], v[88:89], v[10:11]
	s_lshl_b32 s36, s36, 3
	v_fma_f64 v[10:11], -v[48:49], v[92:93], v[10:11]
	v_mov_b32_e32 v14, s36
	v_fma_f64 v[18:19], -v[50:51], v[96:97], v[10:11]
	ds_read2_b64 v[10:13], v1 offset1:1
	ds_read2_b64 v[14:17], v14 offset1:1
	s_add_i32 s35, s9, 0xfffffe98
	s_add_i32 s36, s37, s16
	s_waitcnt lgkmcnt(3)
	v_mul_f64 v[52:53], v[20:21], v[18:19]
	v_add_lshl_u32 v1, s35, v0, 3
	s_lshl_b32 s36, s36, 3
	ds_write_b64 v1, v[52:53] offset:4608
	v_mov_b32_e32 v1, s36
	s_add_i32 s36, s37, s17
	s_waitcnt lgkmcnt(2)
	v_fma_f64 v[8:9], -v[38:39], v[12:13], v[8:9]
	s_lshl_b32 s36, s36, 3
	s_waitcnt lgkmcnt(1)
	v_fma_f64 v[8:9], -v[40:41], v[16:17], v[8:9]
	ds_read2_b64 v[16:19], v1 offset1:1
	v_mov_b32_e32 v1, s36
	s_add_i32 s36, s37, s18
	s_lshl_b32 s36, s36, 3
	ds_read2_b64 v[56:59], v1 offset1:1
	v_mov_b32_e32 v1, s36
	s_add_i32 s36, s37, s19
	s_lshl_b32 s36, s36, 3
	v_mov_b32_e32 v12, s36
	s_add_i32 s36, s37, s20
	s_lshl_b32 s36, s36, 3
	s_waitcnt lgkmcnt(1)
	v_fma_f64 v[8:9], -v[36:37], v[18:19], v[8:9]
	ds_read2_b64 v[18:21], v1 offset1:1
	ds_read2_b64 v[60:63], v12 offset1:1
	v_mov_b32_e32 v1, s36
	s_add_i32 s36, s37, s21
	s_lshl_b32 s36, s36, 3
	v_mov_b32_e32 v12, s36
	ds_read2_b64 v[64:67], v1 offset1:1
	ds_read2_b64 v[68:71], v12 offset1:1
	s_waitcnt lgkmcnt(4)
	v_fma_f64 v[8:9], -v[34:35], v[58:59], v[8:9]
	s_add_i32 s36, s37, s25
	s_waitcnt lgkmcnt(3)
	v_fma_f64 v[8:9], -v[32:33], v[20:21], v[8:9]
	s_lshl_b32 s36, s36, 3
	s_waitcnt lgkmcnt(2)
	v_fma_f64 v[8:9], -v[30:31], v[62:63], v[8:9]
	v_mov_b32_e32 v1, s36
	s_add_i32 s36, s37, s26
	s_waitcnt lgkmcnt(1)
	v_fma_f64 v[8:9], -v[28:29], v[66:67], v[8:9]
	s_lshl_b32 s36, s36, 3
	s_waitcnt lgkmcnt(0)
	v_fma_f64 v[8:9], -v[26:27], v[70:71], v[8:9]
	ds_read2_b64 v[70:73], v1 offset1:1
	v_mov_b32_e32 v1, s36
	s_add_i32 s36, s37, s27
	s_lshl_b32 s36, s36, 3
	ds_read2_b64 v[74:77], v1 offset1:1
	v_mov_b32_e32 v1, s36
	s_add_i32 s36, s37, s28
	s_lshl_b32 s36, s36, 3
	v_mov_b32_e32 v12, s36
	s_add_i32 s36, s37, s29
	s_lshl_b32 s36, s36, 3
	ds_read2_b64 v[78:81], v1 offset1:1
	ds_read2_b64 v[82:85], v12 offset1:1
	v_mov_b32_e32 v1, s36
	s_add_i32 s36, s37, s33
	s_lshl_b32 s36, s36, 3
	s_waitcnt lgkmcnt(3)
	v_fma_f64 v[8:9], -v[24:25], v[72:73], v[8:9]
	v_mov_b32_e32 v12, s36
	ds_read2_b64 v[86:89], v1 offset1:1
	ds_read2_b64 v[90:93], v12 offset1:1
	v_fma_f64 v[6:7], -v[38:39], v[10:11], v[6:7]
	s_waitcnt lgkmcnt(4)
	v_fma_f64 v[8:9], -v[22:23], v[76:77], v[8:9]
	s_add_i32 s36, s37, s34
	v_fma_f64 v[6:7], -v[40:41], v[14:15], v[6:7]
	s_waitcnt lgkmcnt(3)
	v_fma_f64 v[8:9], -v[42:43], v[80:81], v[8:9]
	s_lshl_b32 s36, s36, 3
	v_fma_f64 v[6:7], -v[36:37], v[16:17], v[6:7]
	s_waitcnt lgkmcnt(2)
	v_fma_f64 v[8:9], -v[44:45], v[84:85], v[8:9]
	v_mov_b32_e32 v1, s36
	s_add_i32 s36, s37, s35
	v_fma_f64 v[6:7], -v[34:35], v[56:57], v[6:7]
	s_waitcnt lgkmcnt(1)
	v_fma_f64 v[8:9], -v[46:47], v[88:89], v[8:9]
	s_lshl_b32 s36, s36, 3
	v_fma_f64 v[6:7], -v[32:33], v[18:19], v[6:7]
	s_waitcnt lgkmcnt(0)
	v_fma_f64 v[8:9], -v[48:49], v[92:93], v[8:9]
	ds_read2_b64 v[92:95], v1 offset1:1
	v_mov_b32_e32 v1, s36
	s_add_i32 s36, s9, 0xfffffe80
	v_fma_f64 v[6:7], -v[30:31], v[60:61], v[6:7]
	s_add_i32 s37, s37, s36
	v_fma_f64 v[6:7], -v[28:29], v[64:65], v[6:7]
	s_lshl_b32 s37, s37, 3
	v_fma_f64 v[6:7], -v[26:27], v[68:69], v[6:7]
	ds_read2_b64 v[96:99], v1 offset1:1
	v_mov_b32_e32 v1, s37
	s_add_i32 s37, s13, 0xfffff2b8
	v_fma_f64 v[6:7], -v[24:25], v[70:71], v[6:7]
	ds_read2_b64 v[100:103], v1 offset1:1
	v_mov_b32_e32 v1, s37
	v_fma_f64 v[6:7], -v[22:23], v[74:75], v[6:7]
	s_sub_i32 s37, s8, 19
	v_fma_f64 v[6:7], -v[42:43], v[78:79], v[6:7]
	s_add_i32 s12, s37, s12
	v_fma_f64 v[6:7], -v[44:45], v[82:83], v[6:7]
	s_lshl_b32 s12, s12, 3
	ds_read_b64 v[12:13], v1
	v_fma_f64 v[6:7], -v[46:47], v[86:87], v[6:7]
	v_mov_b32_e32 v10, s12
	s_add_i32 s12, s37, s16
	s_waitcnt lgkmcnt(3)
	v_fma_f64 v[8:9], -v[50:51], v[94:95], v[8:9]
	v_fma_f64 v[6:7], -v[48:49], v[90:91], v[6:7]
	s_lshl_b32 s12, s12, 3
	s_waitcnt lgkmcnt(2)
	v_fma_f64 v[8:9], -v[52:53], v[98:99], v[8:9]
	v_fma_f64 v[6:7], -v[50:51], v[92:93], v[6:7]
	v_mov_b32_e32 v14, s12
	s_add_i32 s12, s37, s17
	s_waitcnt lgkmcnt(1)
	v_mul_f64 v[54:55], v[102:103], v[8:9]
	v_fma_f64 v[6:7], -v[52:53], v[96:97], v[6:7]
	s_add_i32 s39, s37, s9
	s_lshl_b32 s12, s12, 3
	v_add_lshl_u32 v1, s36, v0, 3
	v_fma_f64 v[6:7], -v[54:55], v[100:101], v[6:7]
	s_add_i32 s38, s9, 0xfffffe68
	s_lshl_b32 s39, s39, 3
	v_mov_b32_e32 v18, s12
	s_add_i32 s12, s37, s18
	ds_write_b64 v1, v[54:55] offset:4608
	s_waitcnt lgkmcnt(1)
	v_mul_f64 v[56:57], v[12:13], v[6:7]
	v_add_lshl_u32 v1, s38, v0, 3
	v_mov_b32_e32 v6, s39
	s_lshl_b32 s12, s12, 3
	ds_read2_b64 v[6:9], v6 offset1:1
	ds_read2_b64 v[10:13], v10 offset1:1
	;; [unrolled: 1-line block ×4, first 2 shown]
	ds_write_b64 v1, v[56:57] offset:4608
	v_mov_b32_e32 v1, s12
	s_add_i32 s12, s37, s19
	s_lshl_b32 s12, s12, 3
	ds_read2_b64 v[58:61], v1 offset1:1
	v_mov_b32_e32 v1, s12
	s_add_i32 s12, s37, s20
	s_lshl_b32 s12, s12, 3
	ds_read2_b64 v[62:65], v1 offset1:1
	v_mov_b32_e32 v1, s12
	s_add_i32 s12, s37, s21
	s_lshl_b32 s12, s12, 3
	s_waitcnt lgkmcnt(6)
	v_fma_f64 v[4:5], -v[38:39], v[8:9], v[4:5]
	v_mov_b32_e32 v8, s12
	s_add_i32 s12, s37, s25
	s_waitcnt lgkmcnt(5)
	v_fma_f64 v[4:5], -v[40:41], v[12:13], v[4:5]
	s_lshl_b32 s12, s12, 3
	s_waitcnt lgkmcnt(4)
	v_fma_f64 v[4:5], -v[36:37], v[16:17], v[4:5]
	ds_read2_b64 v[66:69], v1 offset1:1
	ds_read2_b64 v[70:73], v8 offset1:1
	v_mov_b32_e32 v1, s12
	s_add_i32 s12, s37, s26
	s_waitcnt lgkmcnt(5)
	v_fma_f64 v[4:5], -v[34:35], v[20:21], v[4:5]
	s_lshl_b32 s12, s12, 3
	s_waitcnt lgkmcnt(3)
	v_fma_f64 v[4:5], -v[32:33], v[60:61], v[4:5]
	v_mov_b32_e32 v8, s12
	ds_read2_b64 v[74:77], v1 offset1:1
	ds_read2_b64 v[78:81], v8 offset1:1
	s_waitcnt lgkmcnt(4)
	v_fma_f64 v[4:5], -v[30:31], v[64:65], v[4:5]
	s_add_i32 s12, s37, s27
	s_waitcnt lgkmcnt(3)
	v_fma_f64 v[4:5], -v[28:29], v[68:69], v[4:5]
	s_lshl_b32 s12, s12, 3
	s_waitcnt lgkmcnt(2)
	v_fma_f64 v[4:5], -v[26:27], v[72:73], v[4:5]
	v_mov_b32_e32 v1, s12
	s_add_i32 s12, s37, s28
	s_waitcnt lgkmcnt(1)
	v_fma_f64 v[4:5], -v[24:25], v[76:77], v[4:5]
	s_lshl_b32 s12, s12, 3
	s_waitcnt lgkmcnt(0)
	v_fma_f64 v[4:5], -v[22:23], v[80:81], v[4:5]
	ds_read2_b64 v[80:83], v1 offset1:1
	v_mov_b32_e32 v1, s12
	s_add_i32 s12, s37, s29
	s_lshl_b32 s12, s12, 3
	ds_read2_b64 v[84:87], v1 offset1:1
	v_mov_b32_e32 v1, s12
	s_add_i32 s12, s37, s33
	s_lshl_b32 s12, s12, 3
	v_mov_b32_e32 v8, s12
	s_add_i32 s12, s37, s34
	s_lshl_b32 s12, s12, 3
	v_fma_f64 v[2:3], -v[38:39], v[6:7], v[2:3]
	ds_read2_b64 v[88:91], v1 offset1:1
	ds_read2_b64 v[92:95], v8 offset1:1
	v_mov_b32_e32 v1, s12
	s_add_i32 s12, s37, s35
	v_fma_f64 v[2:3], -v[40:41], v[10:11], v[2:3]
	s_lshl_b32 s12, s12, 3
	v_fma_f64 v[2:3], -v[36:37], v[14:15], v[2:3]
	s_waitcnt lgkmcnt(3)
	v_fma_f64 v[4:5], -v[42:43], v[82:83], v[4:5]
	v_mov_b32_e32 v8, s12
	ds_read2_b64 v[96:99], v1 offset1:1
	ds_read2_b64 v[100:103], v8 offset1:1
	v_fma_f64 v[2:3], -v[34:35], v[18:19], v[2:3]
	s_waitcnt lgkmcnt(4)
	v_fma_f64 v[4:5], -v[44:45], v[86:87], v[4:5]
	s_add_i32 s12, s37, s36
	v_fma_f64 v[2:3], -v[32:33], v[58:59], v[2:3]
	s_waitcnt lgkmcnt(3)
	v_fma_f64 v[4:5], -v[46:47], v[90:91], v[4:5]
	s_lshl_b32 s12, s12, 3
	v_fma_f64 v[2:3], -v[30:31], v[62:63], v[2:3]
	s_waitcnt lgkmcnt(2)
	v_fma_f64 v[4:5], -v[48:49], v[94:95], v[4:5]
	v_mov_b32_e32 v1, s12
	s_add_i32 s12, s37, s38
	v_fma_f64 v[2:3], -v[28:29], v[66:67], v[2:3]
	s_waitcnt lgkmcnt(1)
	v_fma_f64 v[4:5], -v[50:51], v[98:99], v[4:5]
	s_lshl_b32 s12, s12, 3
	v_fma_f64 v[2:3], -v[26:27], v[70:71], v[2:3]
	s_waitcnt lgkmcnt(0)
	v_fma_f64 v[4:5], -v[52:53], v[102:103], v[4:5]
	ds_read2_b64 v[102:105], v1 offset1:1
	v_mov_b32_e32 v1, s12
	s_add_i32 s12, s9, 0xfffffe50
	v_fma_f64 v[2:3], -v[24:25], v[74:75], v[2:3]
	s_add_i32 s37, s37, s12
	v_fma_f64 v[2:3], -v[22:23], v[78:79], v[2:3]
	s_lshl_b32 s16, s37, 3
	v_fma_f64 v[2:3], -v[42:43], v[80:81], v[2:3]
	ds_read2_b64 v[106:109], v1 offset1:1
	v_mov_b32_e32 v1, s16
	v_fma_f64 v[2:3], -v[44:45], v[84:85], v[2:3]
	ds_read2_b64 v[110:113], v1 offset1:1
	s_addk_i32 s13, 0xf128
	v_fma_f64 v[2:3], -v[46:47], v[88:89], v[2:3]
	v_mov_b32_e32 v1, s13
	v_fma_f64 v[2:3], -v[48:49], v[92:93], v[2:3]
	ds_read_b64 v[8:9], v1
	v_fma_f64 v[2:3], -v[50:51], v[96:97], v[2:3]
	s_waitcnt lgkmcnt(3)
	v_fma_f64 v[4:5], -v[54:55], v[104:105], v[4:5]
	v_fma_f64 v[2:3], -v[52:53], v[100:101], v[2:3]
	s_waitcnt lgkmcnt(2)
	v_fma_f64 v[4:5], -v[56:57], v[108:109], v[4:5]
	v_fma_f64 v[2:3], -v[54:55], v[102:103], v[2:3]
	s_waitcnt lgkmcnt(1)
	v_mul_f64 v[4:5], v[112:113], v[4:5]
	v_fma_f64 v[2:3], -v[56:57], v[106:107], v[2:3]
	v_add_lshl_u32 v1, s12, v0, 3
	v_fma_f64 v[2:3], -v[4:5], v[110:111], v[2:3]
	s_addk_i32 s9, 0xfe38
	ds_write_b64 v1, v[4:5] offset:4608
	s_waitcnt lgkmcnt(1)
	v_mul_f64 v[2:3], v[8:9], v[2:3]
	v_add_lshl_u32 v1, s9, v0, 3
	s_sub_i32 s8, s8, 20
	ds_write_b64 v1, v[2:3] offset:4608
.LBB92_47:
	s_cmp_lt_i32 s8, 0
	s_cbranch_scc1 .LBB92_60
; %bb.48:
	s_bitcmp1_b32 s8, 0
	s_cselect_b64 s[12:13], -1, 0
	s_and_b64 vcc, exec, s[12:13]
	s_mov_b32 s9, s8
	s_cbranch_vccnz .LBB92_53
; %bb.49:
	s_mul_i32 s9, s8, 24
	v_add_lshl_u32 v1, s9, v0, 3
	ds_read_b64 v[2:3], v1 offset:4608
	s_cmp_le_i32 s31, s8
	s_cbranch_scc1 .LBB92_52
; %bb.50:
	s_mul_i32 s12, s30, 0xc0
	s_lshl_b32 s9, s8, 3
	s_add_i32 s9, s12, s9
	v_lshl_add_u32 v4, v0, 3, s12
	s_addk_i32 s9, 0xff40
	v_add_u32_e32 v4, 0x1140, v4
	s_mov_b32 s12, s31
.LBB92_51:                              ; =>This Inner Loop Header: Depth=1
	v_mov_b32_e32 v5, s9
	ds_read_b64 v[6:7], v4
	ds_read_b64 v[8:9], v5
	s_add_i32 s12, s12, -1
	s_addk_i32 s9, 0xff40
	v_add_u32_e32 v4, 0xffffff40, v4
	s_cmp_gt_i32 s12, s8
	s_waitcnt lgkmcnt(0)
	v_fma_f64 v[2:3], -v[6:7], v[8:9], v[2:3]
	s_cbranch_scc1 .LBB92_51
.LBB92_52:
	s_mul_i32 s9, s8, 0xc8
	v_mov_b32_e32 v4, s9
	ds_read_b64 v[4:5], v4
	v_add_u32_e32 v1, 0x1200, v1
	s_add_i32 s9, s8, -1
	s_waitcnt lgkmcnt(0)
	v_mul_f64 v[2:3], v[4:5], v[2:3]
	ds_write_b64 v1, v[2:3]
.LBB92_53:
	s_cmp_eq_u32 s8, 0
	s_cbranch_scc1 .LBB92_60
; %bb.54:
	s_mul_i32 s12, s30, 0xc0
	s_lshl_b32 s8, s9, 3
	s_add_i32 s13, s12, s8
	v_lshl_add_u32 v1, v0, 3, s12
	s_add_i32 s8, s13, 0xffffff40
	v_add_u32_e32 v1, 0x1140, v1
	s_add_i32 s12, s13, 0xffffff38
	s_branch .LBB92_56
.LBB92_55:                              ;   in Loop: Header=BB92_56 Depth=1
	s_addk_i32 s13, 0xff38
	v_mov_b32_e32 v2, s13
	ds_read_b64 v[2:3], v2
	s_add_i32 s13, s9, -2
	s_add_i32 s8, s8, -16
	;; [unrolled: 1-line block ×3, first 2 shown]
	s_cmp_lt_i32 s9, 2
	s_waitcnt lgkmcnt(0)
	v_mul_f64 v[2:3], v[2:3], v[4:5]
	s_mov_b32 s9, s13
	ds_write_b64 v6, v[2:3]
	s_cbranch_scc1 .LBB92_60
.LBB92_56:                              ; =>This Loop Header: Depth=1
                                        ;     Child Loop BB92_57 Depth 2
                                        ;     Child Loop BB92_59 Depth 2
	s_mul_i32 s13, s9, 24
	v_add_lshl_u32 v4, s13, v0, 3
	ds_read_b64 v[2:3], v4 offset:4608
	s_cmp_le_i32 s31, s9
	v_mov_b32_e32 v5, v1
	s_mov_b32 s13, s8
	s_mov_b32 s16, s31
	s_cbranch_scc1 .LBB92_58
.LBB92_57:                              ;   Parent Loop BB92_56 Depth=1
                                        ; =>  This Inner Loop Header: Depth=2
	v_mov_b32_e32 v8, s13
	ds_read_b64 v[6:7], v5
	ds_read_b64 v[8:9], v8
	s_add_i32 s16, s16, -1
	s_addk_i32 s13, 0xff40
	v_add_u32_e32 v5, 0xffffff40, v5
	s_cmp_gt_i32 s16, s9
	s_waitcnt lgkmcnt(0)
	v_fma_f64 v[2:3], -v[6:7], v[8:9], v[2:3]
	s_cbranch_scc1 .LBB92_57
.LBB92_58:                              ;   in Loop: Header=BB92_56 Depth=1
	s_mul_i32 s13, s9, 0xc8
	v_add_u32_e32 v8, 0x1200, v4
	v_mov_b32_e32 v4, s13
	ds_read_b64 v[10:11], v4
	v_add_u32_e32 v6, 0xffffff40, v8
	ds_read_b64 v[4:5], v6
	s_cmp_lt_i32 s31, s9
	v_mov_b32_e32 v7, v1
	s_waitcnt lgkmcnt(1)
	v_mul_f64 v[2:3], v[10:11], v[2:3]
	s_mov_b32 s16, s12
	s_mov_b32 s17, s30
	ds_write_b64 v8, v[2:3]
	s_cbranch_scc1 .LBB92_55
.LBB92_59:                              ;   Parent Loop BB92_56 Depth=1
                                        ; =>  This Inner Loop Header: Depth=2
	v_mov_b32_e32 v8, s16
	ds_read_b64 v[2:3], v7
	ds_read_b64 v[8:9], v8
	s_add_i32 s17, s17, -1
	s_addk_i32 s16, 0xff40
	v_add_u32_e32 v7, 0xffffff40, v7
	s_cmp_gt_i32 s17, s9
	s_waitcnt lgkmcnt(0)
	v_fma_f64 v[4:5], -v[2:3], v[8:9], v[4:5]
	s_cbranch_scc1 .LBB92_59
	s_branch .LBB92_55
.LBB92_60:
	s_waitcnt lgkmcnt(0)
	; wave barrier
	s_waitcnt lgkmcnt(0)
	s_and_saveexec_b64 s[8:9], s[14:15]
	s_cbranch_execz .LBB92_67
; %bb.61:
	s_cmp_lt_i32 s10, 8
	s_mov_b32 s8, 0
	s_cbranch_scc1 .LBB92_64
; %bb.62:
	v_mad_i64_i32 v[2:3], s[8:9], s22, v0, 0
	v_lshlrev_b64 v[2:3], 3, v[2:3]
	v_mov_b32_e32 v4, s24
	v_add_co_u32_e32 v1, vcc, s11, v2
	v_addc_co_u32_e32 v2, vcc, v4, v3, vcc
	v_mov_b32_e32 v3, 0x1200
	s_lshl_b32 s8, s30, 3
	v_lshl_or_b32 v3, v0, 3, v3
	s_and_b32 s9, s8, 0xc0
	s_mov_b32 s8, 0
	s_mov_b64 s[10:11], 0
.LBB92_63:                              ; =>This Inner Loop Header: Depth=1
	ds_read2_b64 v[4:7], v3 offset1:24
	ds_read2_b64 v[8:11], v3 offset0:48 offset1:72
	ds_read2_b64 v[12:15], v3 offset0:96 offset1:120
	;; [unrolled: 1-line block ×3, first 2 shown]
	s_add_i32 s8, s8, 8
	v_add_co_u32_e32 v20, vcc, s10, v1
	s_add_u32 s10, s10, 64
	v_mov_b32_e32 v21, s11
	s_addc_u32 s11, s11, 0
	v_add_u32_e32 v3, 0x600, v3
	v_addc_co_u32_e32 v21, vcc, v2, v21, vcc
	s_cmp_lg_u32 s9, s10
	s_waitcnt lgkmcnt(3)
	global_store_dwordx4 v[20:21], v[4:7], off
	s_waitcnt lgkmcnt(2)
	global_store_dwordx4 v[20:21], v[8:11], off offset:16
	s_waitcnt lgkmcnt(1)
	global_store_dwordx4 v[20:21], v[12:15], off offset:32
	;; [unrolled: 2-line block ×3, first 2 shown]
	s_cbranch_scc1 .LBB92_63
.LBB92_64:
	s_and_b32 s10, s30, 7
	s_cmp_eq_u32 s10, 0
	s_mov_b32 s9, 0
	s_cbranch_scc1 .LBB92_67
; %bb.65:
	s_lshl_b64 s[6:7], s[6:7], 3
	v_lshlrev_b32_e32 v1, 3, v0
	v_mov_b32_e32 v2, s7
	v_add_co_u32_e32 v1, vcc, s6, v1
	s_lshl_b64 s[6:7], s[8:9], 3
	s_add_u32 s2, s2, s6
	s_addc_u32 s3, s3, s7
	s_add_u32 s2, s2, s4
	s_addc_u32 s3, s3, s5
	;; [unrolled: 2-line block ×3, first 2 shown]
	v_addc_co_u32_e32 v4, vcc, 0, v2, vcc
	v_pk_mov_b32 v[2:3], s[0:1], s[0:1] op_sel:[0,1]
	v_mad_u64_u32 v[2:3], s[0:1], v1, s22, v[2:3]
	s_mul_i32 s0, s8, 0xc0
	v_mul_lo_u32 v1, v1, s23
	v_mul_lo_u32 v4, v4, s22
	v_lshl_add_u32 v0, v0, 3, s0
	v_add3_u32 v3, v4, v3, v1
	v_add_u32_e32 v0, 0x1200, v0
.LBB92_66:                              ; =>This Inner Loop Header: Depth=1
	ds_read_b64 v[4:5], v0
	s_add_i32 s10, s10, -1
	v_add_u32_e32 v0, 0xc0, v0
	s_cmp_lg_u32 s10, 0
	s_waitcnt lgkmcnt(0)
	global_store_dwordx2 v[2:3], v[4:5], off
	v_add_co_u32_e32 v2, vcc, 8, v2
	v_addc_co_u32_e32 v3, vcc, 0, v3, vcc
	s_cbranch_scc1 .LBB92_66
.LBB92_67:
	s_endpgm
	.section	.rodata,"a",@progbits
	.p2align	6, 0x0
	.amdhsa_kernel _ZL38rocblas_trsm_small_left_device_sharedBILi24ELi24ELb0EddPKdPdEv13rocblas_fill_18rocblas_operation_17rocblas_diagonal_iiT3_T4_lilT5_lili
		.amdhsa_group_segment_fixed_size 9216
		.amdhsa_private_segment_fixed_size 0
		.amdhsa_kernarg_size 360
		.amdhsa_user_sgpr_count 6
		.amdhsa_user_sgpr_private_segment_buffer 1
		.amdhsa_user_sgpr_dispatch_ptr 0
		.amdhsa_user_sgpr_queue_ptr 0
		.amdhsa_user_sgpr_kernarg_segment_ptr 1
		.amdhsa_user_sgpr_dispatch_id 0
		.amdhsa_user_sgpr_flat_scratch_init 0
		.amdhsa_user_sgpr_kernarg_preload_length 0
		.amdhsa_user_sgpr_kernarg_preload_offset 0
		.amdhsa_user_sgpr_private_segment_size 0
		.amdhsa_uses_dynamic_stack 0
		.amdhsa_system_sgpr_private_segment_wavefront_offset 0
		.amdhsa_system_sgpr_workgroup_id_x 1
		.amdhsa_system_sgpr_workgroup_id_y 0
		.amdhsa_system_sgpr_workgroup_id_z 1
		.amdhsa_system_sgpr_workgroup_info 0
		.amdhsa_system_vgpr_workitem_id 0
		.amdhsa_next_free_vgpr 136
		.amdhsa_next_free_sgpr 44
		.amdhsa_accum_offset 136
		.amdhsa_reserve_vcc 1
		.amdhsa_reserve_flat_scratch 0
		.amdhsa_float_round_mode_32 0
		.amdhsa_float_round_mode_16_64 0
		.amdhsa_float_denorm_mode_32 3
		.amdhsa_float_denorm_mode_16_64 3
		.amdhsa_dx10_clamp 1
		.amdhsa_ieee_mode 1
		.amdhsa_fp16_overflow 0
		.amdhsa_tg_split 0
		.amdhsa_exception_fp_ieee_invalid_op 0
		.amdhsa_exception_fp_denorm_src 0
		.amdhsa_exception_fp_ieee_div_zero 0
		.amdhsa_exception_fp_ieee_overflow 0
		.amdhsa_exception_fp_ieee_underflow 0
		.amdhsa_exception_fp_ieee_inexact 0
		.amdhsa_exception_int_div_zero 0
	.end_amdhsa_kernel
	.section	.text._ZL38rocblas_trsm_small_left_device_sharedBILi24ELi24ELb0EddPKdPdEv13rocblas_fill_18rocblas_operation_17rocblas_diagonal_iiT3_T4_lilT5_lili,"axG",@progbits,_ZL38rocblas_trsm_small_left_device_sharedBILi24ELi24ELb0EddPKdPdEv13rocblas_fill_18rocblas_operation_17rocblas_diagonal_iiT3_T4_lilT5_lili,comdat
.Lfunc_end92:
	.size	_ZL38rocblas_trsm_small_left_device_sharedBILi24ELi24ELb0EddPKdPdEv13rocblas_fill_18rocblas_operation_17rocblas_diagonal_iiT3_T4_lilT5_lili, .Lfunc_end92-_ZL38rocblas_trsm_small_left_device_sharedBILi24ELi24ELb0EddPKdPdEv13rocblas_fill_18rocblas_operation_17rocblas_diagonal_iiT3_T4_lilT5_lili
                                        ; -- End function
	.section	.AMDGPU.csdata,"",@progbits
; Kernel info:
; codeLenInByte = 23668
; NumSgprs: 48
; NumVgprs: 136
; NumAgprs: 0
; TotalNumVgprs: 136
; ScratchSize: 0
; MemoryBound: 0
; FloatMode: 240
; IeeeMode: 1
; LDSByteSize: 9216 bytes/workgroup (compile time only)
; SGPRBlocks: 5
; VGPRBlocks: 16
; NumSGPRsForWavesPerEU: 48
; NumVGPRsForWavesPerEU: 136
; AccumOffset: 136
; Occupancy: 2
; WaveLimiterHint : 0
; COMPUTE_PGM_RSRC2:SCRATCH_EN: 0
; COMPUTE_PGM_RSRC2:USER_SGPR: 6
; COMPUTE_PGM_RSRC2:TRAP_HANDLER: 0
; COMPUTE_PGM_RSRC2:TGID_X_EN: 1
; COMPUTE_PGM_RSRC2:TGID_Y_EN: 0
; COMPUTE_PGM_RSRC2:TGID_Z_EN: 1
; COMPUTE_PGM_RSRC2:TIDIG_COMP_CNT: 0
; COMPUTE_PGM_RSRC3_GFX90A:ACCUM_OFFSET: 33
; COMPUTE_PGM_RSRC3_GFX90A:TG_SPLIT: 0
	.section	.text._ZL30rocblas_trsm_small_left_deviceILi24ELi24ELb0EddPKdPdEv13rocblas_fill_18rocblas_operation_17rocblas_diagonal_iiT3_T4_lilT5_lili,"axG",@progbits,_ZL30rocblas_trsm_small_left_deviceILi24ELi24ELb0EddPKdPdEv13rocblas_fill_18rocblas_operation_17rocblas_diagonal_iiT3_T4_lilT5_lili,comdat
	.globl	_ZL30rocblas_trsm_small_left_deviceILi24ELi24ELb0EddPKdPdEv13rocblas_fill_18rocblas_operation_17rocblas_diagonal_iiT3_T4_lilT5_lili ; -- Begin function _ZL30rocblas_trsm_small_left_deviceILi24ELi24ELb0EddPKdPdEv13rocblas_fill_18rocblas_operation_17rocblas_diagonal_iiT3_T4_lilT5_lili
	.p2align	8
	.type	_ZL30rocblas_trsm_small_left_deviceILi24ELi24ELb0EddPKdPdEv13rocblas_fill_18rocblas_operation_17rocblas_diagonal_iiT3_T4_lilT5_lili,@function
_ZL30rocblas_trsm_small_left_deviceILi24ELi24ELb0EddPKdPdEv13rocblas_fill_18rocblas_operation_17rocblas_diagonal_iiT3_T4_lilT5_lili: ; @_ZL30rocblas_trsm_small_left_deviceILi24ELi24ELb0EddPKdPdEv13rocblas_fill_18rocblas_operation_17rocblas_diagonal_iiT3_T4_lilT5_lili
; %bb.0:
	s_load_dwordx4 s[12:15], s[4:5], 0x4
	s_load_dwordx4 s[0:3], s[4:5], 0x18
	s_load_dwordx2 s[24:25], s[4:5], 0x28
	s_load_dwordx4 s[8:11], s[4:5], 0x38
	s_load_dwordx2 s[20:21], s[4:5], 0x48
	s_waitcnt lgkmcnt(0)
	s_min_i32 s16, s14, 24
	s_mov_b32 s17, 0
	s_add_i32 s18, s16, -1
	v_cmp_gt_i32_e32 vcc, s16, v0
	s_and_saveexec_b64 s[22:23], vcc
	s_cbranch_execz .LBB93_10
; %bb.1:
	s_load_dword s26, s[4:5], 0x30
	s_mul_i32 s9, s7, s9
	s_mul_hi_u32 s19, s7, s8
	s_add_i32 s9, s19, s9
	s_mul_i32 s8, s7, s8
	s_waitcnt lgkmcnt(0)
	s_ashr_i32 s27, s26, 31
	s_cmp_lt_u32 s18, 3
	v_lshlrev_b32_e32 v1, 3, v0
	s_cbranch_scc1 .LBB93_4
; %bb.2:
	s_lshl_b64 s[28:29], s[8:9], 3
	s_add_u32 s17, s2, s28
	s_addc_u32 s19, s3, s29
	s_lshl_b64 s[28:29], s[24:25], 3
	s_add_u32 s17, s17, s28
	s_addc_u32 s19, s19, s29
	v_mov_b32_e32 v3, s19
	v_add_co_u32_e32 v2, vcc, s17, v1
	s_mul_hi_i32 s36, s26, 24
	s_lshl_b64 s[28:29], s[26:27], 5
	s_lshl_b64 s[30:31], s[26:27], 4
	;; [unrolled: 1-line block ×3, first 2 shown]
	v_addc_co_u32_e32 v3, vcc, 0, v3, vcc
	s_and_b32 s17, s16, -4
	s_mul_i32 s19, s26, 24
	s_mov_b32 s33, 0
	v_mov_b32_e32 v4, s35
	v_mov_b32_e32 v5, s31
	;; [unrolled: 1-line block ×5, first 2 shown]
.LBB93_3:                               ; =>This Inner Loop Header: Depth=1
	v_add_co_u32_e32 v12, vcc, s34, v2
	v_addc_co_u32_e32 v13, vcc, v3, v4, vcc
	v_add_co_u32_e32 v14, vcc, s30, v2
	v_addc_co_u32_e32 v15, vcc, v3, v5, vcc
	v_add_co_u32_e32 v16, vcc, s19, v2
	global_load_dwordx2 v[10:11], v[2:3], off
	v_addc_co_u32_e32 v17, vcc, v3, v6, vcc
	global_load_dwordx2 v[18:19], v[12:13], off
	global_load_dwordx2 v[20:21], v[14:15], off
	;; [unrolled: 1-line block ×3, first 2 shown]
	s_add_i32 s33, s33, 4
	v_add_co_u32_e32 v2, vcc, s28, v2
	v_addc_co_u32_e32 v3, vcc, v3, v7, vcc
	s_cmp_eq_u32 s17, s33
	s_waitcnt vmcnt(2)
	ds_write2_b64 v8, v[10:11], v[18:19] offset1:24
	s_waitcnt vmcnt(0)
	ds_write2_b64 v8, v[20:21], v[22:23] offset0:48 offset1:72
	v_add_u32_e32 v8, 0x300, v8
	s_cbranch_scc0 .LBB93_3
.LBB93_4:
	s_and_b32 s19, s16, 3
	s_cmp_eq_u32 s19, 0
	s_cbranch_scc1 .LBB93_7
; %bb.5:
	s_mul_i32 s28, s17, 0xc0
	v_lshl_add_u32 v4, v0, 3, s28
	s_mul_i32 s28, s27, s17
	s_mul_hi_u32 s29, s26, s17
	s_add_i32 s29, s29, s28
	s_mul_i32 s28, s26, s17
	s_lshl_b64 s[8:9], s[8:9], 3
	s_lshl_b64 s[28:29], s[28:29], 3
	s_add_u32 s17, s8, s28
	s_addc_u32 s28, s9, s29
	s_lshl_b64 s[8:9], s[24:25], 3
	s_add_u32 s8, s17, s8
	s_addc_u32 s9, s28, s9
	s_add_u32 s2, s2, s8
	s_addc_u32 s3, s3, s9
	v_mov_b32_e32 v3, s3
	v_add_co_u32_e32 v2, vcc, s2, v1
	s_lshl_b64 s[2:3], s[26:27], 3
	v_addc_co_u32_e32 v3, vcc, 0, v3, vcc
	v_mov_b32_e32 v1, s3
.LBB93_6:                               ; =>This Inner Loop Header: Depth=1
	global_load_dwordx2 v[6:7], v[2:3], off
	v_add_co_u32_e32 v2, vcc, s2, v2
	s_add_i32 s19, s19, -1
	v_addc_co_u32_e32 v3, vcc, v3, v1, vcc
	s_cmp_lg_u32 s19, 0
	s_waitcnt vmcnt(0)
	ds_write_b64 v4, v[6:7]
	v_add_u32_e32 v4, 0xc0, v4
	s_cbranch_scc1 .LBB93_6
.LBB93_7:
	v_mul_u32_u24_e32 v1, 25, v0
	v_mov_b32_e32 v2, 0
	s_cmpk_lg_i32 s13, 0x84
	v_lshlrev_b32_e32 v1, 3, v1
	v_mov_b32_e32 v3, 0x3ff00000
	s_cbranch_scc0 .LBB93_9
; %bb.8:
	ds_read_b64 v[2:3], v1
	s_waitcnt lgkmcnt(0)
	v_div_scale_f64 v[4:5], s[2:3], v[2:3], v[2:3], 1.0
	v_rcp_f64_e32 v[6:7], v[4:5]
	v_div_scale_f64 v[8:9], vcc, 1.0, v[2:3], 1.0
	v_fma_f64 v[10:11], -v[4:5], v[6:7], 1.0
	v_fmac_f64_e32 v[6:7], v[6:7], v[10:11]
	v_fma_f64 v[10:11], -v[4:5], v[6:7], 1.0
	v_fmac_f64_e32 v[6:7], v[6:7], v[10:11]
	v_mul_f64 v[10:11], v[8:9], v[6:7]
	v_fma_f64 v[4:5], -v[4:5], v[10:11], v[8:9]
	v_div_fmas_f64 v[4:5], v[4:5], v[6:7], v[10:11]
	v_div_fixup_f64 v[2:3], v[4:5], v[2:3], 1.0
.LBB93_9:
	ds_write_b64 v1, v[2:3]
.LBB93_10:
	s_or_b64 exec, exec, s[22:23]
	s_load_dword s2, s[4:5], 0x68
	s_mul_i32 s3, s6, 0xffffffe8
	s_add_i32 s3, s3, s15
	s_waitcnt lgkmcnt(0)
	; wave barrier
	s_waitcnt lgkmcnt(0)
	s_add_i32 s2, s2, -1
	s_cmp_ge_u32 s6, s2
	s_cselect_b32 s2, s3, 24
	v_cmp_gt_i32_e32 vcc, s2, v0
	s_and_saveexec_b64 s[2:3], vcc
	s_cbranch_execz .LBB93_54
; %bb.11:
	s_load_dwordx2 s[2:3], s[4:5], 0x58
	s_load_dword s8, s[4:5], 0x50
	s_waitcnt lgkmcnt(0)
	s_mul_i32 s3, s7, s3
	s_mul_hi_u32 s4, s7, s2
	s_mul_i32 s2, s7, s2
	s_add_i32 s3, s4, s3
	s_lshl_b64 s[2:3], s[2:3], 3
	s_add_u32 s7, s10, s2
	s_addc_u32 s9, s11, s3
	s_lshl_b64 s[4:5], s[20:21], 3
	s_add_u32 s13, s7, s4
	v_mad_u64_u32 v[0:1], s[6:7], s6, 24, v[0:1]
	v_mad_i64_i32 v[0:1], s[6:7], s8, v0, 0
	s_addc_u32 s9, s9, s5
	v_lshlrev_b64 v[90:91], 3, v[0:1]
	v_mov_b32_e32 v0, s9
	v_add_co_u32_e32 v88, vcc, s13, v90
	v_addc_co_u32_e32 v89, vcc, v0, v91, vcc
	s_cmpk_eq_i32 s12, 0x6f
	s_mov_b64 s[6:7], -1
	s_cbranch_scc1 .LBB93_32
; %bb.12:
	s_cmp_gt_i32 s14, 23
	s_cselect_b64 s[6:7], -1, 0
	s_mov_b32 s8, 0
	s_and_b64 vcc, exec, s[6:7]
	s_cbranch_vccz .LBB93_14
; %bb.13:
	global_load_dwordx4 v[22:25], v[88:89], off
	global_load_dwordx4 v[18:21], v[88:89], off offset:16
	global_load_dwordx4 v[14:17], v[88:89], off offset:32
	;; [unrolled: 1-line block ×11, first 2 shown]
	v_mov_b32_e32 v92, 0
	ds_read2_b64 v[52:55], v92 offset1:50
	ds_read_b128 v[60:63], v92 offset:192
	ds_read_b128 v[72:75], v92 offset:384
	;; [unrolled: 1-line block ×6, first 2 shown]
	ds_read2_b64 v[56:59], v92 offset0:100 offset1:150
	ds_read_b128 v[98:101], v92 offset:960
	ds_read_b128 v[80:83], v92 offset:976
	;; [unrolled: 1-line block ×7, first 2 shown]
	s_movk_i32 s8, 0x800
	s_waitcnt vmcnt(11)
	v_mul_f64 v[8:9], v[22:23], s[0:1]
	s_waitcnt lgkmcnt(14)
	v_mul_f64 v[8:9], v[52:53], v[8:9]
	s_waitcnt lgkmcnt(11)
	v_mul_f64 v[26:27], v[8:9], v[76:77]
	s_waitcnt vmcnt(10)
	v_fma_f64 v[26:27], v[20:21], s[0:1], -v[26:27]
	s_waitcnt lgkmcnt(6)
	v_mul_f64 v[20:21], v[8:9], v[98:99]
	v_mul_f64 v[22:23], v[8:9], v[60:61]
	s_waitcnt vmcnt(9)
	v_fma_f64 v[52:53], v[16:17], s[0:1], -v[20:21]
	s_waitcnt lgkmcnt(3)
	v_mul_f64 v[16:17], v[8:9], v[102:103]
	v_fma_f64 v[22:23], v[24:25], s[0:1], -v[22:23]
	v_mul_f64 v[24:25], v[8:9], v[72:73]
	s_waitcnt vmcnt(8)
	v_fma_f64 v[76:77], v[10:11], s[0:1], -v[16:17]
	s_waitcnt lgkmcnt(1)
	v_mul_f64 v[10:11], v[8:9], v[110:111]
	v_fma_f64 v[24:25], v[18:19], s[0:1], -v[24:25]
	v_mul_f64 v[18:19], v[8:9], v[94:95]
	s_waitcnt vmcnt(7)
	v_fma_f64 v[98:99], v[48:49], s[0:1], -v[10:11]
	v_mul_f64 v[10:11], v[62:63], v[22:23]
	v_fma_f64 v[14:15], v[14:15], s[0:1], -v[18:19]
	v_mul_f64 v[18:19], v[8:9], v[106:107]
	s_waitcnt lgkmcnt(0)
	v_mul_f64 v[16:17], v[8:9], v[114:115]
	v_fma_f64 v[106:107], -v[10:11], v[74:75], v[24:25]
	v_fma_f64 v[110:111], -v[10:11], v[78:79], v[26:27]
	ds_read_b128 v[24:27], v92 offset:1168
	ds_read_b128 v[60:63], v92 offset:1184
	v_fma_f64 v[12:13], v[12:13], s[0:1], -v[18:19]
	v_fma_f64 v[102:103], v[50:51], s[0:1], -v[16:17]
	ds_read_b128 v[16:19], v92 offset:1360
	ds_read_b128 v[72:75], v92 offset:1376
	;; [unrolled: 1-line block ×3, first 2 shown]
	v_fma_f64 v[108:109], -v[10:11], v[108:109], v[12:13]
	v_mul_f64 v[12:13], v[54:55], v[106:107]
	v_fma_f64 v[114:115], -v[10:11], v[96:97], v[14:15]
	v_fma_f64 v[14:15], -v[12:13], v[68:69], v[110:111]
	;; [unrolled: 1-line block ×4, first 2 shown]
	ds_read_b128 v[76:79], v92 offset:1392
	v_mul_f64 v[14:15], v[70:71], v[14:15]
	v_fma_f64 v[64:65], -v[12:13], v[64:65], v[114:115]
	ds_read_b128 v[94:97], v92 offset:1568
	v_fma_f64 v[112:113], -v[10:11], v[112:113], v[98:99]
	ds_read_b128 v[98:101], v92 offset:1584
	v_fma_f64 v[80:81], -v[12:13], v[80:81], v[118:119]
	s_waitcnt lgkmcnt(7)
	v_fma_f64 v[24:25], -v[12:13], v[24:25], v[104:105]
	v_fma_f64 v[64:65], -v[14:15], v[66:67], v[64:65]
	s_waitcnt lgkmcnt(5)
	v_fma_f64 v[16:17], -v[12:13], v[16:17], v[108:109]
	s_waitcnt lgkmcnt(3)
	v_fma_f64 v[20:21], -v[12:13], v[20:21], v[112:113]
	v_fma_f64 v[66:67], -v[14:15], v[82:83], v[80:81]
	;; [unrolled: 1-line block ×3, first 2 shown]
	v_mul_f64 v[24:25], v[56:57], v[64:65]
	v_fma_f64 v[16:17], -v[14:15], v[18:19], v[16:17]
	v_fma_f64 v[18:19], -v[14:15], v[22:23], v[20:21]
	;; [unrolled: 1-line block ×4, first 2 shown]
	v_mul_f64 v[26:27], v[86:87], v[20:21]
	ds_read_b128 v[48:51], v92 offset:1744
	ds_read_b128 v[68:71], v92 offset:1760
	v_fma_f64 v[16:17], -v[24:25], v[72:73], v[16:17]
	v_fma_f64 v[20:21], -v[26:27], v[62:63], v[22:23]
	s_waitcnt lgkmcnt(3)
	v_fma_f64 v[18:19], -v[24:25], v[94:95], v[18:19]
	v_fma_f64 v[16:17], -v[26:27], v[74:75], v[16:17]
	v_mul_f64 v[20:21], v[58:59], v[20:21]
	v_fma_f64 v[18:19], -v[26:27], v[96:97], v[18:19]
	v_fma_f64 v[16:17], -v[20:21], v[76:77], v[16:17]
	s_waitcnt lgkmcnt(2)
	v_fma_f64 v[18:19], -v[20:21], v[98:99], v[18:19]
	v_mul_f64 v[22:23], v[78:79], v[16:17]
	v_fma_f64 v[16:17], -v[22:23], v[100:101], v[18:19]
	v_fma_f64 v[18:19], -v[10:11], v[116:117], v[102:103]
	ds_read_b128 v[56:59], v92 offset:1776
	ds_read2_b64 v[52:55], v92 offset0:200 offset1:250
	s_waitcnt lgkmcnt(3)
	v_fma_f64 v[18:19], -v[12:13], v[48:49], v[18:19]
	v_fma_f64 v[18:19], -v[14:15], v[50:51], v[18:19]
	ds_read_b128 v[48:51], v92 offset:1792
	s_waitcnt lgkmcnt(3)
	v_fma_f64 v[18:19], -v[24:25], v[68:69], v[18:19]
	v_fma_f64 v[18:19], -v[26:27], v[70:71], v[18:19]
	s_waitcnt lgkmcnt(2)
	v_fma_f64 v[18:19], -v[20:21], v[56:57], v[18:19]
	s_waitcnt lgkmcnt(1)
	v_mul_f64 v[16:17], v[52:53], v[16:17]
	v_fma_f64 v[18:19], -v[22:23], v[58:59], v[18:19]
	ds_read_b128 v[56:59], v92 offset:1920
	s_waitcnt lgkmcnt(1)
	v_fma_f64 v[18:19], -v[16:17], v[48:49], v[18:19]
	v_mul_f64 v[18:19], v[50:51], v[18:19]
	global_store_dwordx4 v[88:89], v[8:11], off
	global_store_dwordx4 v[88:89], v[12:15], off offset:16
	global_store_dwordx4 v[88:89], v[24:27], off offset:32
	;; [unrolled: 1-line block ×4, first 2 shown]
	ds_read_b128 v[48:51], v92 offset:1936
	ds_read_b128 v[60:63], v92 offset:1952
	s_waitcnt lgkmcnt(2)
	v_mul_f64 v[52:53], v[8:9], v[56:57]
	s_waitcnt vmcnt(11)
	v_fma_f64 v[28:29], v[28:29], s[0:1], -v[52:53]
	v_fma_f64 v[28:29], -v[10:11], v[58:59], v[28:29]
	ds_read_b128 v[56:59], v92 offset:1968
	s_waitcnt lgkmcnt(2)
	v_fma_f64 v[28:29], -v[12:13], v[48:49], v[28:29]
	v_fma_f64 v[28:29], -v[14:15], v[50:51], v[28:29]
	ds_read_b128 v[48:51], v92 offset:1984
	s_waitcnt lgkmcnt(2)
	v_fma_f64 v[28:29], -v[24:25], v[60:61], v[28:29]
	v_fma_f64 v[28:29], -v[26:27], v[62:63], v[28:29]
	s_waitcnt lgkmcnt(1)
	v_fma_f64 v[28:29], -v[20:21], v[56:57], v[28:29]
	v_fma_f64 v[28:29], -v[22:23], v[58:59], v[28:29]
	ds_read_b128 v[56:59], v92 offset:2112
	s_waitcnt lgkmcnt(1)
	v_fma_f64 v[28:29], -v[16:17], v[48:49], v[28:29]
	v_fma_f64 v[28:29], -v[18:19], v[50:51], v[28:29]
	ds_read_b128 v[48:51], v92 offset:2128
	v_mul_f64 v[28:29], v[54:55], v[28:29]
	s_waitcnt lgkmcnt(1)
	v_mul_f64 v[52:53], v[8:9], v[56:57]
	v_fma_f64 v[30:31], v[30:31], s[0:1], -v[52:53]
	ds_read_b128 v[52:55], v92 offset:2144
	v_fma_f64 v[30:31], -v[10:11], v[58:59], v[30:31]
	s_waitcnt lgkmcnt(1)
	v_fma_f64 v[30:31], -v[12:13], v[48:49], v[30:31]
	v_fma_f64 v[30:31], -v[14:15], v[50:51], v[30:31]
	ds_read_b128 v[48:51], v92 offset:2160
	ds_read_b128 v[56:59], v92 offset:2176
	s_waitcnt lgkmcnt(2)
	v_fma_f64 v[30:31], -v[24:25], v[52:53], v[30:31]
	v_fma_f64 v[30:31], -v[26:27], v[54:55], v[30:31]
	ds_read_b128 v[52:55], v92 offset:2192
	s_waitcnt lgkmcnt(2)
	v_fma_f64 v[30:31], -v[20:21], v[48:49], v[30:31]
	v_fma_f64 v[30:31], -v[22:23], v[50:51], v[30:31]
	s_waitcnt lgkmcnt(1)
	v_fma_f64 v[30:31], -v[16:17], v[56:57], v[30:31]
	ds_read_b128 v[48:51], v92 offset:2304
	v_fma_f64 v[30:31], -v[18:19], v[58:59], v[30:31]
	s_waitcnt lgkmcnt(1)
	v_fma_f64 v[30:31], -v[28:29], v[52:53], v[30:31]
	v_mul_f64 v[30:31], v[54:55], v[30:31]
	global_store_dwordx4 v[88:89], v[28:31], off offset:80
	ds_read_b128 v[52:55], v92 offset:2320
	ds_read_b128 v[56:59], v92 offset:2336
	;; [unrolled: 1-line block ×3, first 2 shown]
	s_waitcnt lgkmcnt(3)
	v_mul_f64 v[48:49], v[8:9], v[48:49]
	s_waitcnt vmcnt(10)
	v_fma_f64 v[36:37], v[36:37], s[0:1], -v[48:49]
	v_fma_f64 v[36:37], -v[10:11], v[50:51], v[36:37]
	s_waitcnt lgkmcnt(2)
	v_fma_f64 v[36:37], -v[12:13], v[52:53], v[36:37]
	v_fma_f64 v[36:37], -v[14:15], v[54:55], v[36:37]
	ds_read_b128 v[48:51], v92 offset:2368
	ds_read_b128 v[52:55], v92 offset:2384
	s_waitcnt lgkmcnt(3)
	v_fma_f64 v[36:37], -v[24:25], v[56:57], v[36:37]
	v_fma_f64 v[36:37], -v[26:27], v[58:59], v[36:37]
	s_waitcnt lgkmcnt(2)
	v_fma_f64 v[36:37], -v[20:21], v[60:61], v[36:37]
	v_fma_f64 v[36:37], -v[22:23], v[62:63], v[36:37]
	;; [unrolled: 3-line block ×3, first 2 shown]
	ds_read_b128 v[48:51], v92 offset:2496
	s_waitcnt lgkmcnt(1)
	v_fma_f64 v[36:37], -v[28:29], v[52:53], v[36:37]
	v_fma_f64 v[36:37], -v[30:31], v[54:55], v[36:37]
	ds_read_b128 v[52:55], v92 offset:2512
	ds_read_b128 v[60:63], v92 offset:2528
	s_waitcnt lgkmcnt(2)
	v_mul_f64 v[48:49], v[8:9], v[48:49]
	v_fma_f64 v[38:39], v[38:39], s[0:1], -v[48:49]
	v_fma_f64 v[38:39], -v[10:11], v[50:51], v[38:39]
	ds_read_b128 v[48:51], v92 offset:2544
	s_waitcnt lgkmcnt(2)
	v_fma_f64 v[38:39], -v[12:13], v[52:53], v[38:39]
	v_fma_f64 v[38:39], -v[14:15], v[54:55], v[38:39]
	ds_read_b128 v[52:55], v92 offset:2560
	s_waitcnt lgkmcnt(2)
	v_fma_f64 v[38:39], -v[24:25], v[60:61], v[38:39]
	v_add_u32_e64 v64, s8, 0
	v_fma_f64 v[38:39], -v[26:27], v[62:63], v[38:39]
	ds_read_b128 v[60:63], v92 offset:2576
	ds_read2_b64 v[56:59], v64 offset0:44 offset1:94
	s_waitcnt lgkmcnt(3)
	v_fma_f64 v[38:39], -v[20:21], v[48:49], v[38:39]
	v_fma_f64 v[38:39], -v[22:23], v[50:51], v[38:39]
	ds_read_b128 v[48:51], v92 offset:2592
	s_waitcnt lgkmcnt(3)
	v_fma_f64 v[38:39], -v[16:17], v[52:53], v[38:39]
	v_fma_f64 v[38:39], -v[18:19], v[54:55], v[38:39]
	ds_read_b128 v[52:55], v92 offset:2688
	s_waitcnt lgkmcnt(3)
	v_fma_f64 v[38:39], -v[28:29], v[60:61], v[38:39]
	s_waitcnt lgkmcnt(2)
	v_mul_f64 v[36:37], v[56:57], v[36:37]
	v_fma_f64 v[38:39], -v[30:31], v[62:63], v[38:39]
	s_waitcnt lgkmcnt(1)
	v_fma_f64 v[38:39], -v[36:37], v[48:49], v[38:39]
	v_mul_f64 v[38:39], v[50:51], v[38:39]
	global_store_dwordx4 v[88:89], v[36:39], off offset:96
	ds_read_b128 v[48:51], v92 offset:2704
	ds_read_b128 v[60:63], v92 offset:2720
	s_waitcnt lgkmcnt(2)
	v_mul_f64 v[52:53], v[8:9], v[52:53]
	v_fma_f64 v[44:45], v[44:45], s[0:1], -v[52:53]
	v_fma_f64 v[44:45], -v[10:11], v[54:55], v[44:45]
	ds_read_b128 v[52:55], v92 offset:2736
	s_waitcnt lgkmcnt(2)
	v_fma_f64 v[44:45], -v[12:13], v[48:49], v[44:45]
	v_fma_f64 v[44:45], -v[14:15], v[50:51], v[44:45]
	ds_read_b128 v[48:51], v92 offset:2752
	s_waitcnt lgkmcnt(2)
	v_fma_f64 v[44:45], -v[24:25], v[60:61], v[44:45]
	;; [unrolled: 4-line block ×4, first 2 shown]
	v_fma_f64 v[44:45], -v[18:19], v[50:51], v[44:45]
	s_waitcnt lgkmcnt(1)
	v_fma_f64 v[44:45], -v[28:29], v[60:61], v[44:45]
	ds_read_b128 v[48:51], v92 offset:2880
	v_fma_f64 v[44:45], -v[30:31], v[62:63], v[44:45]
	s_waitcnt lgkmcnt(1)
	v_fma_f64 v[44:45], -v[36:37], v[52:53], v[44:45]
	v_fma_f64 v[44:45], -v[38:39], v[54:55], v[44:45]
	ds_read_b128 v[52:55], v92 offset:2896
	s_waitcnt lgkmcnt(1)
	v_mul_f64 v[48:49], v[8:9], v[48:49]
	v_fma_f64 v[56:57], v[46:47], s[0:1], -v[48:49]
	ds_read_b128 v[46:49], v92 offset:2912
	v_fma_f64 v[50:51], -v[10:11], v[50:51], v[56:57]
	s_waitcnt lgkmcnt(1)
	v_fma_f64 v[56:57], -v[12:13], v[52:53], v[50:51]
	ds_read_b128 v[50:53], v92 offset:2928
	v_fma_f64 v[54:55], -v[14:15], v[54:55], v[56:57]
	s_waitcnt lgkmcnt(1)
	v_fma_f64 v[46:47], -v[24:25], v[46:47], v[54:55]
	;; [unrolled: 4-line block ×3, first 2 shown]
	v_fma_f64 v[50:51], -v[22:23], v[52:53], v[46:47]
	ds_read_b128 v[46:49], v92 offset:2960
	s_waitcnt lgkmcnt(1)
	v_fma_f64 v[54:55], -v[16:17], v[54:55], v[50:51]
	ds_read_b128 v[50:53], v92 offset:2976
	v_mul_f64 v[44:45], v[58:59], v[44:45]
	v_fma_f64 v[58:59], -v[18:19], v[56:57], v[54:55]
	ds_read_b128 v[54:57], v92 offset:2992
	s_waitcnt lgkmcnt(2)
	v_fma_f64 v[46:47], -v[28:29], v[46:47], v[58:59]
	v_fma_f64 v[46:47], -v[30:31], v[48:49], v[46:47]
	s_waitcnt lgkmcnt(1)
	v_fma_f64 v[46:47], -v[36:37], v[50:51], v[46:47]
	ds_read_b128 v[48:51], v92 offset:3072
	v_fma_f64 v[46:47], -v[38:39], v[52:53], v[46:47]
	s_waitcnt lgkmcnt(1)
	v_fma_f64 v[46:47], -v[44:45], v[54:55], v[46:47]
	v_mul_f64 v[46:47], v[56:57], v[46:47]
	global_store_dwordx4 v[88:89], v[44:47], off offset:112
	ds_read_b128 v[52:55], v92 offset:3088
	ds_read_b128 v[56:59], v92 offset:3104
	;; [unrolled: 1-line block ×3, first 2 shown]
	s_waitcnt lgkmcnt(3)
	v_mul_f64 v[48:49], v[8:9], v[48:49]
	s_waitcnt vmcnt(8)
	v_fma_f64 v[40:41], v[40:41], s[0:1], -v[48:49]
	v_fma_f64 v[40:41], -v[10:11], v[50:51], v[40:41]
	s_waitcnt lgkmcnt(2)
	v_fma_f64 v[40:41], -v[12:13], v[52:53], v[40:41]
	v_fma_f64 v[40:41], -v[14:15], v[54:55], v[40:41]
	ds_read_b128 v[48:51], v92 offset:3136
	ds_read_b128 v[52:55], v92 offset:3152
	s_waitcnt lgkmcnt(3)
	v_fma_f64 v[40:41], -v[24:25], v[56:57], v[40:41]
	v_fma_f64 v[40:41], -v[26:27], v[58:59], v[40:41]
	s_waitcnt lgkmcnt(2)
	v_fma_f64 v[40:41], -v[20:21], v[60:61], v[40:41]
	v_fma_f64 v[40:41], -v[22:23], v[62:63], v[40:41]
	ds_read_b128 v[56:59], v92 offset:3168
	s_waitcnt lgkmcnt(2)
	v_fma_f64 v[40:41], -v[16:17], v[48:49], v[40:41]
	v_fma_f64 v[40:41], -v[18:19], v[50:51], v[40:41]
	ds_read_b128 v[48:51], v92 offset:3184
	s_waitcnt lgkmcnt(2)
	v_fma_f64 v[40:41], -v[28:29], v[52:53], v[40:41]
	v_fma_f64 v[40:41], -v[30:31], v[54:55], v[40:41]
	s_waitcnt lgkmcnt(1)
	v_fma_f64 v[40:41], -v[36:37], v[56:57], v[40:41]
	ds_read2_b64 v[52:55], v64 offset0:144 offset1:194
	v_fma_f64 v[40:41], -v[38:39], v[58:59], v[40:41]
	ds_read_b128 v[56:59], v92 offset:3264
	s_waitcnt lgkmcnt(2)
	v_fma_f64 v[40:41], -v[44:45], v[48:49], v[40:41]
	v_fma_f64 v[40:41], -v[46:47], v[50:51], v[40:41]
	ds_read_b128 v[48:51], v92 offset:3280
	s_waitcnt lgkmcnt(2)
	v_mul_f64 v[40:41], v[52:53], v[40:41]
	s_waitcnt lgkmcnt(1)
	v_mul_f64 v[52:53], v[8:9], v[56:57]
	ds_read_b128 v[60:63], v92 offset:3296
	v_fma_f64 v[42:43], v[42:43], s[0:1], -v[52:53]
	v_fma_f64 v[42:43], -v[10:11], v[58:59], v[42:43]
	ds_read_b128 v[56:59], v92 offset:3312
	s_waitcnt lgkmcnt(2)
	v_fma_f64 v[42:43], -v[12:13], v[48:49], v[42:43]
	v_fma_f64 v[42:43], -v[14:15], v[50:51], v[42:43]
	ds_read_b128 v[48:51], v92 offset:3328
	s_waitcnt lgkmcnt(2)
	v_fma_f64 v[42:43], -v[24:25], v[60:61], v[42:43]
	;; [unrolled: 4-line block ×6, first 2 shown]
	v_fma_f64 v[42:43], -v[38:39], v[58:59], v[42:43]
	s_waitcnt lgkmcnt(1)
	v_fma_f64 v[42:43], -v[44:45], v[48:49], v[42:43]
	v_fma_f64 v[42:43], -v[46:47], v[50:51], v[42:43]
	ds_read_b128 v[48:51], v92 offset:3456
	s_waitcnt lgkmcnt(1)
	v_fma_f64 v[42:43], -v[40:41], v[60:61], v[42:43]
	v_mul_f64 v[42:43], v[62:63], v[42:43]
	global_store_dwordx4 v[88:89], v[40:43], off offset:128
	ds_read_b128 v[56:59], v92 offset:3472
	ds_read_b128 v[60:63], v92 offset:3488
	s_waitcnt lgkmcnt(2)
	v_mul_f64 v[48:49], v[8:9], v[48:49]
	v_fma_f64 v[32:33], v[32:33], s[0:1], -v[48:49]
	v_fma_f64 v[32:33], -v[10:11], v[50:51], v[32:33]
	ds_read_b128 v[48:51], v92 offset:3504
	s_waitcnt lgkmcnt(2)
	v_fma_f64 v[32:33], -v[12:13], v[56:57], v[32:33]
	v_fma_f64 v[32:33], -v[14:15], v[58:59], v[32:33]
	ds_read_b128 v[56:59], v92 offset:3520
	s_waitcnt lgkmcnt(2)
	v_fma_f64 v[32:33], -v[24:25], v[60:61], v[32:33]
	;; [unrolled: 4-line block ×6, first 2 shown]
	v_fma_f64 v[32:33], -v[38:39], v[50:51], v[32:33]
	s_waitcnt lgkmcnt(1)
	v_fma_f64 v[32:33], -v[44:45], v[56:57], v[32:33]
	v_fma_f64 v[32:33], -v[46:47], v[58:59], v[32:33]
	ds_read_b128 v[48:51], v92 offset:3648
	s_waitcnt lgkmcnt(1)
	v_fma_f64 v[32:33], -v[40:41], v[60:61], v[32:33]
	v_fma_f64 v[32:33], -v[42:43], v[62:63], v[32:33]
	v_mul_f64 v[32:33], v[54:55], v[32:33]
	ds_read_b128 v[52:55], v92 offset:3664
	s_waitcnt lgkmcnt(1)
	v_mul_f64 v[48:49], v[8:9], v[48:49]
	ds_read_b128 v[56:59], v92 offset:3680
	v_fma_f64 v[34:35], v[34:35], s[0:1], -v[48:49]
	v_fma_f64 v[34:35], -v[10:11], v[50:51], v[34:35]
	ds_read_b128 v[48:51], v92 offset:3696
	s_waitcnt lgkmcnt(2)
	v_fma_f64 v[34:35], -v[12:13], v[52:53], v[34:35]
	v_fma_f64 v[34:35], -v[14:15], v[54:55], v[34:35]
	ds_read_b128 v[52:55], v92 offset:3712
	s_waitcnt lgkmcnt(2)
	v_fma_f64 v[34:35], -v[24:25], v[56:57], v[34:35]
	;; [unrolled: 4-line block ×7, first 2 shown]
	v_fma_f64 v[34:35], -v[46:47], v[54:55], v[34:35]
	s_waitcnt lgkmcnt(1)
	v_fma_f64 v[34:35], -v[40:41], v[56:57], v[34:35]
	v_fma_f64 v[34:35], -v[42:43], v[58:59], v[34:35]
	s_waitcnt lgkmcnt(0)
	v_fma_f64 v[34:35], -v[32:33], v[48:49], v[34:35]
	v_mul_f64 v[34:35], v[50:51], v[34:35]
	ds_read_b128 v[48:51], v92 offset:3840
	global_store_dwordx4 v[88:89], v[32:35], off offset:144
	ds_read_b128 v[52:55], v92 offset:3856
	ds_read_b128 v[56:59], v92 offset:3872
	ds_read_b128 v[60:63], v92 offset:3888
	s_movk_i32 s8, 0xc00
	s_waitcnt lgkmcnt(3)
	v_mul_f64 v[48:49], v[8:9], v[48:49]
	v_fma_f64 v[4:5], v[4:5], s[0:1], -v[48:49]
	v_fma_f64 v[4:5], -v[10:11], v[50:51], v[4:5]
	s_waitcnt lgkmcnt(2)
	v_fma_f64 v[4:5], -v[12:13], v[52:53], v[4:5]
	v_fma_f64 v[4:5], -v[14:15], v[54:55], v[4:5]
	ds_read_b128 v[48:51], v92 offset:3904
	ds_read_b128 v[52:55], v92 offset:3920
	s_waitcnt lgkmcnt(3)
	v_fma_f64 v[4:5], -v[24:25], v[56:57], v[4:5]
	v_fma_f64 v[4:5], -v[26:27], v[58:59], v[4:5]
	s_waitcnt lgkmcnt(2)
	v_fma_f64 v[4:5], -v[20:21], v[60:61], v[4:5]
	v_fma_f64 v[4:5], -v[22:23], v[62:63], v[4:5]
	ds_read_b128 v[56:59], v92 offset:3936
	s_waitcnt lgkmcnt(2)
	v_fma_f64 v[4:5], -v[16:17], v[48:49], v[4:5]
	v_fma_f64 v[4:5], -v[18:19], v[50:51], v[4:5]
	ds_read_b128 v[48:51], v92 offset:3952
	;; [unrolled: 4-line block ×4, first 2 shown]
	s_waitcnt lgkmcnt(2)
	v_fma_f64 v[4:5], -v[44:45], v[48:49], v[4:5]
	v_fma_f64 v[4:5], -v[46:47], v[50:51], v[4:5]
	s_waitcnt lgkmcnt(1)
	v_fma_f64 v[4:5], -v[40:41], v[52:53], v[4:5]
	v_add_u32_e64 v48, s8, 0
	ds_read2_b64 v[48:51], v48 offset0:116 offset1:166
	v_fma_f64 v[4:5], -v[42:43], v[54:55], v[4:5]
	ds_read_b128 v[52:55], v92 offset:4032
	s_waitcnt lgkmcnt(2)
	v_fma_f64 v[4:5], -v[32:33], v[56:57], v[4:5]
	v_fma_f64 v[4:5], -v[34:35], v[58:59], v[4:5]
	ds_read_b128 v[56:59], v92 offset:4048
	s_waitcnt lgkmcnt(2)
	v_mul_f64 v[4:5], v[48:49], v[4:5]
	s_waitcnt lgkmcnt(1)
	v_mul_f64 v[48:49], v[8:9], v[52:53]
	ds_read_b128 v[60:63], v92 offset:4064
	v_fma_f64 v[6:7], v[6:7], s[0:1], -v[48:49]
	v_fma_f64 v[6:7], -v[10:11], v[54:55], v[6:7]
	ds_read_b128 v[52:55], v92 offset:4080
	s_waitcnt lgkmcnt(2)
	v_fma_f64 v[6:7], -v[12:13], v[56:57], v[6:7]
	v_fma_f64 v[6:7], -v[14:15], v[58:59], v[6:7]
	ds_read_b128 v[56:59], v92 offset:4096
	s_waitcnt lgkmcnt(2)
	v_fma_f64 v[6:7], -v[24:25], v[60:61], v[6:7]
	;; [unrolled: 4-line block ×8, first 2 shown]
	v_fma_f64 v[6:7], -v[42:43], v[62:63], v[6:7]
	s_waitcnt lgkmcnt(1)
	v_fma_f64 v[6:7], -v[32:33], v[52:53], v[6:7]
	v_fma_f64 v[6:7], -v[34:35], v[54:55], v[6:7]
	ds_read_b128 v[52:55], v92 offset:4224
	s_waitcnt lgkmcnt(1)
	v_fma_f64 v[6:7], -v[4:5], v[56:57], v[6:7]
	v_mul_f64 v[6:7], v[58:59], v[6:7]
	global_store_dwordx4 v[88:89], v[4:7], off offset:160
	ds_read_b128 v[56:59], v92 offset:4240
	ds_read_b128 v[60:63], v92 offset:4256
	s_waitcnt lgkmcnt(2)
	v_mul_f64 v[48:49], v[8:9], v[52:53]
	v_fma_f64 v[0:1], v[0:1], s[0:1], -v[48:49]
	v_fma_f64 v[0:1], -v[10:11], v[54:55], v[0:1]
	ds_read_b128 v[52:55], v92 offset:4272
	s_waitcnt lgkmcnt(2)
	v_fma_f64 v[0:1], -v[12:13], v[56:57], v[0:1]
	v_fma_f64 v[0:1], -v[14:15], v[58:59], v[0:1]
	ds_read_b128 v[56:59], v92 offset:4288
	s_waitcnt lgkmcnt(2)
	v_fma_f64 v[0:1], -v[24:25], v[60:61], v[0:1]
	;; [unrolled: 4-line block ×8, first 2 shown]
	v_fma_f64 v[0:1], -v[42:43], v[62:63], v[0:1]
	s_waitcnt lgkmcnt(1)
	v_fma_f64 v[0:1], -v[32:33], v[52:53], v[0:1]
	v_fma_f64 v[0:1], -v[34:35], v[54:55], v[0:1]
	ds_read_b128 v[52:55], v92 offset:4416
	s_waitcnt lgkmcnt(1)
	v_fma_f64 v[0:1], -v[4:5], v[56:57], v[0:1]
	v_fma_f64 v[0:1], -v[6:7], v[58:59], v[0:1]
	v_mul_f64 v[0:1], v[50:51], v[0:1]
	ds_read_b128 v[48:51], v92 offset:4432
	s_waitcnt lgkmcnt(1)
	v_mul_f64 v[8:9], v[8:9], v[52:53]
	ds_read_b128 v[56:59], v92 offset:4448
	v_fma_f64 v[2:3], v[2:3], s[0:1], -v[8:9]
	v_fma_f64 v[2:3], -v[10:11], v[54:55], v[2:3]
	ds_read_b128 v[8:11], v92 offset:4464
	s_waitcnt lgkmcnt(2)
	v_fma_f64 v[2:3], -v[12:13], v[48:49], v[2:3]
	v_fma_f64 v[2:3], -v[14:15], v[50:51], v[2:3]
	ds_read_b128 v[12:15], v92 offset:4480
	s_waitcnt lgkmcnt(2)
	v_fma_f64 v[2:3], -v[24:25], v[56:57], v[2:3]
	;; [unrolled: 4-line block ×9, first 2 shown]
	v_fma_f64 v[2:3], -v[34:35], v[10:11], v[2:3]
	s_waitcnt lgkmcnt(1)
	v_fma_f64 v[2:3], -v[4:5], v[12:13], v[2:3]
	v_fma_f64 v[2:3], -v[6:7], v[14:15], v[2:3]
	s_waitcnt lgkmcnt(0)
	v_fma_f64 v[2:3], -v[0:1], v[16:17], v[2:3]
	v_mul_f64 v[2:3], v[18:19], v[2:3]
	s_mov_b32 s8, 24
	global_store_dwordx4 v[88:89], v[0:3], off offset:176
.LBB93_14:
	s_cmp_lt_i32 s8, s16
	s_cbranch_scc0 .LBB93_31
; %bb.15:
	s_add_i32 s9, s8, 19
	s_cmp_ge_u32 s9, s16
	s_cbranch_scc1 .LBB93_20
; %bb.16:
	s_lshl_b32 s12, s8, 3
	v_add_co_u32_e32 v28, vcc, s12, v88
	v_addc_co_u32_e32 v29, vcc, 0, v89, vcc
	global_load_dwordx4 v[0:3], v[28:29], off
	global_load_dwordx4 v[4:7], v[28:29], off offset:16
	global_load_dwordx4 v[8:11], v[28:29], off offset:32
	;; [unrolled: 1-line block ×9, first 2 shown]
	s_mov_b32 s12, 0
	s_andn2_b64 vcc, exec, s[6:7]
	s_waitcnt vmcnt(9)
	v_mul_f64 v[0:1], v[0:1], s[0:1]
	v_mul_f64 v[2:3], v[2:3], s[0:1]
	s_waitcnt vmcnt(8)
	v_mul_f64 v[4:5], v[4:5], s[0:1]
	v_mul_f64 v[6:7], v[6:7], s[0:1]
	;; [unrolled: 3-line block ×10, first 2 shown]
	s_cbranch_vccnz .LBB93_19
; %bb.17:
	s_mul_i32 s6, s8, 0xc0
	v_pk_mov_b32 v[42:43], v[88:89], v[88:89] op_sel:[0,1]
.LBB93_18:                              ; =>This Inner Loop Header: Depth=1
	global_load_dwordx2 v[84:85], v[42:43], off
	v_mov_b32_e32 v64, s6
	v_add_u32_e32 v65, 0x400, v64
	v_add_u32_e32 v80, 0x800, v64
	ds_read2_b64 v[44:47], v64 offset1:24
	ds_read2_b64 v[48:51], v64 offset0:48 offset1:72
	ds_read2_b64 v[52:55], v64 offset0:96 offset1:120
	;; [unrolled: 1-line block ×9, first 2 shown]
	s_add_i32 s12, s12, 1
	s_add_i32 s6, s6, 8
	v_add_co_u32_e32 v42, vcc, 8, v42
	v_addc_co_u32_e32 v43, vcc, 0, v43, vcc
	s_cmp_lt_u32 s12, s8
	s_waitcnt vmcnt(0) lgkmcnt(9)
	v_fma_f64 v[0:1], -v[84:85], v[44:45], v[0:1]
	v_fma_f64 v[2:3], -v[84:85], v[46:47], v[2:3]
	s_waitcnt lgkmcnt(8)
	v_fma_f64 v[4:5], -v[84:85], v[48:49], v[4:5]
	v_fma_f64 v[6:7], -v[84:85], v[50:51], v[6:7]
	s_waitcnt lgkmcnt(7)
	;; [unrolled: 3-line block ×9, first 2 shown]
	v_fma_f64 v[32:33], -v[84:85], v[80:81], v[32:33]
	v_fma_f64 v[30:31], -v[84:85], v[82:83], v[30:31]
	s_cbranch_scc1 .LBB93_18
.LBB93_19:
	s_or_b32 s7, s8, 1
	s_mul_i32 s6, s8, 0xc8
	s_mul_i32 s7, s7, 24
	v_mov_b32_e32 v42, s6
	s_add_i32 s6, s7, s8
	s_lshl_b32 s6, s6, 3
	ds_read2_b64 v[44:47], v42 offset1:50
	v_mov_b32_e32 v43, s6
	ds_read_b128 v[48:51], v43
	ds_read_b128 v[52:55], v43 offset:192
	s_add_i32 s12, s7, 0x48
	s_waitcnt lgkmcnt(2)
	v_mul_f64 v[0:1], v[44:45], v[0:1]
	s_or_b32 s13, s12, s8
	s_waitcnt lgkmcnt(1)
	v_fma_f64 v[2:3], -v[0:1], v[48:49], v[2:3]
	v_mul_f64 v[2:3], v[50:51], v[2:3]
	ds_read_b128 v[48:51], v43 offset:384
	s_waitcnt lgkmcnt(1)
	v_fma_f64 v[4:5], -v[0:1], v[52:53], v[4:5]
	v_fma_f64 v[4:5], -v[2:3], v[54:55], v[4:5]
	v_mul_f64 v[4:5], v[46:47], v[4:5]
	ds_read_b128 v[44:47], v43 offset:400
	s_lshl_b32 s13, s13, 3
	s_waitcnt lgkmcnt(1)
	v_fma_f64 v[6:7], -v[0:1], v[48:49], v[6:7]
	v_mov_b32_e32 v43, s13
	v_fma_f64 v[6:7], -v[2:3], v[50:51], v[6:7]
	ds_read_b128 v[48:51], v43
	s_waitcnt lgkmcnt(1)
	v_fma_f64 v[6:7], -v[4:5], v[44:45], v[6:7]
	v_mul_f64 v[6:7], v[46:47], v[6:7]
	ds_read_b128 v[44:47], v43 offset:16
	s_add_i32 s12, s12, s8
	s_lshl_b32 s12, s12, 3
	s_waitcnt lgkmcnt(1)
	v_fma_f64 v[8:9], -v[0:1], v[48:49], v[8:9]
	v_mov_b32_e32 v43, s12
	v_fma_f64 v[8:9], -v[2:3], v[50:51], v[8:9]
	ds_read_b128 v[52:55], v43 offset:192
	s_waitcnt lgkmcnt(1)
	v_fma_f64 v[8:9], -v[4:5], v[44:45], v[8:9]
	v_fma_f64 v[8:9], -v[6:7], v[46:47], v[8:9]
	ds_read_b128 v[44:47], v43 offset:208
	ds_read_b128 v[56:59], v43 offset:224
	s_waitcnt lgkmcnt(2)
	v_fma_f64 v[10:11], -v[0:1], v[52:53], v[10:11]
	v_fma_f64 v[10:11], -v[2:3], v[54:55], v[10:11]
	ds_read2_b64 v[48:51], v42 offset0:100 offset1:150
	s_waitcnt lgkmcnt(2)
	v_fma_f64 v[10:11], -v[4:5], v[44:45], v[10:11]
	v_fma_f64 v[10:11], -v[6:7], v[46:47], v[10:11]
	ds_read_b128 v[44:47], v43 offset:384
	ds_read_b128 v[52:55], v43 offset:400
	s_waitcnt lgkmcnt(2)
	v_mul_f64 v[8:9], v[48:49], v[8:9]
	v_fma_f64 v[10:11], -v[8:9], v[56:57], v[10:11]
	v_mul_f64 v[10:11], v[58:59], v[10:11]
	ds_read_b128 v[56:59], v43 offset:416
	s_waitcnt lgkmcnt(2)
	v_fma_f64 v[12:13], -v[0:1], v[44:45], v[12:13]
	v_fma_f64 v[12:13], -v[2:3], v[46:47], v[12:13]
	ds_read_b128 v[44:47], v43 offset:576
	s_waitcnt lgkmcnt(2)
	v_fma_f64 v[12:13], -v[4:5], v[52:53], v[12:13]
	v_fma_f64 v[12:13], -v[6:7], v[54:55], v[12:13]
	ds_read_b128 v[52:55], v43 offset:592
	s_waitcnt lgkmcnt(2)
	v_fma_f64 v[12:13], -v[8:9], v[56:57], v[12:13]
	s_waitcnt lgkmcnt(1)
	v_fma_f64 v[14:15], -v[0:1], v[44:45], v[14:15]
	v_fma_f64 v[14:15], -v[2:3], v[46:47], v[14:15]
	ds_read_b128 v[44:47], v43 offset:608
	global_store_dwordx4 v[28:29], v[0:3], off
	global_store_dwordx4 v[28:29], v[4:7], off offset:16
	global_store_dwordx4 v[28:29], v[8:11], off offset:32
	v_fma_f64 v[12:13], -v[10:11], v[58:59], v[12:13]
	s_add_i32 s12, s7, 0xa8
	v_mul_f64 v[12:13], v[50:51], v[12:13]
	s_waitcnt lgkmcnt(1)
	v_fma_f64 v[14:15], -v[4:5], v[52:53], v[14:15]
	ds_read_b64 v[52:53], v43 offset:624
	ds_read2_b64 v[48:51], v42 offset0:175 offset1:200
	s_or_b32 s13, s12, s8
	v_fma_f64 v[14:15], -v[6:7], v[54:55], v[14:15]
	s_lshl_b32 s13, s13, 3
	s_waitcnt lgkmcnt(2)
	v_fma_f64 v[14:15], -v[8:9], v[44:45], v[14:15]
	v_mov_b32_e32 v43, s13
	v_fma_f64 v[14:15], -v[10:11], v[46:47], v[14:15]
	ds_read_b128 v[44:47], v43
	s_waitcnt lgkmcnt(2)
	v_fma_f64 v[14:15], -v[12:13], v[52:53], v[14:15]
	s_waitcnt lgkmcnt(1)
	v_mul_f64 v[14:15], v[48:49], v[14:15]
	global_store_dwordx4 v[28:29], v[12:15], off offset:48
	ds_read_b128 v[52:55], v43 offset:16
	ds_read_b128 v[56:59], v43 offset:32
	;; [unrolled: 1-line block ×3, first 2 shown]
	s_waitcnt lgkmcnt(3)
	v_fma_f64 v[16:17], -v[0:1], v[44:45], v[16:17]
	v_fma_f64 v[16:17], -v[2:3], v[46:47], v[16:17]
	s_add_i32 s12, s12, s8
	s_waitcnt lgkmcnt(2)
	v_fma_f64 v[16:17], -v[4:5], v[52:53], v[16:17]
	s_lshl_b32 s12, s12, 3
	v_fma_f64 v[16:17], -v[6:7], v[54:55], v[16:17]
	v_mov_b32_e32 v43, s12
	s_waitcnt lgkmcnt(1)
	v_fma_f64 v[16:17], -v[8:9], v[56:57], v[16:17]
	ds_read_b128 v[44:47], v43 offset:192
	v_fma_f64 v[16:17], -v[10:11], v[58:59], v[16:17]
	s_waitcnt lgkmcnt(1)
	v_fma_f64 v[16:17], -v[12:13], v[60:61], v[16:17]
	v_fma_f64 v[16:17], -v[14:15], v[62:63], v[16:17]
	v_mul_f64 v[16:17], v[50:51], v[16:17]
	ds_read_b128 v[48:51], v43 offset:208
	ds_read_b128 v[52:55], v43 offset:224
	;; [unrolled: 1-line block ×3, first 2 shown]
	s_waitcnt lgkmcnt(3)
	v_fma_f64 v[18:19], -v[0:1], v[44:45], v[18:19]
	v_fma_f64 v[18:19], -v[2:3], v[46:47], v[18:19]
	s_waitcnt lgkmcnt(2)
	v_fma_f64 v[18:19], -v[4:5], v[48:49], v[18:19]
	v_fma_f64 v[18:19], -v[6:7], v[50:51], v[18:19]
	;; [unrolled: 3-line block ×3, first 2 shown]
	ds_read2_b64 v[44:47], v43 offset0:32 offset1:82
	ds_read2_b64 v[48:51], v42 offset0:225 offset1:250
	ds_read_b128 v[52:55], v43 offset:384
	s_waitcnt lgkmcnt(3)
	v_fma_f64 v[18:19], -v[12:13], v[56:57], v[18:19]
	v_fma_f64 v[18:19], -v[14:15], v[58:59], v[18:19]
	ds_read_b128 v[56:59], v43 offset:400
	ds_read_b128 v[60:63], v43 offset:416
	s_waitcnt lgkmcnt(2)
	v_fma_f64 v[20:21], -v[0:1], v[52:53], v[20:21]
	v_fma_f64 v[20:21], -v[2:3], v[54:55], v[20:21]
	ds_read_b128 v[52:55], v43 offset:432
	s_waitcnt lgkmcnt(2)
	v_fma_f64 v[20:21], -v[4:5], v[56:57], v[20:21]
	v_fma_f64 v[20:21], -v[6:7], v[58:59], v[20:21]
	;; [unrolled: 4-line block ×3, first 2 shown]
	s_waitcnt lgkmcnt(1)
	v_fma_f64 v[20:21], -v[12:13], v[52:53], v[20:21]
	v_fma_f64 v[18:19], -v[16:17], v[44:45], v[18:19]
	;; [unrolled: 1-line block ×3, first 2 shown]
	ds_read_b128 v[52:55], v43 offset:576
	v_mul_f64 v[18:19], v[48:49], v[18:19]
	s_waitcnt lgkmcnt(1)
	v_fma_f64 v[20:21], -v[16:17], v[56:57], v[20:21]
	v_fma_f64 v[20:21], -v[18:19], v[58:59], v[20:21]
	ds_read_b128 v[56:59], v43 offset:592
	v_mul_f64 v[20:21], v[50:51], v[20:21]
	ds_read_b128 v[48:51], v43 offset:608
	s_waitcnt lgkmcnt(2)
	v_fma_f64 v[22:23], -v[0:1], v[52:53], v[22:23]
	v_fma_f64 v[22:23], -v[2:3], v[54:55], v[22:23]
	s_waitcnt lgkmcnt(1)
	v_fma_f64 v[22:23], -v[4:5], v[56:57], v[22:23]
	ds_read_b128 v[52:55], v43 offset:624
	v_fma_f64 v[22:23], -v[6:7], v[58:59], v[22:23]
	s_waitcnt lgkmcnt(1)
	v_fma_f64 v[22:23], -v[8:9], v[48:49], v[22:23]
	v_fma_f64 v[22:23], -v[10:11], v[50:51], v[22:23]
	ds_read_b128 v[48:51], v43 offset:640
	v_add_u32_e32 v43, 0x800, v42
	s_waitcnt lgkmcnt(1)
	v_fma_f64 v[22:23], -v[12:13], v[52:53], v[22:23]
	ds_read2_b64 v[56:59], v43 offset0:19 offset1:44
	v_fma_f64 v[22:23], -v[14:15], v[54:55], v[22:23]
	s_waitcnt lgkmcnt(1)
	v_fma_f64 v[22:23], -v[16:17], v[48:49], v[22:23]
	s_addk_i32 s7, 0x108
	v_fma_f64 v[22:23], -v[18:19], v[50:51], v[22:23]
	s_or_b32 s12, s7, s8
	v_fma_f64 v[22:23], -v[20:21], v[46:47], v[22:23]
	s_lshl_b32 s12, s12, 3
	s_waitcnt lgkmcnt(0)
	v_mul_f64 v[22:23], v[56:57], v[22:23]
	v_mov_b32_e32 v56, s12
	ds_read_b128 v[44:47], v56
	global_store_dwordx4 v[28:29], v[16:19], off offset:64
	global_store_dwordx4 v[28:29], v[20:23], off offset:80
	ds_read_b128 v[48:51], v56 offset:16
	ds_read_b128 v[52:55], v56 offset:32
	;; [unrolled: 1-line block ×3, first 2 shown]
	s_add_i32 s7, s7, s8
	s_waitcnt lgkmcnt(3)
	v_fma_f64 v[24:25], -v[0:1], v[44:45], v[24:25]
	v_fma_f64 v[24:25], -v[2:3], v[46:47], v[24:25]
	s_waitcnt lgkmcnt(2)
	v_fma_f64 v[24:25], -v[4:5], v[48:49], v[24:25]
	v_fma_f64 v[24:25], -v[6:7], v[50:51], v[24:25]
	ds_read_b128 v[44:47], v56 offset:64
	ds_read_b128 v[48:51], v56 offset:80
	s_waitcnt lgkmcnt(3)
	v_fma_f64 v[24:25], -v[8:9], v[52:53], v[24:25]
	v_fma_f64 v[24:25], -v[10:11], v[54:55], v[24:25]
	s_waitcnt lgkmcnt(2)
	v_fma_f64 v[24:25], -v[12:13], v[60:61], v[24:25]
	v_fma_f64 v[24:25], -v[14:15], v[62:63], v[24:25]
	s_waitcnt lgkmcnt(1)
	v_fma_f64 v[24:25], -v[16:17], v[44:45], v[24:25]
	s_lshl_b32 s7, s7, 3
	v_fma_f64 v[24:25], -v[18:19], v[46:47], v[24:25]
	v_mov_b32_e32 v44, s7
	s_waitcnt lgkmcnt(0)
	v_fma_f64 v[24:25], -v[20:21], v[48:49], v[24:25]
	ds_read_b128 v[46:49], v44 offset:192
	v_fma_f64 v[24:25], -v[22:23], v[50:51], v[24:25]
	v_mul_f64 v[24:25], v[58:59], v[24:25]
	ds_read_b128 v[50:53], v44 offset:208
	ds_read_b128 v[54:57], v44 offset:224
	;; [unrolled: 1-line block ×3, first 2 shown]
	s_mul_i32 s7, s9, 24
	s_waitcnt lgkmcnt(3)
	v_fma_f64 v[26:27], -v[0:1], v[46:47], v[26:27]
	v_fma_f64 v[26:27], -v[2:3], v[48:49], v[26:27]
	s_waitcnt lgkmcnt(2)
	v_fma_f64 v[26:27], -v[4:5], v[50:51], v[26:27]
	v_fma_f64 v[26:27], -v[6:7], v[52:53], v[26:27]
	ds_read_b128 v[46:49], v44 offset:256
	ds_read_b128 v[50:53], v44 offset:272
	s_waitcnt lgkmcnt(3)
	v_fma_f64 v[26:27], -v[8:9], v[54:55], v[26:27]
	v_fma_f64 v[26:27], -v[10:11], v[56:57], v[26:27]
	s_waitcnt lgkmcnt(2)
	v_fma_f64 v[26:27], -v[12:13], v[58:59], v[26:27]
	v_fma_f64 v[26:27], -v[14:15], v[60:61], v[26:27]
	s_waitcnt lgkmcnt(1)
	v_fma_f64 v[26:27], -v[16:17], v[46:47], v[26:27]
	ds_read_b128 v[44:47], v44 offset:288
	s_add_i32 s7, s7, s8
	v_fma_f64 v[26:27], -v[18:19], v[48:49], v[26:27]
	s_lshl_b32 s7, s7, 3
	s_waitcnt lgkmcnt(1)
	v_fma_f64 v[26:27], -v[20:21], v[50:51], v[26:27]
	v_mov_b32_e32 v64, s7
	v_fma_f64 v[26:27], -v[22:23], v[52:53], v[26:27]
	ds_read_b128 v[48:51], v64
	ds_read_b128 v[52:55], v42 offset:2688
	s_waitcnt lgkmcnt(2)
	v_fma_f64 v[26:27], -v[24:25], v[44:45], v[26:27]
	v_mul_f64 v[26:27], v[46:47], v[26:27]
	ds_read_b128 v[44:47], v42 offset:2704
	ds_read_b128 v[56:59], v42 offset:2720
	s_waitcnt lgkmcnt(2)
	v_fma_f64 v[40:41], -v[0:1], v[52:53], v[40:41]
	v_fma_f64 v[40:41], -v[2:3], v[54:55], v[40:41]
	ds_read_b128 v[52:55], v42 offset:2736
	s_waitcnt lgkmcnt(2)
	v_fma_f64 v[40:41], -v[4:5], v[44:45], v[40:41]
	v_fma_f64 v[40:41], -v[6:7], v[46:47], v[40:41]
	;; [unrolled: 4-line block ×3, first 2 shown]
	s_waitcnt lgkmcnt(1)
	v_fma_f64 v[40:41], -v[12:13], v[52:53], v[40:41]
	ds_read_b128 v[56:59], v42 offset:2768
	v_fma_f64 v[40:41], -v[14:15], v[54:55], v[40:41]
	s_waitcnt lgkmcnt(1)
	v_fma_f64 v[40:41], -v[16:17], v[44:45], v[40:41]
	v_fma_f64 v[40:41], -v[18:19], v[46:47], v[40:41]
	ds_read_b128 v[44:47], v42 offset:2784
	global_store_dwordx4 v[28:29], v[24:27], off offset:96
	s_waitcnt lgkmcnt(1)
	v_fma_f64 v[40:41], -v[20:21], v[56:57], v[40:41]
	v_fma_f64 v[40:41], -v[22:23], v[58:59], v[40:41]
	ds_read2_b64 v[52:55], v43 offset0:94 offset1:144
	ds_read_b128 v[56:59], v42 offset:2880
	s_waitcnt lgkmcnt(2)
	v_fma_f64 v[40:41], -v[24:25], v[44:45], v[40:41]
	v_fma_f64 v[40:41], -v[26:27], v[46:47], v[40:41]
	ds_read_b128 v[44:47], v42 offset:2896
	s_waitcnt lgkmcnt(2)
	v_mul_f64 v[60:61], v[52:53], v[40:41]
	s_waitcnt lgkmcnt(1)
	v_fma_f64 v[52:53], -v[0:1], v[56:57], v[38:39]
	ds_read_b128 v[38:41], v42 offset:2912
	v_fma_f64 v[52:53], -v[2:3], v[58:59], v[52:53]
	ds_read_b128 v[56:59], v42 offset:2928
	s_waitcnt lgkmcnt(2)
	v_fma_f64 v[44:45], -v[4:5], v[44:45], v[52:53]
	v_fma_f64 v[44:45], -v[6:7], v[46:47], v[44:45]
	s_waitcnt lgkmcnt(1)
	v_fma_f64 v[38:39], -v[8:9], v[38:39], v[44:45]
	ds_read_b128 v[44:47], v42 offset:2944
	v_fma_f64 v[38:39], -v[10:11], v[40:41], v[38:39]
	s_waitcnt lgkmcnt(1)
	v_fma_f64 v[52:53], -v[12:13], v[56:57], v[38:39]
	ds_read_b128 v[38:41], v42 offset:2960
	v_fma_f64 v[52:53], -v[14:15], v[58:59], v[52:53]
	ds_read_b128 v[56:59], v42 offset:2976
	s_waitcnt lgkmcnt(2)
	v_fma_f64 v[44:45], -v[16:17], v[44:45], v[52:53]
	v_fma_f64 v[44:45], -v[18:19], v[46:47], v[44:45]
	s_waitcnt lgkmcnt(1)
	v_fma_f64 v[38:39], -v[20:21], v[38:39], v[44:45]
	ds_read_b128 v[44:47], v42 offset:2992
	v_fma_f64 v[38:39], -v[22:23], v[40:41], v[38:39]
	s_waitcnt lgkmcnt(1)
	v_fma_f64 v[38:39], -v[24:25], v[56:57], v[38:39]
	v_fma_f64 v[52:53], -v[26:27], v[58:59], v[38:39]
	ds_read_b128 v[38:41], v42 offset:3072
	s_waitcnt lgkmcnt(1)
	v_fma_f64 v[44:45], -v[60:61], v[44:45], v[52:53]
	v_mul_f64 v[62:63], v[46:47], v[44:45]
	ds_read_b128 v[44:47], v42 offset:3088
	ds_read_b128 v[56:59], v42 offset:3104
	s_waitcnt lgkmcnt(2)
	v_fma_f64 v[36:37], -v[0:1], v[38:39], v[36:37]
	v_fma_f64 v[36:37], -v[2:3], v[40:41], v[36:37]
	global_store_dwordx4 v[28:29], v[60:63], off offset:112
	s_waitcnt lgkmcnt(1)
	v_fma_f64 v[40:41], -v[4:5], v[44:45], v[36:37]
	ds_read_b128 v[36:39], v42 offset:3120
	v_fma_f64 v[40:41], -v[6:7], v[46:47], v[40:41]
	ds_read_b128 v[44:47], v42 offset:3136
	s_waitcnt lgkmcnt(2)
	v_fma_f64 v[40:41], -v[8:9], v[56:57], v[40:41]
	v_fma_f64 v[40:41], -v[10:11], v[58:59], v[40:41]
	s_waitcnt lgkmcnt(1)
	v_fma_f64 v[36:37], -v[12:13], v[36:37], v[40:41]
	ds_read_b128 v[56:59], v42 offset:3152
	v_fma_f64 v[36:37], -v[14:15], v[38:39], v[36:37]
	s_waitcnt lgkmcnt(1)
	v_fma_f64 v[40:41], -v[16:17], v[44:45], v[36:37]
	ds_read_b128 v[36:39], v42 offset:3168
	;; [unrolled: 4-line block ×3, first 2 shown]
	v_fma_f64 v[40:41], -v[22:23], v[58:59], v[40:41]
	s_waitcnt lgkmcnt(1)
	v_fma_f64 v[36:37], -v[24:25], v[36:37], v[40:41]
	v_fma_f64 v[40:41], -v[26:27], v[38:39], v[36:37]
	ds_read_b128 v[36:39], v42 offset:3264
	s_waitcnt lgkmcnt(1)
	v_fma_f64 v[40:41], -v[60:61], v[44:45], v[40:41]
	v_fma_f64 v[40:41], -v[62:63], v[46:47], v[40:41]
	ds_read_b128 v[44:47], v42 offset:3280
	v_mul_f64 v[52:53], v[54:55], v[40:41]
	s_waitcnt lgkmcnt(1)
	v_fma_f64 v[40:41], -v[0:1], v[36:37], v[34:35]
	ds_read_b128 v[34:37], v42 offset:3296
	v_fma_f64 v[38:39], -v[2:3], v[38:39], v[40:41]
	s_waitcnt lgkmcnt(1)
	v_fma_f64 v[44:45], -v[4:5], v[44:45], v[38:39]
	ds_read_b128 v[38:41], v42 offset:3312
	v_fma_f64 v[44:45], -v[6:7], v[46:47], v[44:45]
	;; [unrolled: 4-line block ×4, first 2 shown]
	s_waitcnt lgkmcnt(1)
	v_fma_f64 v[38:39], -v[16:17], v[44:45], v[38:39]
	v_fma_f64 v[44:45], -v[18:19], v[46:47], v[38:39]
	ds_read_b128 v[38:41], v42 offset:3360
	s_waitcnt lgkmcnt(1)
	v_fma_f64 v[34:35], -v[20:21], v[34:35], v[44:45]
	ds_read_b128 v[44:47], v42 offset:3376
	v_fma_f64 v[54:55], -v[22:23], v[36:37], v[34:35]
	ds_read_b128 v[34:37], v42 offset:3392
	s_waitcnt lgkmcnt(2)
	v_fma_f64 v[38:39], -v[24:25], v[38:39], v[54:55]
	v_fma_f64 v[38:39], -v[26:27], v[40:41], v[38:39]
	s_waitcnt lgkmcnt(1)
	v_fma_f64 v[38:39], -v[60:61], v[44:45], v[38:39]
	v_fma_f64 v[38:39], -v[62:63], v[46:47], v[38:39]
	s_waitcnt lgkmcnt(0)
	v_fma_f64 v[34:35], -v[52:53], v[34:35], v[38:39]
	v_mul_f64 v[54:55], v[36:37], v[34:35]
	ds_read_b128 v[34:37], v42 offset:3456
	global_store_dwordx4 v[28:29], v[52:55], off offset:128
	ds_read_b128 v[38:41], v42 offset:3472
	ds_read_b128 v[44:47], v42 offset:3488
	;; [unrolled: 1-line block ×3, first 2 shown]
	s_add_i32 s6, s8, 20
	s_mov_b32 s8, s6
	s_waitcnt lgkmcnt(3)
	v_fma_f64 v[32:33], -v[0:1], v[34:35], v[32:33]
	v_fma_f64 v[32:33], -v[2:3], v[36:37], v[32:33]
	s_waitcnt lgkmcnt(2)
	v_fma_f64 v[32:33], -v[4:5], v[38:39], v[32:33]
	v_fma_f64 v[32:33], -v[6:7], v[40:41], v[32:33]
	s_waitcnt lgkmcnt(1)
	v_fma_f64 v[36:37], -v[8:9], v[44:45], v[32:33]
	ds_read_b128 v[32:35], v42 offset:3520
	v_fma_f64 v[36:37], -v[10:11], v[46:47], v[36:37]
	s_waitcnt lgkmcnt(1)
	v_fma_f64 v[40:41], -v[12:13], v[56:57], v[36:37]
	ds_read_b128 v[36:39], v42 offset:3536
	v_fma_f64 v[40:41], -v[14:15], v[58:59], v[40:41]
	ds_read_b128 v[44:47], v42 offset:3552
	s_waitcnt lgkmcnt(2)
	v_fma_f64 v[32:33], -v[16:17], v[32:33], v[40:41]
	v_fma_f64 v[32:33], -v[18:19], v[34:35], v[32:33]
	s_waitcnt lgkmcnt(1)
	v_fma_f64 v[36:37], -v[20:21], v[36:37], v[32:33]
	ds_read_b128 v[32:35], v42 offset:3568
	v_fma_f64 v[36:37], -v[22:23], v[38:39], v[36:37]
	s_waitcnt lgkmcnt(1)
	v_fma_f64 v[40:41], -v[24:25], v[44:45], v[36:37]
	ds_read_b128 v[36:39], v42 offset:3584
	v_fma_f64 v[40:41], -v[26:27], v[46:47], v[40:41]
	s_waitcnt lgkmcnt(1)
	v_fma_f64 v[32:33], -v[60:61], v[32:33], v[40:41]
	ds_read_b64 v[40:41], v42 offset:3600
	v_fma_f64 v[32:33], -v[62:63], v[34:35], v[32:33]
	s_waitcnt lgkmcnt(1)
	v_fma_f64 v[32:33], -v[52:53], v[36:37], v[32:33]
	v_fma_f64 v[36:37], -v[54:55], v[38:39], v[32:33]
	ds_read_b128 v[32:35], v64 offset:16
	s_waitcnt lgkmcnt(1)
	v_mul_f64 v[36:37], v[40:41], v[36:37]
	ds_read_b128 v[38:41], v64 offset:32
	v_fma_f64 v[0:1], -v[0:1], v[48:49], v[30:31]
	v_fma_f64 v[0:1], -v[2:3], v[50:51], v[0:1]
	s_waitcnt lgkmcnt(1)
	v_fma_f64 v[4:5], -v[4:5], v[32:33], v[0:1]
	ds_read_b128 v[0:3], v64 offset:48
	v_fma_f64 v[4:5], -v[6:7], v[34:35], v[4:5]
	s_waitcnt lgkmcnt(1)
	v_fma_f64 v[8:9], -v[8:9], v[38:39], v[4:5]
	ds_read_b128 v[4:7], v64 offset:64
	;; [unrolled: 4-line block ×4, first 2 shown]
	v_fma_f64 v[4:5], -v[18:19], v[6:7], v[4:5]
	s_waitcnt lgkmcnt(1)
	v_fma_f64 v[4:5], -v[20:21], v[8:9], v[4:5]
	v_fma_f64 v[8:9], -v[22:23], v[10:11], v[4:5]
	ds_read_b128 v[4:7], v64 offset:112
	s_waitcnt lgkmcnt(1)
	v_fma_f64 v[0:1], -v[24:25], v[0:1], v[8:9]
	ds_read_b128 v[8:11], v64 offset:128
	v_fma_f64 v[12:13], -v[26:27], v[2:3], v[0:1]
	ds_read_b128 v[0:3], v64 offset:144
	s_waitcnt lgkmcnt(2)
	v_fma_f64 v[4:5], -v[60:61], v[4:5], v[12:13]
	v_fma_f64 v[4:5], -v[62:63], v[6:7], v[4:5]
	s_waitcnt lgkmcnt(1)
	v_fma_f64 v[4:5], -v[52:53], v[8:9], v[4:5]
	v_fma_f64 v[4:5], -v[54:55], v[10:11], v[4:5]
	s_waitcnt lgkmcnt(0)
	v_fma_f64 v[0:1], -v[36:37], v[0:1], v[4:5]
	v_mul_f64 v[38:39], v[2:3], v[0:1]
	global_store_dwordx4 v[28:29], v[36:39], off offset:144
.LBB93_20:
	s_cmp_ge_i32 s8, s16
	s_cbranch_scc1 .LBB93_31
; %bb.21:
	s_add_i32 s12, s8, -1
	s_add_u32 s6, s10, s4
	s_addc_u32 s7, s11, s5
	s_add_u32 s6, s6, s2
	s_addc_u32 s7, s7, s3
	v_mov_b32_e32 v0, s7
	v_add_co_u32_e32 v8, vcc, s6, v90
	v_addc_co_u32_e32 v9, vcc, v0, v91, vcc
	v_add_co_u32_e32 v0, vcc, 56, v8
	s_mul_i32 s13, s8, 0xc0
	v_addc_co_u32_e32 v1, vcc, 0, v9, vcc
	s_mov_b32 s7, 0
	s_mov_b32 s17, s8
	s_mov_b32 s15, 0
	s_branch .LBB93_23
.LBB93_22:                              ;   in Loop: Header=BB93_23 Depth=1
	s_mul_i32 s6, s8, 0xc8
	v_mov_b32_e32 v6, s6
	ds_read_b64 v[6:7], v6
	s_add_i32 s8, s8, 1
	s_add_i32 s15, s15, 1
	s_addk_i32 s13, 0xc0
	v_add_u16_e64 v10, s17, 1
	s_waitcnt lgkmcnt(0)
	v_mul_f64 v[4:5], v[6:7], v[4:5]
	s_cmp_ge_i32 s8, s16
	v_readfirstlane_b32 s17, v10
	global_store_dwordx2 v[2:3], v[4:5], off
	s_cbranch_scc1 .LBB93_31
.LBB93_23:                              ; =>This Loop Header: Depth=1
                                        ;     Child Loop BB93_26 Depth 2
                                        ;     Child Loop BB93_30 Depth 2
	s_ashr_i32 s9, s8, 31
	s_lshl_b64 s[20:21], s[8:9], 3
	v_mov_b32_e32 v3, s21
	v_add_co_u32_e32 v2, vcc, s20, v88
	v_addc_co_u32_e32 v3, vcc, v89, v3, vcc
	global_load_dwordx2 v[4:5], v[2:3], off
	s_cmp_eq_u32 s8, 0
	s_waitcnt vmcnt(0)
	v_mul_f64 v[4:5], v[4:5], s[0:1]
	s_cbranch_scc1 .LBB93_22
; %bb.24:                               ;   in Loop: Header=BB93_23 Depth=1
	s_add_i32 s6, s12, s15
	s_cmp_lt_u32 s6, 7
	s_cbranch_scc1 .LBB93_28
; %bb.25:                               ;   in Loop: Header=BB93_23 Depth=1
	s_and_b32 s6, s8, -8
	s_mov_b32 s9, 0
	v_pk_mov_b32 v[6:7], v[0:1], v[0:1] op_sel:[0,1]
	s_mov_b32 s19, s13
.LBB93_26:                              ;   Parent Loop BB93_23 Depth=1
                                        ; =>  This Inner Loop Header: Depth=2
	global_load_dwordx4 v[10:13], v[6:7], off offset:-56
	global_load_dwordx4 v[14:17], v[6:7], off offset:-40
	;; [unrolled: 1-line block ×4, first 2 shown]
	v_mov_b32_e32 v38, s19
	ds_read_b128 v[26:29], v38
	ds_read_b128 v[30:33], v38 offset:16
	ds_read_b128 v[34:37], v38 offset:32
	;; [unrolled: 1-line block ×3, first 2 shown]
	s_add_i32 s9, s9, 8
	s_add_i32 s19, s19, 64
	v_add_co_u32_e32 v6, vcc, 64, v6
	v_addc_co_u32_e32 v7, vcc, 0, v7, vcc
	s_cmp_lg_u32 s6, s9
	s_waitcnt vmcnt(3) lgkmcnt(3)
	v_fma_f64 v[4:5], -v[10:11], v[26:27], v[4:5]
	v_fma_f64 v[4:5], -v[12:13], v[28:29], v[4:5]
	s_waitcnt vmcnt(2) lgkmcnt(2)
	v_fma_f64 v[4:5], -v[14:15], v[30:31], v[4:5]
	v_fma_f64 v[4:5], -v[16:17], v[32:33], v[4:5]
	;; [unrolled: 3-line block ×4, first 2 shown]
	s_cbranch_scc1 .LBB93_26
; %bb.27:                               ;   in Loop: Header=BB93_23 Depth=1
	s_and_b32 s9, s8, 7
	s_cmp_eq_u32 s9, 0
	s_cbranch_scc0 .LBB93_29
	s_branch .LBB93_22
.LBB93_28:                              ;   in Loop: Header=BB93_23 Depth=1
	s_mov_b32 s6, 0
	s_and_b32 s9, s8, 7
	s_cmp_eq_u32 s9, 0
	s_cbranch_scc1 .LBB93_22
.LBB93_29:                              ;   in Loop: Header=BB93_23 Depth=1
	s_lshl_b64 s[20:21], s[6:7], 3
	v_mov_b32_e32 v7, s21
	v_add_co_u32_e32 v6, vcc, s20, v8
	s_and_b32 s9, s17, 7
	s_lshl_b32 s19, s6, 3
	v_addc_co_u32_e32 v7, vcc, v9, v7, vcc
.LBB93_30:                              ;   Parent Loop BB93_23 Depth=1
                                        ; =>  This Inner Loop Header: Depth=2
	global_load_dwordx2 v[10:11], v[6:7], off
	s_add_i32 s6, s13, s19
	v_mov_b32_e32 v12, s6
	ds_read_b64 v[12:13], v12
	s_add_i32 s19, s19, 8
	v_add_co_u32_e32 v6, vcc, 8, v6
	s_add_i32 s9, s9, -1
	v_addc_co_u32_e32 v7, vcc, 0, v7, vcc
	s_cmp_lg_u32 s9, 0
	s_waitcnt vmcnt(0) lgkmcnt(0)
	v_fma_f64 v[4:5], -v[10:11], v[12:13], v[4:5]
	s_cbranch_scc1 .LBB93_30
	s_branch .LBB93_22
.LBB93_31:
	s_mov_b64 s[6:7], 0
.LBB93_32:
	s_and_b64 vcc, exec, s[6:7]
	s_cbranch_vccz .LBB93_54
; %bb.33:
	s_cmp_gt_i32 s14, 23
	s_mov_b32 s6, s18
	s_cbranch_scc0 .LBB93_35
; %bb.34:
	s_ashr_i32 s19, s18, 31
	s_lshl_b64 s[6:7], s[18:19], 3
	v_mov_b32_e32 v0, s7
	v_add_co_u32_e32 v44, vcc, s6, v88
	v_addc_co_u32_e32 v45, vcc, v89, v0, vcc
	global_load_dwordx2 v[46:47], v[44:45], off
	s_mov_b32 s17, 0
	s_lshl_b64 s[6:7], s[16:17], 3
	v_mov_b32_e32 v0, s7
	v_add_co_u32_e32 v50, vcc, s6, v88
	v_addc_co_u32_e32 v51, vcc, v89, v0, vcc
	global_load_dwordx2 v[48:49], v[50:51], off offset:-16
	global_load_dwordx4 v[4:7], v[50:51], off offset:-32
	global_load_dwordx4 v[8:11], v[50:51], off offset:-48
	;; [unrolled: 1-line block ×3, first 2 shown]
	s_mul_i32 s6, s18, 0xc8
	s_add_i32 s13, s6, 0xffffff38
	s_add_i32 s19, s6, 0xfffffda8
	v_mov_b32_e32 v0, s13
	v_mov_b32_e32 v1, s19
	ds_read_b64 v[70:71], v0
	ds_read_b64 v[96:97], v1
	global_load_dwordx4 v[16:19], v[50:51], off offset:-80
	global_load_dwordx4 v[24:27], v[50:51], off offset:-96
	;; [unrolled: 1-line block ×8, first 2 shown]
	s_mul_i32 s8, s18, 24
	s_add_i32 s7, s16, -4
	s_add_i32 s9, s16, -6
	s_add_i32 s12, s16, s8
	s_add_i32 s14, s7, s8
	s_sub_i32 s15, s8, 24
	s_sub_i32 s17, s8, 48
	s_add_i32 s20, s9, s8
	s_lshl_b32 s12, s12, 3
	s_lshl_b32 s13, s14, 3
	s_add_i32 s14, s7, s15
	s_add_i32 s7, s7, s17
	s_lshl_b32 s19, s20, 3
	s_add_i32 s15, s9, s15
	s_add_i32 s9, s9, s17
	s_add_i32 s12, s12, -16
	v_mov_b32_e32 v52, s13
	s_lshl_b32 s13, s14, 3
	s_lshl_b32 s7, s7, 3
	v_mov_b32_e32 v54, s19
	s_lshl_b32 s14, s15, 3
	s_lshl_b32 s9, s9, 3
	v_mov_b32_e32 v58, s12
	v_mov_b32_e32 v62, s13
	;; [unrolled: 1-line block ×4, first 2 shown]
	s_add_i32 s7, s9, 0xffffff40
	ds_read2_b64 v[50:53], v52 offset1:1
	ds_read2_b64 v[54:57], v54 offset1:1
	;; [unrolled: 1-line block ×6, first 2 shown]
	v_mov_b32_e32 v73, s9
	s_addk_i32 s9, 0xfe80
	v_mov_b32_e32 v72, s7
	v_mov_b32_e32 v74, s9
	ds_read2_b64 v[80:83], v73 offset1:1
	ds_read2_b64 v[84:87], v72 offset1:1
	;; [unrolled: 1-line block ×3, first 2 shown]
	s_add_i32 s7, s6, 0xfffffc18
	s_add_i32 s12, s8, 0xffffff88
	s_addk_i32 s6, 0xfb50
	s_mul_i32 s9, s16, 0xc8
	s_sub_i32 s14, s16, 20
	s_waitcnt vmcnt(12)
	v_mul_f64 v[46:47], v[46:47], s[0:1]
	s_waitcnt lgkmcnt(6)
	v_mul_f64 v[72:73], v[60:61], v[46:47]
	global_store_dwordx2 v[44:45], v[72:73], off
	v_mul_f64 v[44:45], v[72:73], v[58:59]
	v_mul_f64 v[46:47], v[72:73], v[52:53]
	;; [unrolled: 1-line block ×3, first 2 shown]
	s_waitcnt vmcnt(12)
	v_fma_f64 v[44:45], v[48:49], s[0:1], -v[44:45]
	s_waitcnt vmcnt(11)
	v_fma_f64 v[6:7], v[6:7], s[0:1], -v[46:47]
	v_mul_f64 v[74:75], v[70:71], v[44:45]
	v_mul_f64 v[52:53], v[72:73], v[56:57]
	v_fma_f64 v[4:5], v[4:5], s[0:1], -v[50:51]
	s_waitcnt lgkmcnt(5)
	v_fma_f64 v[6:7], -v[74:75], v[64:65], v[6:7]
	s_waitcnt vmcnt(10)
	v_fma_f64 v[10:11], v[10:11], s[0:1], -v[52:53]
	v_fma_f64 v[4:5], -v[74:75], v[62:63], v[4:5]
	s_waitcnt lgkmcnt(4)
	v_mul_f64 v[6:7], v[68:69], v[6:7]
	v_mov_b32_e32 v44, s7
	v_mul_f64 v[46:47], v[72:73], v[54:55]
	s_waitcnt lgkmcnt(3)
	v_fma_f64 v[10:11], -v[74:75], v[78:79], v[10:11]
	v_fma_f64 v[4:5], -v[6:7], v[66:67], v[4:5]
	ds_read_b64 v[44:45], v44
	v_fma_f64 v[8:9], v[8:9], s[0:1], -v[46:47]
	s_waitcnt lgkmcnt(3)
	v_fma_f64 v[10:11], -v[6:7], v[82:83], v[10:11]
	v_mul_f64 v[4:5], v[96:97], v[4:5]
	v_fma_f64 v[8:9], -v[74:75], v[76:77], v[8:9]
	s_waitcnt lgkmcnt(2)
	v_fma_f64 v[10:11], -v[4:5], v[86:87], v[10:11]
	v_fma_f64 v[8:9], -v[6:7], v[80:81], v[8:9]
	s_add_i32 s7, s16, s12
	s_waitcnt lgkmcnt(1)
	v_mul_f64 v[10:11], v[94:95], v[10:11]
	v_fma_f64 v[8:9], -v[4:5], v[84:85], v[8:9]
	s_lshl_b32 s7, s7, 3
	v_fma_f64 v[8:9], -v[10:11], v[92:93], v[8:9]
	v_mov_b32_e32 v64, s7
	s_waitcnt lgkmcnt(0)
	v_mul_f64 v[8:9], v[44:45], v[8:9]
	ds_read2_b64 v[44:47], v64 offset0:112 offset1:113
	ds_read2_b64 v[48:51], v64 offset0:88 offset1:89
	s_sub_i32 s7, s7, 64
	v_mov_b32_e32 v52, s7
	ds_read2_b64 v[52:55], v52 offset1:1
	ds_read2_b64 v[56:59], v64 offset0:64 offset1:65
	s_waitcnt lgkmcnt(3)
	v_mul_f64 v[46:47], v[72:73], v[46:47]
	s_waitcnt vmcnt(9)
	v_fma_f64 v[14:15], v[14:15], s[0:1], -v[46:47]
	v_mov_b32_e32 v46, s6
	s_add_i32 s6, s16, -9
	ds_read2_b64 v[60:63], v64 offset0:40 offset1:41
	ds_read2_b64 v[64:67], v64 offset0:16 offset1:17
	s_add_i32 s7, s12, s6
	s_lshl_b32 s7, s7, 3
	s_waitcnt lgkmcnt(4)
	v_fma_f64 v[14:15], -v[74:75], v[50:51], v[14:15]
	ds_read_b64 v[46:47], v46
	v_mul_f64 v[44:45], v[72:73], v[44:45]
	s_addk_i32 s7, 0xff40
	s_waitcnt lgkmcnt(3)
	v_fma_f64 v[14:15], -v[6:7], v[58:59], v[14:15]
	v_fma_f64 v[12:13], v[12:13], s[0:1], -v[44:45]
	v_mov_b32_e32 v44, s7
	s_add_i32 s7, s8, 0xffffff58
	s_waitcnt lgkmcnt(2)
	v_fma_f64 v[14:15], -v[4:5], v[62:63], v[14:15]
	s_add_i32 s6, s6, s7
	s_waitcnt lgkmcnt(1)
	v_fma_f64 v[14:15], -v[10:11], v[66:67], v[14:15]
	s_lshl_b32 s6, s6, 3
	v_fma_f64 v[14:15], -v[8:9], v[54:55], v[14:15]
	v_fma_f64 v[12:13], -v[74:75], v[48:49], v[12:13]
	v_mov_b32_e32 v48, s6
	s_waitcnt lgkmcnt(0)
	v_mul_f64 v[14:15], v[46:47], v[14:15]
	v_fma_f64 v[12:13], -v[6:7], v[56:57], v[12:13]
	ds_read2_b64 v[44:47], v44 offset1:1
	ds_read2_b64 v[48:51], v48 offset1:1
	v_fma_f64 v[12:13], -v[4:5], v[60:61], v[12:13]
	s_add_i32 s6, s16, -10
	v_fma_f64 v[12:13], -v[10:11], v[64:65], v[12:13]
	s_add_i32 s7, s7, s6
	v_fma_f64 v[12:13], -v[8:9], v[52:53], v[12:13]
	s_lshl_b32 s7, s7, 3
	s_waitcnt lgkmcnt(1)
	v_fma_f64 v[12:13], -v[14:15], v[46:47], v[12:13]
	v_mov_b32_e32 v70, s7
	s_waitcnt lgkmcnt(0)
	v_mul_f64 v[12:13], v[50:51], v[12:13]
	ds_read2_b64 v[50:53], v70 offset0:168 offset1:169
	s_add_i32 s6, s6, s12
	s_lshl_b32 s6, s6, 3
	v_mov_b32_e32 v46, s6
	ds_read2_b64 v[54:57], v46 offset1:1
	s_waitcnt lgkmcnt(1)
	v_mul_f64 v[46:47], v[72:73], v[52:53]
	ds_read2_b64 v[58:61], v70 offset0:144 offset1:145
	ds_read2_b64 v[62:65], v70 offset0:120 offset1:121
	;; [unrolled: 1-line block ×4, first 2 shown]
	s_waitcnt vmcnt(8)
	v_fma_f64 v[18:19], v[18:19], s[0:1], -v[46:47]
	s_waitcnt lgkmcnt(3)
	v_fma_f64 v[18:19], -v[74:75], v[60:61], v[18:19]
	s_waitcnt lgkmcnt(2)
	v_fma_f64 v[18:19], -v[6:7], v[64:65], v[18:19]
	s_waitcnt lgkmcnt(1)
	v_fma_f64 v[18:19], -v[4:5], v[68:69], v[18:19]
	s_waitcnt lgkmcnt(0)
	v_fma_f64 v[18:19], -v[10:11], v[78:79], v[18:19]
	v_fma_f64 v[18:19], -v[8:9], v[56:57], v[18:19]
	s_add_i32 s6, s9, 0xfffff8f8
	v_fma_f64 v[18:19], -v[14:15], v[44:45], v[18:19]
	v_mov_b32_e32 v44, s6
	v_fma_f64 v[18:19], -v[12:13], v[48:49], v[18:19]
	ds_read_b64 v[48:49], v44
	s_add_i32 s6, s16, -11
	s_add_i32 s7, s12, s6
	s_lshl_b32 s7, s7, 3
	s_add_i32 s13, s7, 0xffffff40
	s_waitcnt lgkmcnt(0)
	v_mul_f64 v[18:19], v[48:49], v[18:19]
	v_mul_f64 v[48:49], v[72:73], v[50:51]
	v_mov_b32_e32 v44, s13
	v_fma_f64 v[16:17], v[16:17], s[0:1], -v[48:49]
	ds_read2_b64 v[44:47], v44 offset1:1
	v_fma_f64 v[16:17], -v[74:75], v[58:59], v[16:17]
	v_fma_f64 v[16:17], -v[6:7], v[62:63], v[16:17]
	s_add_i32 s13, s7, 0xfffffe80
	s_addk_i32 s7, 0xfdc0
	v_fma_f64 v[16:17], -v[4:5], v[66:67], v[16:17]
	v_mov_b32_e32 v52, s7
	s_add_i32 s7, s8, 0xffffff28
	v_mov_b32_e32 v48, s13
	v_fma_f64 v[16:17], -v[10:11], v[76:77], v[16:17]
	s_add_i32 s6, s6, s7
	ds_read2_b64 v[48:51], v48 offset1:1
	ds_read2_b64 v[56:59], v52 offset1:1
	v_fma_f64 v[16:17], -v[8:9], v[54:55], v[16:17]
	s_lshl_b32 s6, s6, 3
	s_waitcnt lgkmcnt(2)
	v_fma_f64 v[16:17], -v[14:15], v[46:47], v[16:17]
	v_mov_b32_e32 v46, s6
	s_add_i32 s6, s16, -12
	s_add_i32 s7, s7, s6
	s_lshl_b32 s7, s7, 3
	s_waitcnt lgkmcnt(1)
	v_fma_f64 v[16:17], -v[12:13], v[50:51], v[16:17]
	ds_read2_b64 v[50:53], v46 offset1:1
	v_mov_b32_e32 v46, s7
	s_waitcnt lgkmcnt(1)
	v_fma_f64 v[16:17], -v[18:19], v[58:59], v[16:17]
	ds_read2_b64 v[58:61], v46 offset0:120 offset1:121
	ds_read2_b64 v[62:65], v46 offset0:216 offset1:217
	s_add_i32 s6, s6, s12
	s_waitcnt lgkmcnt(2)
	v_mul_f64 v[16:17], v[52:53], v[16:17]
	ds_read2_b64 v[52:55], v46 offset0:192 offset1:193
	ds_read2_b64 v[66:69], v46 offset0:168 offset1:169
	;; [unrolled: 1-line block ×3, first 2 shown]
	s_lshl_b32 s6, s6, 3
	s_waitcnt lgkmcnt(3)
	v_mul_f64 v[46:47], v[72:73], v[64:65]
	s_waitcnt vmcnt(7)
	v_fma_f64 v[26:27], v[26:27], s[0:1], -v[46:47]
	s_waitcnt lgkmcnt(2)
	v_fma_f64 v[26:27], -v[74:75], v[54:55], v[26:27]
	v_mov_b32_e32 v46, s6
	s_waitcnt lgkmcnt(1)
	v_fma_f64 v[26:27], -v[6:7], v[68:69], v[26:27]
	ds_read2_b64 v[68:71], v46 offset1:1
	s_waitcnt lgkmcnt(1)
	v_fma_f64 v[26:27], -v[4:5], v[78:79], v[26:27]
	s_add_i32 s6, s9, 0xfffff768
	v_fma_f64 v[26:27], -v[10:11], v[60:61], v[26:27]
	v_mov_b32_e32 v46, s6
	s_add_i32 s6, s16, -13
	ds_read_b64 v[46:47], v46
	s_waitcnt lgkmcnt(1)
	v_fma_f64 v[26:27], -v[8:9], v[70:71], v[26:27]
	s_add_i32 s7, s12, s6
	v_fma_f64 v[26:27], -v[14:15], v[44:45], v[26:27]
	s_lshl_b32 s7, s7, 3
	v_fma_f64 v[26:27], -v[12:13], v[48:49], v[26:27]
	v_mul_f64 v[44:45], v[72:73], v[62:63]
	s_add_i32 s13, s7, 0xffffff40
	v_fma_f64 v[26:27], -v[18:19], v[56:57], v[26:27]
	v_fma_f64 v[24:25], v[24:25], s[0:1], -v[44:45]
	v_mov_b32_e32 v44, s13
	s_add_i32 s13, s7, 0xfffffe80
	v_fma_f64 v[26:27], -v[16:17], v[50:51], v[26:27]
	v_fma_f64 v[24:25], -v[74:75], v[52:53], v[24:25]
	v_mov_b32_e32 v48, s13
	s_waitcnt lgkmcnt(0)
	v_mul_f64 v[26:27], v[46:47], v[26:27]
	v_fma_f64 v[24:25], -v[6:7], v[66:67], v[24:25]
	ds_read2_b64 v[44:47], v44 offset1:1
	ds_read2_b64 v[48:51], v48 offset1:1
	v_fma_f64 v[24:25], -v[4:5], v[76:77], v[24:25]
	v_fma_f64 v[24:25], -v[10:11], v[58:59], v[24:25]
	s_add_i32 s13, s7, 0xfffffdc0
	v_mov_b32_e32 v52, s13
	s_add_i32 s13, s7, 0xfffffd00
	v_fma_f64 v[24:25], -v[8:9], v[68:69], v[24:25]
	s_addk_i32 s7, 0xfc40
	s_waitcnt lgkmcnt(1)
	v_fma_f64 v[24:25], -v[14:15], v[46:47], v[24:25]
	v_mov_b32_e32 v46, s7
	s_add_i32 s7, s8, 0xfffffef8
	v_mov_b32_e32 v56, s13
	s_add_i32 s6, s6, s7
	ds_read2_b64 v[52:55], v52 offset1:1
	ds_read2_b64 v[56:59], v56 offset1:1
	s_lshl_b32 s6, s6, 3
	v_mov_b32_e32 v47, s6
	s_add_i32 s6, s16, -14
	s_add_i32 s7, s7, s6
	s_waitcnt lgkmcnt(2)
	v_fma_f64 v[24:25], -v[12:13], v[50:51], v[24:25]
	s_lshl_b32 s7, s7, 3
	s_waitcnt lgkmcnt(1)
	v_fma_f64 v[24:25], -v[18:19], v[54:55], v[24:25]
	s_add_i32 s13, s7, 0x840
	s_waitcnt lgkmcnt(0)
	v_fma_f64 v[24:25], -v[16:17], v[58:59], v[24:25]
	ds_read2_b64 v[58:61], v46 offset1:1
	ds_read2_b64 v[62:65], v47 offset1:1
	v_mov_b32_e32 v46, s13
	ds_read2_b64 v[66:69], v46 offset1:1
	v_mov_b32_e32 v50, s7
	ds_read2_b64 v[76:79], v50 offset0:168 offset1:169
	s_add_i32 s6, s6, s12
	s_lshl_b32 s6, s6, 3
	s_waitcnt lgkmcnt(1)
	v_mul_f64 v[46:47], v[72:73], v[68:69]
	ds_read2_b64 v[68:71], v50 offset0:216 offset1:217
	ds_read2_b64 v[80:83], v50 offset0:192 offset1:193
	;; [unrolled: 1-line block ×3, first 2 shown]
	s_waitcnt vmcnt(6)
	v_fma_f64 v[30:31], v[30:31], s[0:1], -v[46:47]
	v_mov_b32_e32 v46, s6
	ds_read2_b64 v[92:95], v46 offset1:1
	s_add_i32 s6, s9, 0xfffff5d8
	s_waitcnt lgkmcnt(1)
	v_fma_f64 v[30:31], -v[74:75], v[86:87], v[30:31]
	v_fma_f64 v[30:31], -v[6:7], v[70:71], v[30:31]
	;; [unrolled: 1-line block ×4, first 2 shown]
	s_waitcnt lgkmcnt(0)
	v_fma_f64 v[30:31], -v[8:9], v[94:95], v[30:31]
	v_fma_f64 v[30:31], -v[14:15], v[44:45], v[30:31]
	v_mov_b32_e32 v44, s6
	v_fma_f64 v[30:31], -v[12:13], v[48:49], v[30:31]
	ds_read_b64 v[48:49], v44
	v_fma_f64 v[30:31], -v[18:19], v[52:53], v[30:31]
	v_fma_f64 v[24:25], -v[26:27], v[60:61], v[24:25]
	v_fma_f64 v[30:31], -v[16:17], v[56:57], v[30:31]
	s_add_i32 s6, s16, -15
	v_mul_f64 v[24:25], v[64:65], v[24:25]
	v_fma_f64 v[30:31], -v[26:27], v[58:59], v[30:31]
	s_add_i32 s7, s12, s6
	v_fma_f64 v[30:31], -v[24:25], v[62:63], v[30:31]
	s_lshl_b32 s7, s7, 3
	s_add_i32 s13, s7, 0xffffff40
	s_waitcnt lgkmcnt(0)
	v_mul_f64 v[30:31], v[48:49], v[30:31]
	v_mul_f64 v[48:49], v[72:73], v[66:67]
	v_mov_b32_e32 v44, s13
	v_fma_f64 v[28:29], v[28:29], s[0:1], -v[48:49]
	ds_read2_b64 v[44:47], v44 offset1:1
	v_fma_f64 v[28:29], -v[74:75], v[84:85], v[28:29]
	v_fma_f64 v[28:29], -v[6:7], v[68:69], v[28:29]
	v_fma_f64 v[28:29], -v[4:5], v[80:81], v[28:29]
	v_fma_f64 v[28:29], -v[10:11], v[76:77], v[28:29]
	s_add_i32 s13, s7, 0xfffffe80
	v_fma_f64 v[28:29], -v[8:9], v[92:93], v[28:29]
	v_mov_b32_e32 v48, s13
	ds_read2_b64 v[48:51], v48 offset1:1
	s_add_i32 s13, s7, 0xfffffdc0
	s_waitcnt lgkmcnt(1)
	v_fma_f64 v[28:29], -v[14:15], v[46:47], v[28:29]
	v_mov_b32_e32 v46, s13
	s_add_i32 s13, s7, 0xfffffd00
	ds_read2_b64 v[52:55], v46 offset1:1
	v_mov_b32_e32 v46, s13
	s_add_i32 s13, s7, 0xfffffc40
	ds_read2_b64 v[56:59], v46 offset1:1
	v_mov_b32_e32 v46, s13
	s_add_i32 s13, s7, 0xfffffb80
	s_addk_i32 s7, 0xfac0
	v_mov_b32_e32 v47, s7
	s_add_i32 s7, s8, 0xfffffec8
	s_add_i32 s6, s6, s7
	ds_read2_b64 v[60:63], v46 offset1:1
	v_mov_b32_e32 v46, s13
	s_lshl_b32 s6, s6, 3
	ds_read2_b64 v[64:67], v46 offset1:1
	ds_read2_b64 v[68:71], v47 offset1:1
	v_mov_b32_e32 v46, s6
	s_add_i32 s6, s16, -16
	s_add_i32 s7, s7, s6
	s_lshl_b32 s7, s7, 3
	s_add_i32 s13, s7, 0x9c0
	v_mov_b32_e32 v47, s13
	ds_read2_b64 v[76:79], v46 offset1:1
	ds_read2_b64 v[80:83], v47 offset1:1
	s_add_i32 s13, s7, 0x900
	s_waitcnt lgkmcnt(7)
	v_fma_f64 v[28:29], -v[12:13], v[50:51], v[28:29]
	v_mov_b32_e32 v50, s13
	s_add_i32 s13, s7, 0x840
	s_waitcnt lgkmcnt(0)
	v_mul_f64 v[46:47], v[72:73], v[82:83]
	v_mov_b32_e32 v51, s13
	ds_read2_b64 v[82:85], v50 offset1:1
	ds_read2_b64 v[92:95], v51 offset1:1
	v_mov_b32_e32 v50, s7
	ds_read2_b64 v[96:99], v50 offset0:240 offset1:241
	s_waitcnt vmcnt(5)
	v_fma_f64 v[38:39], v[38:39], s[0:1], -v[46:47]
	s_add_i32 s6, s6, s12
	s_waitcnt lgkmcnt(2)
	v_fma_f64 v[38:39], -v[74:75], v[84:85], v[38:39]
	s_lshl_b32 s6, s6, 3
	s_waitcnt lgkmcnt(1)
	v_fma_f64 v[38:39], -v[6:7], v[94:95], v[38:39]
	ds_read2_b64 v[84:87], v50 offset0:216 offset1:217
	v_mov_b32_e32 v46, s6
	s_waitcnt lgkmcnt(1)
	v_fma_f64 v[38:39], -v[4:5], v[98:99], v[38:39]
	ds_read2_b64 v[98:101], v46 offset1:1
	v_fma_f64 v[28:29], -v[18:19], v[54:55], v[28:29]
	s_waitcnt lgkmcnt(1)
	v_fma_f64 v[38:39], -v[10:11], v[86:87], v[38:39]
	s_add_i32 s6, s9, 0xfffff448
	v_fma_f64 v[28:29], -v[16:17], v[58:59], v[28:29]
	s_waitcnt lgkmcnt(0)
	v_fma_f64 v[38:39], -v[8:9], v[100:101], v[38:39]
	v_fma_f64 v[38:39], -v[14:15], v[44:45], v[38:39]
	;; [unrolled: 1-line block ×3, first 2 shown]
	v_mov_b32_e32 v46, s6
	v_fma_f64 v[38:39], -v[18:19], v[52:53], v[38:39]
	v_fma_f64 v[28:29], -v[26:27], v[62:63], v[28:29]
	ds_read_b64 v[46:47], v46
	v_fma_f64 v[38:39], -v[16:17], v[56:57], v[38:39]
	s_sub_i32 s6, s16, 17
	v_fma_f64 v[28:29], -v[24:25], v[66:67], v[28:29]
	v_fma_f64 v[38:39], -v[26:27], v[60:61], v[38:39]
	s_add_i32 s7, s12, s6
	v_fma_f64 v[28:29], -v[30:31], v[70:71], v[28:29]
	v_fma_f64 v[38:39], -v[24:25], v[64:65], v[38:39]
	s_lshl_b32 s7, s7, 3
	v_mul_f64 v[28:29], v[78:79], v[28:29]
	v_fma_f64 v[38:39], -v[30:31], v[68:69], v[38:39]
	v_mul_f64 v[44:45], v[72:73], v[80:81]
	s_add_i32 s13, s7, 0xffffff40
	v_fma_f64 v[38:39], -v[28:29], v[76:77], v[38:39]
	v_fma_f64 v[36:37], v[36:37], s[0:1], -v[44:45]
	v_mov_b32_e32 v44, s13
	s_waitcnt lgkmcnt(0)
	v_mul_f64 v[38:39], v[46:47], v[38:39]
	v_fma_f64 v[36:37], -v[74:75], v[82:83], v[36:37]
	ds_read2_b64 v[44:47], v44 offset1:1
	v_fma_f64 v[36:37], -v[6:7], v[92:93], v[36:37]
	v_fma_f64 v[36:37], -v[4:5], v[96:97], v[36:37]
	;; [unrolled: 1-line block ×3, first 2 shown]
	s_add_i32 s13, s7, 0xfffffe80
	v_fma_f64 v[36:37], -v[8:9], v[98:99], v[36:37]
	v_mov_b32_e32 v48, s13
	ds_read2_b64 v[48:51], v48 offset1:1
	s_add_i32 s13, s7, 0xfffffdc0
	s_waitcnt lgkmcnt(1)
	v_fma_f64 v[36:37], -v[14:15], v[46:47], v[36:37]
	v_mov_b32_e32 v46, s13
	s_add_i32 s13, s7, 0xfffffd00
	ds_read2_b64 v[52:55], v46 offset1:1
	v_mov_b32_e32 v46, s13
	ds_read2_b64 v[56:59], v46 offset1:1
	s_add_i32 s13, s7, 0xfffffc40
	v_mov_b32_e32 v46, s13
	s_add_i32 s13, s7, 0xfffffb80
	v_mov_b32_e32 v47, s13
	ds_read2_b64 v[60:63], v46 offset1:1
	ds_read2_b64 v[64:67], v47 offset1:1
	s_add_i32 s13, s7, 0xfffffac0
	s_waitcnt lgkmcnt(4)
	v_fma_f64 v[36:37], -v[12:13], v[50:51], v[36:37]
	v_mov_b32_e32 v46, s13
	s_add_i32 s13, s7, 0xfffffa00
	s_waitcnt lgkmcnt(3)
	v_fma_f64 v[36:37], -v[18:19], v[54:55], v[36:37]
	v_mov_b32_e32 v47, s13
	ds_read2_b64 v[68:71], v46 offset1:1
	ds_read2_b64 v[76:79], v47 offset1:1
	s_waitcnt lgkmcnt(4)
	v_fma_f64 v[36:37], -v[16:17], v[58:59], v[36:37]
	s_addk_i32 s7, 0xf940
	s_waitcnt lgkmcnt(3)
	v_fma_f64 v[36:37], -v[26:27], v[62:63], v[36:37]
	v_mov_b32_e32 v46, s7
	s_add_i32 s7, s8, 0xfffffe98
	s_waitcnt lgkmcnt(2)
	v_fma_f64 v[36:37], -v[24:25], v[66:67], v[36:37]
	s_add_i32 s6, s6, s7
	s_waitcnt lgkmcnt(1)
	v_fma_f64 v[36:37], -v[30:31], v[70:71], v[36:37]
	s_lshl_b32 s6, s6, 3
	s_waitcnt lgkmcnt(0)
	v_fma_f64 v[36:37], -v[28:29], v[78:79], v[36:37]
	ds_read2_b64 v[78:81], v46 offset1:1
	v_mov_b32_e32 v46, s6
	s_sub_i32 s6, s16, 18
	s_add_i32 s7, s7, s6
	s_lshl_b32 s7, s7, 3
	s_add_i32 s13, s7, 0xb40
	ds_read2_b64 v[82:85], v46 offset1:1
	v_mov_b32_e32 v46, s13
	ds_read2_b64 v[92:95], v46 offset1:1
	s_add_i32 s13, s7, 0xa80
	s_waitcnt lgkmcnt(2)
	v_fma_f64 v[36:37], -v[38:39], v[80:81], v[36:37]
	v_mov_b32_e32 v46, s13
	s_waitcnt lgkmcnt(1)
	v_mul_f64 v[36:37], v[84:85], v[36:37]
	ds_read2_b64 v[84:87], v46 offset1:1
	s_waitcnt lgkmcnt(1)
	v_mul_f64 v[46:47], v[72:73], v[94:95]
	s_add_i32 s13, s7, 0x9c0
	s_waitcnt vmcnt(4)
	v_fma_f64 v[42:43], v[42:43], s[0:1], -v[46:47]
	v_mov_b32_e32 v46, s13
	s_add_i32 s13, s7, 0x900
	v_mov_b32_e32 v47, s13
	ds_read2_b64 v[94:97], v46 offset1:1
	ds_read2_b64 v[98:101], v47 offset1:1
	s_addk_i32 s7, 0x840
	s_add_i32 s6, s6, s12
	v_mov_b32_e32 v46, s7
	s_lshl_b32 s6, s6, 3
	v_mov_b32_e32 v47, s6
	ds_read2_b64 v[102:105], v46 offset1:1
	ds_read2_b64 v[106:109], v47 offset1:1
	s_waitcnt lgkmcnt(4)
	v_fma_f64 v[42:43], -v[74:75], v[86:87], v[42:43]
	s_waitcnt lgkmcnt(3)
	v_fma_f64 v[42:43], -v[6:7], v[96:97], v[42:43]
	s_waitcnt lgkmcnt(2)
	v_fma_f64 v[42:43], -v[4:5], v[100:101], v[42:43]
	s_waitcnt lgkmcnt(1)
	v_fma_f64 v[42:43], -v[10:11], v[104:105], v[42:43]
	s_waitcnt lgkmcnt(0)
	v_fma_f64 v[42:43], -v[8:9], v[108:109], v[42:43]
	v_fma_f64 v[42:43], -v[14:15], v[44:45], v[42:43]
	v_fma_f64 v[42:43], -v[12:13], v[48:49], v[42:43]
	;; [unrolled: 1-line block ×4, first 2 shown]
	s_add_i32 s6, s9, 0xfffff2b8
	v_fma_f64 v[42:43], -v[26:27], v[60:61], v[42:43]
	v_mov_b32_e32 v44, s6
	v_fma_f64 v[42:43], -v[24:25], v[64:65], v[42:43]
	ds_read_b64 v[48:49], v44
	v_fma_f64 v[42:43], -v[30:31], v[68:69], v[42:43]
	v_fma_f64 v[42:43], -v[28:29], v[76:77], v[42:43]
	s_sub_i32 s7, s16, 19
	v_fma_f64 v[42:43], -v[38:39], v[78:79], v[42:43]
	s_add_i32 s6, s12, s7
	v_fma_f64 v[42:43], -v[36:37], v[82:83], v[42:43]
	s_lshl_b32 s6, s6, 3
	s_add_i32 s13, s6, 0xffffff40
	s_waitcnt lgkmcnt(0)
	v_mul_f64 v[42:43], v[48:49], v[42:43]
	v_mul_f64 v[48:49], v[72:73], v[92:93]
	v_mov_b32_e32 v44, s13
	v_fma_f64 v[40:41], v[40:41], s[0:1], -v[48:49]
	ds_read2_b64 v[44:47], v44 offset1:1
	v_fma_f64 v[40:41], -v[74:75], v[84:85], v[40:41]
	v_fma_f64 v[40:41], -v[6:7], v[94:95], v[40:41]
	;; [unrolled: 1-line block ×4, first 2 shown]
	s_add_i32 s13, s6, 0xfffffe80
	v_fma_f64 v[40:41], -v[8:9], v[106:107], v[40:41]
	v_mov_b32_e32 v48, s13
	ds_read2_b64 v[48:51], v48 offset1:1
	s_add_i32 s13, s6, 0xfffffdc0
	s_waitcnt lgkmcnt(1)
	v_fma_f64 v[40:41], -v[14:15], v[46:47], v[40:41]
	v_mov_b32_e32 v46, s13
	s_add_i32 s13, s6, 0xfffffd00
	ds_read2_b64 v[52:55], v46 offset1:1
	v_mov_b32_e32 v46, s13
	s_add_i32 s13, s6, 0xfffffc40
	ds_read2_b64 v[56:59], v46 offset1:1
	v_mov_b32_e32 v46, s13
	s_add_i32 s13, s6, 0xfffffb80
	ds_read2_b64 v[60:63], v46 offset1:1
	v_mov_b32_e32 v46, s13
	s_add_i32 s13, s6, 0xfffffac0
	ds_read2_b64 v[64:67], v46 offset1:1
	v_mov_b32_e32 v46, s13
	s_add_i32 s13, s6, 0xfffffa00
	ds_read2_b64 v[68:71], v46 offset1:1
	v_mov_b32_e32 v46, s13
	s_add_i32 s13, s6, 0xfffff940
	v_mov_b32_e32 v47, s13
	s_add_i32 s13, s8, 0xfffffe68
	s_add_i32 s15, s13, s14
	s_lshl_b32 s15, s15, 3
	s_add_i32 s17, s15, 0xcc0
	ds_read2_b64 v[76:79], v46 offset1:1
	v_mov_b32_e32 v46, s17
	ds_read2_b64 v[80:83], v46 offset1:1
	ds_read2_b64 v[84:87], v47 offset1:1
	s_add_i32 s7, s7, s13
	s_lshl_b32 s7, s7, 3
	s_waitcnt lgkmcnt(8)
	v_fma_f64 v[40:41], -v[12:13], v[50:51], v[40:41]
	v_mov_b32_e32 v50, s7
	s_add_i32 s7, s15, 0xc00
	s_waitcnt lgkmcnt(1)
	v_mul_f64 v[46:47], v[72:73], v[82:83]
	v_mov_b32_e32 v51, s7
	s_add_i32 s7, s15, 0xb40
	ds_read2_b64 v[92:95], v51 offset1:1
	s_waitcnt vmcnt(3)
	v_fma_f64 v[34:35], v[34:35], s[0:1], -v[46:47]
	v_mov_b32_e32 v46, s7
	ds_read2_b64 v[96:99], v46 offset1:1
	s_add_i32 s7, s15, 0xa80
	v_mov_b32_e32 v46, s7
	s_add_i32 s7, s15, 0x9c0
	s_add_i32 s14, s14, s12
	ds_read2_b64 v[100:103], v46 offset1:1
	v_mov_b32_e32 v46, s7
	s_lshl_b32 s7, s14, 3
	ds_read2_b64 v[104:107], v46 offset1:1
	v_mov_b32_e32 v46, s7
	ds_read2_b64 v[108:111], v46 offset1:1
	s_waitcnt lgkmcnt(4)
	v_fma_f64 v[34:35], -v[74:75], v[94:95], v[34:35]
	s_waitcnt lgkmcnt(3)
	v_fma_f64 v[34:35], -v[6:7], v[98:99], v[34:35]
	;; [unrolled: 2-line block ×5, first 2 shown]
	v_fma_f64 v[34:35], -v[14:15], v[44:45], v[34:35]
	s_add_i32 s7, s6, 0xfffff880
	s_addk_i32 s6, 0xf7c0
	v_fma_f64 v[40:41], -v[18:19], v[54:55], v[40:41]
	v_mov_b32_e32 v54, s6
	s_add_i32 s6, s9, 0xfffff128
	v_fma_f64 v[34:35], -v[12:13], v[48:49], v[34:35]
	v_fma_f64 v[40:41], -v[16:17], v[58:59], v[40:41]
	ds_read2_b64 v[44:47], v50 offset1:1
	v_mov_b32_e32 v50, s7
	v_mov_b32_e32 v51, s6
	v_fma_f64 v[34:35], -v[18:19], v[52:53], v[34:35]
	v_fma_f64 v[40:41], -v[26:27], v[62:63], v[40:41]
	ds_read_b64 v[58:59], v51
	ds_read2_b64 v[48:51], v50 offset1:1
	v_fma_f64 v[34:35], -v[16:17], v[56:57], v[34:35]
	v_fma_f64 v[40:41], -v[24:25], v[66:67], v[40:41]
	ds_read2_b64 v[52:55], v54 offset1:1
	v_fma_f64 v[34:35], -v[26:27], v[60:61], v[34:35]
	v_fma_f64 v[40:41], -v[30:31], v[70:71], v[40:41]
	;; [unrolled: 1-line block ×7, first 2 shown]
	s_waitcnt lgkmcnt(1)
	v_fma_f64 v[40:41], -v[36:37], v[50:51], v[40:41]
	v_fma_f64 v[34:35], -v[38:39], v[84:85], v[34:35]
	s_sub_i32 s6, s16, 21
	s_waitcnt lgkmcnt(0)
	v_fma_f64 v[40:41], -v[42:43], v[54:55], v[40:41]
	v_fma_f64 v[34:35], -v[36:37], v[48:49], v[34:35]
	s_add_i32 s7, s12, s6
	v_mul_f64 v[40:41], v[46:47], v[40:41]
	v_fma_f64 v[34:35], -v[42:43], v[52:53], v[34:35]
	s_lshl_b32 s7, s7, 3
	v_fma_f64 v[34:35], -v[40:41], v[44:45], v[34:35]
	v_mul_f64 v[44:45], v[72:73], v[80:81]
	s_add_i32 s13, s7, 0xffffff40
	v_fma_f64 v[32:33], v[32:33], s[0:1], -v[44:45]
	v_mov_b32_e32 v44, s13
	s_add_i32 s13, s7, 0xfffffe80
	v_fma_f64 v[32:33], -v[74:75], v[92:93], v[32:33]
	ds_read2_b64 v[48:51], v44 offset1:1
	v_mov_b32_e32 v44, s13
	v_fma_f64 v[32:33], -v[6:7], v[96:97], v[32:33]
	ds_read2_b64 v[44:47], v44 offset1:1
	v_fma_f64 v[32:33], -v[4:5], v[100:101], v[32:33]
	v_fma_f64 v[32:33], -v[10:11], v[104:105], v[32:33]
	;; [unrolled: 1-line block ×3, first 2 shown]
	s_add_i32 s13, s7, 0xfffffdc0
	s_waitcnt lgkmcnt(1)
	v_fma_f64 v[32:33], -v[14:15], v[50:51], v[32:33]
	v_mov_b32_e32 v50, s13
	ds_read2_b64 v[50:53], v50 offset1:1
	s_add_i32 s13, s7, 0xfffffd00
	s_waitcnt lgkmcnt(1)
	v_fma_f64 v[32:33], -v[12:13], v[46:47], v[32:33]
	v_mov_b32_e32 v46, s13
	s_add_i32 s13, s7, 0xfffffc40
	ds_read2_b64 v[54:57], v46 offset1:1
	v_mov_b32_e32 v46, s13
	s_add_i32 s13, s7, 0xfffffb80
	v_mul_f64 v[34:35], v[58:59], v[34:35]
	ds_read2_b64 v[58:61], v46 offset1:1
	v_mov_b32_e32 v46, s13
	s_add_i32 s13, s7, 0xfffffac0
	ds_read2_b64 v[62:65], v46 offset1:1
	v_mov_b32_e32 v46, s13
	s_add_i32 s13, s7, 0xfffffa00
	;; [unrolled: 3-line block ×4, first 2 shown]
	s_waitcnt lgkmcnt(5)
	v_fma_f64 v[32:33], -v[18:19], v[52:53], v[32:33]
	v_mov_b32_e32 v52, s13
	s_add_i32 s13, s8, 0xfffffe38
	s_sub_i32 s14, s16, 22
	s_add_i32 s15, s13, s14
	s_waitcnt lgkmcnt(4)
	v_fma_f64 v[32:33], -v[16:17], v[56:57], v[32:33]
	s_lshl_b32 s15, s15, 3
	s_waitcnt lgkmcnt(3)
	v_fma_f64 v[32:33], -v[26:27], v[60:61], v[32:33]
	s_add_i32 s17, s15, 0xe40
	s_waitcnt lgkmcnt(2)
	v_fma_f64 v[32:33], -v[24:25], v[64:65], v[32:33]
	v_mov_b32_e32 v47, s17
	s_waitcnt lgkmcnt(1)
	v_fma_f64 v[32:33], -v[30:31], v[68:69], v[32:33]
	ds_read2_b64 v[68:71], v47 offset1:1
	ds_read2_b64 v[80:83], v46 offset1:1
	s_add_i32 s17, s15, 0xd80
	v_mov_b32_e32 v46, s17
	ds_read2_b64 v[84:87], v46 offset1:1
	s_waitcnt lgkmcnt(2)
	v_mul_f64 v[46:47], v[72:73], v[70:71]
	s_add_i32 s17, s15, 0xcc0
	s_waitcnt vmcnt(2)
	v_fma_f64 v[22:23], v[22:23], s[0:1], -v[46:47]
	v_mov_b32_e32 v46, s17
	s_add_i32 s17, s15, 0xc00
	v_mov_b32_e32 v47, s17
	ds_read2_b64 v[92:95], v46 offset1:1
	ds_read2_b64 v[96:99], v47 offset1:1
	s_addk_i32 s15, 0xb40
	s_add_i32 s14, s14, s12
	v_mov_b32_e32 v46, s15
	s_lshl_b32 s14, s14, 3
	v_mov_b32_e32 v47, s14
	ds_read2_b64 v[100:103], v46 offset1:1
	ds_read2_b64 v[104:107], v47 offset1:1
	s_waitcnt lgkmcnt(4)
	v_fma_f64 v[22:23], -v[74:75], v[86:87], v[22:23]
	s_waitcnt lgkmcnt(3)
	v_fma_f64 v[22:23], -v[6:7], v[94:95], v[22:23]
	;; [unrolled: 2-line block ×5, first 2 shown]
	v_fma_f64 v[22:23], -v[14:15], v[48:49], v[22:23]
	s_add_i32 s14, s7, 0xfffff7c0
	ds_read2_b64 v[46:49], v52 offset1:1
	v_mov_b32_e32 v52, s14
	v_fma_f64 v[22:23], -v[12:13], v[44:45], v[22:23]
	ds_read2_b64 v[106:109], v52 offset1:1
	v_fma_f64 v[22:23], -v[18:19], v[50:51], v[22:23]
	s_add_i32 s14, s7, 0xfffff700
	s_addk_i32 s7, 0xf640
	v_fma_f64 v[22:23], -v[16:17], v[54:55], v[22:23]
	v_mov_b32_e32 v53, s14
	v_fma_f64 v[32:33], -v[28:29], v[78:79], v[32:33]
	v_mov_b32_e32 v44, s7
	ds_read2_b64 v[54:57], v44 offset1:1
	s_add_i32 s6, s6, s13
	v_fma_f64 v[22:23], -v[26:27], v[58:59], v[22:23]
	ds_read2_b64 v[50:53], v53 offset1:1
	v_fma_f64 v[32:33], -v[38:39], v[82:83], v[32:33]
	s_lshl_b32 s6, s6, 3
	v_fma_f64 v[22:23], -v[24:25], v[62:63], v[22:23]
	s_waitcnt lgkmcnt(3)
	v_fma_f64 v[32:33], -v[36:37], v[48:49], v[32:33]
	v_mov_b32_e32 v44, s6
	v_fma_f64 v[22:23], -v[30:31], v[66:67], v[22:23]
	s_waitcnt lgkmcnt(2)
	v_fma_f64 v[32:33], -v[42:43], v[108:109], v[32:33]
	ds_read2_b64 v[108:111], v44 offset1:1
	v_fma_f64 v[22:23], -v[28:29], v[76:77], v[22:23]
	s_add_i32 s13, s9, 0xffffef98
	v_fma_f64 v[22:23], -v[38:39], v[80:81], v[22:23]
	v_mov_b32_e32 v44, s13
	v_fma_f64 v[22:23], -v[36:37], v[46:47], v[22:23]
	ds_read_b64 v[48:49], v44
	s_waitcnt lgkmcnt(2)
	v_fma_f64 v[32:33], -v[40:41], v[52:53], v[32:33]
	v_fma_f64 v[22:23], -v[42:43], v[106:107], v[22:23]
	;; [unrolled: 1-line block ×4, first 2 shown]
	s_sub_i32 s13, s16, 23
	s_waitcnt lgkmcnt(1)
	v_mul_f64 v[32:33], v[110:111], v[32:33]
	v_fma_f64 v[22:23], -v[34:35], v[54:55], v[22:23]
	s_add_i32 s12, s12, s13
	v_fma_f64 v[22:23], -v[32:33], v[108:109], v[22:23]
	s_lshl_b32 s12, s12, 3
	s_add_i32 s14, s12, 0xffffff40
	s_waitcnt lgkmcnt(0)
	v_mul_f64 v[22:23], v[48:49], v[22:23]
	v_mul_f64 v[48:49], v[72:73], v[68:69]
	v_mov_b32_e32 v44, s14
	v_fma_f64 v[20:21], v[20:21], s[0:1], -v[48:49]
	ds_read2_b64 v[44:47], v44 offset1:1
	v_fma_f64 v[20:21], -v[74:75], v[84:85], v[20:21]
	v_fma_f64 v[20:21], -v[6:7], v[92:93], v[20:21]
	v_fma_f64 v[20:21], -v[4:5], v[96:97], v[20:21]
	s_add_i32 s14, s12, 0xfffffe80
	v_fma_f64 v[20:21], -v[10:11], v[100:101], v[20:21]
	v_mov_b32_e32 v48, s14
	ds_read2_b64 v[48:51], v48 offset1:1
	v_fma_f64 v[20:21], -v[8:9], v[104:105], v[20:21]
	s_add_i32 s14, s12, 0xfffffdc0
	s_waitcnt lgkmcnt(1)
	v_fma_f64 v[20:21], -v[14:15], v[46:47], v[20:21]
	v_mov_b32_e32 v46, s14
	s_add_i32 s14, s12, 0xfffffd00
	ds_read2_b64 v[56:59], v46 offset1:1
	v_mov_b32_e32 v46, s14
	s_add_i32 s14, s12, 0xfffffc40
	ds_read2_b64 v[60:63], v46 offset1:1
	;; [unrolled: 3-line block ×3, first 2 shown]
	v_mov_b32_e32 v46, s14
	s_waitcnt lgkmcnt(3)
	v_fma_f64 v[20:21], -v[12:13], v[50:51], v[20:21]
	ds_read2_b64 v[50:53], v46 offset1:1
	s_waitcnt lgkmcnt(3)
	v_fma_f64 v[20:21], -v[18:19], v[58:59], v[20:21]
	s_add_i32 s14, s12, 0xfffffac0
	s_waitcnt lgkmcnt(2)
	v_fma_f64 v[20:21], -v[16:17], v[62:63], v[20:21]
	v_mov_b32_e32 v46, s14
	s_add_i32 s14, s12, 0xfffffa00
	s_waitcnt lgkmcnt(1)
	v_fma_f64 v[20:21], -v[26:27], v[70:71], v[20:21]
	ds_read2_b64 v[62:65], v46 offset1:1
	v_mov_b32_e32 v46, s14
	s_add_i32 s14, s12, 0xfffff940
	s_waitcnt lgkmcnt(1)
	v_fma_f64 v[20:21], -v[24:25], v[52:53], v[20:21]
	ds_read2_b64 v[52:55], v46 offset1:1
	v_mov_b32_e32 v46, s14
	s_add_i32 s14, s8, 0xfffffe08
	s_add_i32 s8, s16, s14
	s_lshl_b32 s8, s8, 3
	s_add_i32 s15, s8, 0xf00
	s_waitcnt lgkmcnt(1)
	v_fma_f64 v[20:21], -v[30:31], v[64:65], v[20:21]
	ds_read2_b64 v[64:67], v46 offset1:1
	v_mov_b32_e32 v46, s15
	ds_read2_b64 v[76:79], v46 offset1:1
	s_add_i32 s13, s13, s14
	s_lshl_b32 s13, s13, 3
	s_waitcnt lgkmcnt(2)
	v_fma_f64 v[20:21], -v[28:29], v[54:55], v[20:21]
	v_mov_b32_e32 v54, s13
	s_add_i32 s13, s8, 0xe40
	v_mov_b32_e32 v55, s13
	s_add_i32 s13, s8, 0xd80
	;; [unrolled: 2-line block ×3, first 2 shown]
	s_waitcnt lgkmcnt(0)
	v_mul_f64 v[46:47], v[72:73], v[78:79]
	ds_read2_b64 v[78:81], v55 offset1:1
	ds_read2_b64 v[82:85], v58 offset1:1
	v_mov_b32_e32 v55, s13
	s_add_i32 s13, s8, 0xc00
	v_mov_b32_e32 v58, s13
	s_add_i32 s13, s8, 0xb40
	ds_read2_b64 v[92:95], v55 offset1:1
	ds_read2_b64 v[96:99], v58 offset1:1
	s_waitcnt vmcnt(1)
	v_fma_f64 v[2:3], v[2:3], s[0:1], -v[46:47]
	v_mov_b32_e32 v46, s13
	ds_read2_b64 v[100:103], v46 offset1:1
	s_waitcnt lgkmcnt(4)
	v_fma_f64 v[2:3], -v[74:75], v[80:81], v[2:3]
	s_waitcnt lgkmcnt(3)
	v_fma_f64 v[2:3], -v[6:7], v[84:85], v[2:3]
	;; [unrolled: 2-line block ×5, first 2 shown]
	v_fma_f64 v[2:3], -v[14:15], v[44:45], v[2:3]
	s_add_i32 s13, s12, 0xfffff880
	v_fma_f64 v[2:3], -v[12:13], v[48:49], v[2:3]
	ds_read2_b64 v[44:47], v54 offset1:1
	v_mov_b32_e32 v54, s13
	s_add_i32 s13, s12, 0xfffff7c0
	s_add_i32 s14, s9, 0xffffee08
	v_fma_f64 v[2:3], -v[18:19], v[56:57], v[2:3]
	v_mov_b32_e32 v55, s14
	v_mov_b32_e32 v48, s13
	s_add_i32 s13, s12, 0xfffff700
	v_fma_f64 v[2:3], -v[16:17], v[60:61], v[2:3]
	ds_read2_b64 v[84:87], v54 offset1:1
	ds_read_b64 v[70:71], v55
	ds_read2_b64 v[54:57], v48 offset1:1
	v_mov_b32_e32 v48, s13
	s_add_i32 s13, s12, 0xfffff640
	v_fma_f64 v[2:3], -v[26:27], v[68:69], v[2:3]
	v_mov_b32_e32 v49, s13
	ds_read2_b64 v[58:61], v48 offset1:1
	s_add_i32 s13, s12, 0xfffff580
	v_fma_f64 v[2:3], -v[24:25], v[50:51], v[2:3]
	v_fma_f64 v[20:21], -v[38:39], v[66:67], v[20:21]
	ds_read2_b64 v[66:69], v49 offset1:1
	v_mov_b32_e32 v48, s13
	s_addk_i32 s12, 0xf4c0
	v_fma_f64 v[2:3], -v[30:31], v[62:63], v[2:3]
	v_mov_b32_e32 v80, s12
	ds_read2_b64 v[48:51], v48 offset1:1
	ds_read2_b64 v[102:105], v80 offset1:1
	v_fma_f64 v[2:3], -v[28:29], v[52:53], v[2:3]
	s_waitcnt lgkmcnt(6)
	v_fma_f64 v[20:21], -v[36:37], v[86:87], v[20:21]
	v_fma_f64 v[2:3], -v[38:39], v[64:65], v[2:3]
	s_waitcnt lgkmcnt(4)
	v_fma_f64 v[20:21], -v[42:43], v[56:57], v[20:21]
	;; [unrolled: 3-line block ×6, first 2 shown]
	v_fma_f64 v[2:3], -v[32:33], v[48:49], v[2:3]
	s_ashr_i32 s17, s16, 31
	v_mul_f64 v[20:21], v[46:47], v[20:21]
	v_fma_f64 v[2:3], -v[22:23], v[102:103], v[2:3]
	s_lshl_b64 s[6:7], s[16:17], 3
	v_fma_f64 v[2:3], -v[20:21], v[44:45], v[2:3]
	v_mul_f64 v[44:45], v[72:73], v[76:77]
	v_mov_b32_e32 v47, s7
	v_add_co_u32_e32 v46, vcc, s6, v88
	v_fma_f64 v[0:1], v[0:1], s[0:1], -v[44:45]
	v_addc_co_u32_e32 v47, vcc, v89, v47, vcc
	v_fma_f64 v[0:1], -v[74:75], v[78:79], v[0:1]
	global_store_dwordx2 v[46:47], v[74:75], off offset:-16
	global_store_dwordx4 v[46:47], v[4:7], off offset:-32
	global_store_dwordx4 v[46:47], v[8:11], off offset:-48
	;; [unrolled: 1-line block ×10, first 2 shown]
	v_fma_f64 v[0:1], -v[6:7], v[82:83], v[0:1]
	v_mov_b32_e32 v48, s8
	v_fma_f64 v[0:1], -v[4:5], v[92:93], v[0:1]
	ds_read_b64 v[44:45], v48 offset:2688
	v_add_u32_e32 v4, 0x800, v48
	ds_read2_b64 v[4:7], v4 offset0:32 offset1:56
	v_fma_f64 v[0:1], -v[10:11], v[96:97], v[0:1]
	v_fma_f64 v[0:1], -v[8:9], v[100:101], v[0:1]
	v_add_u32_e32 v8, 0x400, v48
	ds_read2_b64 v[8:11], v8 offset0:112 offset1:136
	s_waitcnt lgkmcnt(2)
	v_fma_f64 v[0:1], -v[14:15], v[44:45], v[0:1]
	s_waitcnt lgkmcnt(1)
	v_fma_f64 v[0:1], -v[12:13], v[6:7], v[0:1]
	ds_read2_b64 v[12:15], v48 offset0:192 offset1:216
	v_fma_f64 v[0:1], -v[18:19], v[4:5], v[0:1]
	ds_read2_b64 v[4:7], v48 offset0:144 offset1:168
	s_waitcnt lgkmcnt(2)
	v_fma_f64 v[0:1], -v[16:17], v[10:11], v[0:1]
	v_fma_f64 v[0:1], -v[26:27], v[8:9], v[0:1]
	ds_read2_b64 v[8:11], v48 offset0:96 offset1:120
	s_waitcnt lgkmcnt(2)
	v_fma_f64 v[0:1], -v[24:25], v[14:15], v[0:1]
	;; [unrolled: 4-line block ×3, first 2 shown]
	v_fma_f64 v[0:1], -v[38:39], v[4:5], v[0:1]
	s_add_i32 s6, s8, 0xffffff40
	s_waitcnt lgkmcnt(1)
	v_fma_f64 v[0:1], -v[36:37], v[10:11], v[0:1]
	ds_read2_b64 v[4:7], v48 offset1:24
	v_fma_f64 v[0:1], -v[42:43], v[8:9], v[0:1]
	v_mov_b32_e32 v8, s6
	s_add_i32 s6, s8, 0xfffffe80
	s_waitcnt lgkmcnt(1)
	v_fma_f64 v[0:1], -v[40:41], v[14:15], v[0:1]
	ds_read_b64 v[8:9], v8
	v_mov_b32_e32 v10, s6
	s_add_i32 s6, s9, 0xffffed40
	v_fma_f64 v[0:1], -v[34:35], v[12:13], v[0:1]
	ds_read_b64 v[10:11], v10
	v_mov_b32_e32 v12, s6
	ds_read_b64 v[12:13], v12
	s_waitcnt lgkmcnt(3)
	v_fma_f64 v[0:1], -v[32:33], v[6:7], v[0:1]
	v_fma_f64 v[0:1], -v[22:23], v[4:5], v[0:1]
	v_mul_f64 v[2:3], v[70:71], v[2:3]
	s_waitcnt lgkmcnt(2)
	v_fma_f64 v[0:1], -v[20:21], v[8:9], v[0:1]
	s_waitcnt lgkmcnt(1)
	v_fma_f64 v[0:1], -v[2:3], v[10:11], v[0:1]
	s_waitcnt lgkmcnt(0)
	v_mul_f64 v[0:1], v[12:13], v[0:1]
	s_sub_i32 s6, s16, 25
	global_store_dwordx4 v[46:47], v[0:3], off offset:-192
.LBB93_35:
	s_cmp_gt_i32 s6, -1
	s_cbranch_scc0 .LBB93_54
; %bb.36:
	s_cmp_lt_u32 s6, 19
	s_cbranch_scc1 .LBB93_41
; %bb.37:
	s_mov_b32 s7, 0
	s_lshl_b64 s[8:9], s[6:7], 3
	v_mov_b32_e32 v1, s9
	v_add_co_u32_e32 v0, vcc, s8, v88
	v_addc_co_u32_e32 v1, vcc, v89, v1, vcc
	global_load_dwordx4 v[2:5], v[0:1], off offset:-8
	global_load_dwordx4 v[6:9], v[0:1], off offset:-24
	;; [unrolled: 1-line block ×10, first 2 shown]
	s_cmp_le_i32 s18, s6
	s_waitcnt vmcnt(9)
	v_mul_f64 v[36:37], v[4:5], s[0:1]
	v_mul_f64 v[34:35], v[2:3], s[0:1]
	s_waitcnt vmcnt(8)
	v_mul_f64 v[2:3], v[8:9], s[0:1]
	v_mul_f64 v[32:33], v[6:7], s[0:1]
	s_waitcnt vmcnt(7)
	v_mul_f64 v[6:7], v[12:13], s[0:1]
	v_mul_f64 v[4:5], v[10:11], s[0:1]
	s_waitcnt vmcnt(6)
	v_mul_f64 v[10:11], v[16:17], s[0:1]
	v_mul_f64 v[8:9], v[14:15], s[0:1]
	s_waitcnt vmcnt(5)
	v_mul_f64 v[14:15], v[20:21], s[0:1]
	v_mul_f64 v[12:13], v[18:19], s[0:1]
	s_waitcnt vmcnt(4)
	v_mul_f64 v[18:19], v[24:25], s[0:1]
	v_mul_f64 v[16:17], v[22:23], s[0:1]
	s_waitcnt vmcnt(3)
	v_mul_f64 v[22:23], v[28:29], s[0:1]
	v_mul_f64 v[20:21], v[26:27], s[0:1]
	s_waitcnt vmcnt(2)
	v_mul_f64 v[26:27], v[40:41], s[0:1]
	v_mul_f64 v[24:25], v[38:39], s[0:1]
	s_waitcnt vmcnt(1)
	v_mul_f64 v[30:31], v[44:45], s[0:1]
	v_mul_f64 v[28:29], v[42:43], s[0:1]
	s_waitcnt vmcnt(0)
	v_mul_f64 v[40:41], v[48:49], s[0:1]
	v_mul_f64 v[42:43], v[46:47], s[0:1]
	s_cbranch_scc1 .LBB93_40
; %bb.38:
	s_mul_i32 s7, s16, 0xc0
	s_lshl_b32 s8, s6, 3
	s_add_i32 s7, s7, s8
	s_ashr_i32 s19, s18, 31
	s_addk_i32 s7, 0xfea8
	s_lshl_b64 s[8:9], s[18:19], 3
	s_add_u32 s8, s10, s8
	s_addc_u32 s9, s11, s9
	s_add_u32 s8, s8, s4
	s_addc_u32 s9, s9, s5
	;; [unrolled: 2-line block ×3, first 2 shown]
	v_mov_b32_e32 v39, s9
	v_add_co_u32_e32 v38, vcc, s8, v90
	v_addc_co_u32_e32 v39, vcc, v39, v91, vcc
	s_mov_b32 s8, s18
.LBB93_39:                              ; =>This Inner Loop Header: Depth=1
	global_load_dwordx2 v[84:85], v[38:39], off
	v_mov_b32_e32 v80, s7
	ds_read2_b64 v[44:47], v80 offset0:18 offset1:19
	ds_read2_b64 v[48:51], v80 offset0:16 offset1:17
	;; [unrolled: 1-line block ×9, first 2 shown]
	ds_read2_b64 v[80:83], v80 offset1:1
	s_add_i32 s8, s8, -1
	s_addk_i32 s7, 0xff40
	v_add_co_u32_e32 v38, vcc, -8, v38
	v_addc_co_u32_e32 v39, vcc, -1, v39, vcc
	s_cmp_gt_i32 s8, s6
	s_waitcnt vmcnt(0) lgkmcnt(9)
	v_fma_f64 v[36:37], -v[84:85], v[46:47], v[36:37]
	v_fma_f64 v[34:35], -v[84:85], v[44:45], v[34:35]
	s_waitcnt lgkmcnt(8)
	v_fma_f64 v[2:3], -v[84:85], v[50:51], v[2:3]
	v_fma_f64 v[32:33], -v[84:85], v[48:49], v[32:33]
	s_waitcnt lgkmcnt(7)
	;; [unrolled: 3-line block ×9, first 2 shown]
	v_fma_f64 v[40:41], -v[84:85], v[82:83], v[40:41]
	v_fma_f64 v[42:43], -v[84:85], v[80:81], v[42:43]
	s_cbranch_scc1 .LBB93_39
.LBB93_40:
	s_mul_i32 s8, s6, 0xc8
	s_add_i32 s7, s8, -8
	v_mov_b32_e32 v38, s7
	ds_read2_b64 v[44:47], v38 offset1:1
	s_add_i32 s7, s8, 0xffffff38
	v_mov_b32_e32 v38, s7
	ds_read_b64 v[38:39], v38
	s_ashr_i32 s7, s6, 31
	s_waitcnt lgkmcnt(1)
	v_mul_f64 v[46:47], v[46:47], v[36:37]
	global_store_dwordx2 v[0:1], v[46:47], off
	v_fma_f64 v[0:1], -v[46:47], v[44:45], v[34:35]
	s_lshl_b64 s[12:13], s[6:7], 3
	s_mul_i32 s9, s6, 24
	s_waitcnt lgkmcnt(0)
	v_mul_f64 v[48:49], v[38:39], v[0:1]
	v_mov_b32_e32 v0, s13
	s_add_i32 s13, s6, -3
	s_add_i32 s7, s13, s9
	v_add_co_u32_e32 v44, vcc, s12, v88
	s_lshl_b32 s7, s7, 3
	s_sub_i32 s12, s9, 24
	v_addc_co_u32_e32 v45, vcc, v89, v0, vcc
	v_mov_b32_e32 v0, s7
	s_add_i32 s7, s13, s12
	ds_read2_b64 v[34:37], v0 offset1:1
	s_lshl_b32 s7, s7, 3
	v_mov_b32_e32 v0, s7
	s_sub_i32 s7, s9, 48
	s_add_i32 s13, s13, s7
	ds_read2_b64 v[50:53], v0 offset1:1
	s_lshl_b32 s13, s13, 3
	v_mov_b32_e32 v0, s13
	s_waitcnt lgkmcnt(1)
	v_fma_f64 v[36:37], -v[46:47], v[36:37], v[2:3]
	ds_read2_b64 v[0:3], v0 offset1:1
	s_add_i32 s13, s8, 0xfffffda8
	s_add_i32 s15, s6, -5
	v_mov_b32_e32 v38, s13
	s_add_i32 s13, s15, s9
	v_fma_f64 v[32:33], -v[46:47], v[34:35], v[32:33]
	s_lshl_b32 s13, s13, 3
	s_waitcnt lgkmcnt(1)
	v_fma_f64 v[50:51], -v[48:49], v[50:51], v[32:33]
	v_mov_b32_e32 v32, s13
	s_add_i32 s13, s15, s12
	v_fma_f64 v[36:37], -v[48:49], v[52:53], v[36:37]
	ds_read_b64 v[52:53], v38
	s_lshl_b32 s13, s13, 3
	global_store_dwordx2 v[44:45], v[48:49], off offset:-8
	s_waitcnt lgkmcnt(1)
	v_mul_f64 v[2:3], v[2:3], v[36:37]
	v_mov_b32_e32 v36, s13
	ds_read2_b64 v[32:35], v32 offset1:1
	ds_read2_b64 v[36:39], v36 offset1:1
	s_add_i32 s13, s15, s7
	s_lshl_b32 s13, s13, 3
	v_fma_f64 v[0:1], -v[2:3], v[0:1], v[50:51]
	s_waitcnt lgkmcnt(1)
	v_fma_f64 v[6:7], -v[46:47], v[34:35], v[6:7]
	v_mov_b32_e32 v34, s13
	s_add_i32 s13, s9, 0xffffffb8
	s_add_i32 s14, s15, s13
	s_lshl_b32 s14, s14, 3
	v_mul_f64 v[0:1], v[52:53], v[0:1]
	ds_read2_b64 v[50:53], v34 offset1:1
	v_mov_b32_e32 v34, s14
	s_add_i32 s14, s9, 0xffffffa0
	s_add_i32 s15, s15, s14
	s_lshl_b32 s15, s15, 3
	ds_read2_b64 v[54:57], v34 offset1:1
	v_mov_b32_e32 v34, s15
	s_add_i32 s15, s8, 0xfffffc18
	s_add_i32 s19, s6, -7
	ds_read2_b64 v[58:61], v34 offset1:1
	v_mov_b32_e32 v34, s15
	s_add_i32 s15, s19, s9
	s_lshl_b32 s15, s15, 3
	v_fma_f64 v[4:5], -v[46:47], v[32:33], v[4:5]
	v_mov_b32_e32 v32, s15
	s_add_i32 s15, s19, s12
	s_lshl_b32 s15, s15, 3
	global_store_dwordx4 v[44:45], v[0:3], off offset:-24
	s_waitcnt lgkmcnt(3)
	v_fma_f64 v[6:7], -v[48:49], v[38:39], v[6:7]
	v_fma_f64 v[4:5], -v[48:49], v[36:37], v[4:5]
	v_mov_b32_e32 v36, s15
	s_waitcnt lgkmcnt(2)
	v_fma_f64 v[6:7], -v[2:3], v[52:53], v[6:7]
	ds_read_b64 v[52:53], v34
	ds_read2_b64 v[32:35], v32 offset1:1
	ds_read2_b64 v[36:39], v36 offset1:1
	s_add_i32 s15, s19, s7
	s_waitcnt lgkmcnt(4)
	v_fma_f64 v[6:7], -v[0:1], v[56:57], v[6:7]
	v_fma_f64 v[4:5], -v[2:3], v[50:51], v[4:5]
	s_lshl_b32 s15, s15, 3
	s_waitcnt lgkmcnt(3)
	v_mul_f64 v[6:7], v[60:61], v[6:7]
	v_fma_f64 v[4:5], -v[0:1], v[54:55], v[4:5]
	s_waitcnt lgkmcnt(1)
	v_fma_f64 v[10:11], -v[46:47], v[34:35], v[10:11]
	v_mov_b32_e32 v34, s15
	s_add_i32 s15, s19, s13
	v_fma_f64 v[4:5], -v[6:7], v[58:59], v[4:5]
	s_lshl_b32 s15, s15, 3
	v_mul_f64 v[4:5], v[52:53], v[4:5]
	v_mov_b32_e32 v35, s15
	s_add_i32 s15, s19, s14
	global_store_dwordx4 v[44:45], v[4:7], off offset:-40
	s_lshl_b32 s15, s15, 3
	ds_read2_b64 v[50:53], v34 offset1:1
	ds_read2_b64 v[54:57], v35 offset1:1
	v_mov_b32_e32 v34, s15
	s_add_i32 s15, s9, 0xffffff88
	s_add_i32 s17, s19, s15
	s_lshl_b32 s17, s17, 3
	v_mov_b32_e32 v35, s17
	s_add_i32 s17, s8, 0xfffffb50
	ds_read2_b64 v[58:61], v34 offset1:1
	ds_read2_b64 v[62:65], v35 offset1:1
	v_mov_b32_e32 v34, s17
	s_waitcnt lgkmcnt(4)
	v_fma_f64 v[10:11], -v[48:49], v[38:39], v[10:11]
	ds_read_b64 v[34:35], v34
	s_waitcnt lgkmcnt(4)
	v_fma_f64 v[10:11], -v[2:3], v[52:53], v[10:11]
	s_add_i32 s17, s9, 0xffffff70
	s_waitcnt lgkmcnt(3)
	v_fma_f64 v[10:11], -v[0:1], v[56:57], v[10:11]
	s_add_i32 s19, s19, s17
	s_waitcnt lgkmcnt(2)
	v_fma_f64 v[10:11], -v[6:7], v[60:61], v[10:11]
	s_lshl_b32 s19, s19, 3
	s_waitcnt lgkmcnt(1)
	v_fma_f64 v[10:11], -v[4:5], v[64:65], v[10:11]
	v_fma_f64 v[8:9], -v[46:47], v[32:33], v[8:9]
	v_mov_b32_e32 v32, s19
	s_add_i32 s19, s8, 0xfffffa88
	s_waitcnt lgkmcnt(0)
	v_mul_f64 v[10:11], v[34:35], v[10:11]
	v_fma_f64 v[8:9], -v[48:49], v[36:37], v[8:9]
	v_mov_b32_e32 v34, s19
	v_fma_f64 v[8:9], -v[2:3], v[50:51], v[8:9]
	ds_read_b64 v[32:33], v32
	ds_read_b64 v[34:35], v34
	v_fma_f64 v[8:9], -v[0:1], v[54:55], v[8:9]
	s_add_i32 s21, s6, -9
	v_fma_f64 v[8:9], -v[6:7], v[58:59], v[8:9]
	s_add_i32 s19, s21, s9
	v_fma_f64 v[8:9], -v[4:5], v[62:63], v[8:9]
	s_lshl_b32 s19, s19, 3
	s_waitcnt lgkmcnt(1)
	v_fma_f64 v[8:9], -v[10:11], v[32:33], v[8:9]
	v_mov_b32_e32 v32, s19
	s_waitcnt lgkmcnt(0)
	v_mul_f64 v[8:9], v[34:35], v[8:9]
	ds_read2_b64 v[32:35], v32 offset1:1
	s_add_i32 s19, s21, s12
	s_lshl_b32 s19, s19, 3
	v_mov_b32_e32 v36, s19
	ds_read2_b64 v[36:39], v36 offset1:1
	s_add_i32 s19, s21, s7
	s_lshl_b32 s19, s19, 3
	s_waitcnt lgkmcnt(1)
	v_fma_f64 v[14:15], -v[46:47], v[34:35], v[14:15]
	v_mov_b32_e32 v34, s19
	s_add_i32 s19, s21, s13
	s_lshl_b32 s19, s19, 3
	v_mov_b32_e32 v35, s19
	s_add_i32 s19, s21, s14
	global_store_dwordx4 v[44:45], v[8:11], off offset:-56
	s_lshl_b32 s19, s19, 3
	ds_read2_b64 v[50:53], v34 offset1:1
	ds_read2_b64 v[54:57], v35 offset1:1
	v_mov_b32_e32 v34, s19
	s_add_i32 s19, s21, s15
	s_lshl_b32 s19, s19, 3
	v_mov_b32_e32 v35, s19
	ds_read2_b64 v[58:61], v34 offset1:1
	ds_read2_b64 v[62:65], v35 offset1:1
	s_waitcnt lgkmcnt(4)
	v_fma_f64 v[14:15], -v[48:49], v[38:39], v[14:15]
	s_add_i32 s19, s21, s17
	s_waitcnt lgkmcnt(3)
	v_fma_f64 v[14:15], -v[2:3], v[52:53], v[14:15]
	s_lshl_b32 s19, s19, 3
	s_add_i32 s20, s9, 0xffffff58
	s_waitcnt lgkmcnt(2)
	v_fma_f64 v[14:15], -v[0:1], v[56:57], v[14:15]
	v_mov_b32_e32 v34, s19
	s_add_i32 s19, s21, s20
	s_waitcnt lgkmcnt(1)
	v_fma_f64 v[14:15], -v[6:7], v[60:61], v[14:15]
	s_lshl_b32 s19, s19, 3
	s_waitcnt lgkmcnt(0)
	v_fma_f64 v[14:15], -v[4:5], v[64:65], v[14:15]
	ds_read2_b64 v[64:67], v34 offset1:1
	v_mov_b32_e32 v34, s19
	s_add_i32 s19, s9, 0xffffff40
	s_add_i32 s21, s21, s19
	s_lshl_b32 s21, s21, 3
	ds_read2_b64 v[68:71], v34 offset1:1
	v_mov_b32_e32 v34, s21
	s_add_i32 s21, s8, 0xfffff8f8
	s_add_i32 s23, s6, -11
	ds_read2_b64 v[72:75], v34 offset1:1
	v_mov_b32_e32 v34, s21
	s_add_i32 s21, s23, s9
	s_lshl_b32 s21, s21, 3
	v_fma_f64 v[12:13], -v[46:47], v[32:33], v[12:13]
	v_mov_b32_e32 v32, s21
	s_add_i32 s21, s23, s12
	v_fma_f64 v[12:13], -v[48:49], v[36:37], v[12:13]
	s_lshl_b32 s21, s21, 3
	v_fma_f64 v[12:13], -v[2:3], v[50:51], v[12:13]
	v_mov_b32_e32 v36, s21
	ds_read_b64 v[52:53], v34
	v_fma_f64 v[12:13], -v[0:1], v[54:55], v[12:13]
	ds_read2_b64 v[32:35], v32 offset1:1
	ds_read2_b64 v[36:39], v36 offset1:1
	v_fma_f64 v[12:13], -v[6:7], v[58:59], v[12:13]
	s_waitcnt lgkmcnt(5)
	v_fma_f64 v[14:15], -v[10:11], v[66:67], v[14:15]
	v_fma_f64 v[12:13], -v[4:5], v[62:63], v[12:13]
	s_add_i32 s21, s23, s7
	s_waitcnt lgkmcnt(4)
	v_fma_f64 v[14:15], -v[8:9], v[70:71], v[14:15]
	v_fma_f64 v[12:13], -v[10:11], v[64:65], v[12:13]
	s_lshl_b32 s21, s21, 3
	s_waitcnt lgkmcnt(3)
	v_mul_f64 v[14:15], v[74:75], v[14:15]
	v_fma_f64 v[12:13], -v[8:9], v[68:69], v[12:13]
	s_waitcnt lgkmcnt(1)
	v_fma_f64 v[18:19], -v[46:47], v[34:35], v[18:19]
	v_mov_b32_e32 v34, s21
	s_add_i32 s21, s23, s13
	v_fma_f64 v[12:13], -v[14:15], v[72:73], v[12:13]
	s_lshl_b32 s21, s21, 3
	v_mul_f64 v[12:13], v[52:53], v[12:13]
	ds_read2_b64 v[50:53], v34 offset1:1
	v_mov_b32_e32 v34, s21
	s_add_i32 s21, s23, s14
	s_lshl_b32 s21, s21, 3
	ds_read2_b64 v[54:57], v34 offset1:1
	v_mov_b32_e32 v34, s21
	s_add_i32 s21, s23, s15
	s_lshl_b32 s21, s21, 3
	v_mov_b32_e32 v35, s21
	s_add_i32 s21, s23, s17
	global_store_dwordx4 v[44:45], v[12:15], off offset:-72
	s_lshl_b32 s21, s21, 3
	ds_read2_b64 v[58:61], v34 offset1:1
	ds_read2_b64 v[62:65], v35 offset1:1
	v_mov_b32_e32 v34, s21
	s_add_i32 s21, s23, s20
	s_waitcnt lgkmcnt(4)
	v_fma_f64 v[18:19], -v[48:49], v[38:39], v[18:19]
	s_lshl_b32 s21, s21, 3
	s_waitcnt lgkmcnt(3)
	v_fma_f64 v[18:19], -v[2:3], v[52:53], v[18:19]
	v_mov_b32_e32 v35, s21
	ds_read2_b64 v[66:69], v34 offset1:1
	ds_read2_b64 v[70:73], v35 offset1:1
	s_add_i32 s21, s23, s19
	s_waitcnt lgkmcnt(4)
	v_fma_f64 v[18:19], -v[0:1], v[56:57], v[18:19]
	s_lshl_b32 s21, s21, 3
	s_waitcnt lgkmcnt(3)
	v_fma_f64 v[18:19], -v[6:7], v[60:61], v[18:19]
	v_mov_b32_e32 v34, s21
	s_add_i32 s21, s9, 0xffffff28
	s_waitcnt lgkmcnt(2)
	v_fma_f64 v[18:19], -v[4:5], v[64:65], v[18:19]
	s_add_i32 s22, s23, s21
	s_waitcnt lgkmcnt(1)
	v_fma_f64 v[18:19], -v[10:11], v[68:69], v[18:19]
	s_lshl_b32 s22, s22, 3
	s_waitcnt lgkmcnt(0)
	v_fma_f64 v[18:19], -v[8:9], v[72:73], v[18:19]
	ds_read2_b64 v[72:75], v34 offset1:1
	v_mov_b32_e32 v34, s22
	s_add_i32 s22, s9, 0xffffff10
	v_fma_f64 v[16:17], -v[46:47], v[32:33], v[16:17]
	s_add_i32 s23, s23, s22
	v_fma_f64 v[16:17], -v[48:49], v[36:37], v[16:17]
	s_lshl_b32 s23, s23, 3
	v_fma_f64 v[16:17], -v[2:3], v[50:51], v[16:17]
	ds_read2_b64 v[76:79], v34 offset1:1
	v_mov_b32_e32 v34, s23
	s_add_i32 s23, s8, 0xfffff768
	v_fma_f64 v[16:17], -v[0:1], v[54:55], v[16:17]
	s_add_i32 s25, s6, -13
	ds_read2_b64 v[80:83], v34 offset1:1
	v_mov_b32_e32 v34, s23
	v_fma_f64 v[16:17], -v[6:7], v[58:59], v[16:17]
	s_add_i32 s23, s25, s9
	v_fma_f64 v[16:17], -v[4:5], v[62:63], v[16:17]
	s_lshl_b32 s23, s23, 3
	ds_read_b64 v[34:35], v34
	v_fma_f64 v[16:17], -v[10:11], v[66:67], v[16:17]
	v_mov_b32_e32 v32, s23
	s_add_i32 s23, s25, s12
	s_waitcnt lgkmcnt(3)
	v_fma_f64 v[18:19], -v[14:15], v[74:75], v[18:19]
	v_fma_f64 v[16:17], -v[8:9], v[70:71], v[16:17]
	s_lshl_b32 s23, s23, 3
	s_waitcnt lgkmcnt(2)
	v_fma_f64 v[18:19], -v[12:13], v[78:79], v[18:19]
	v_fma_f64 v[16:17], -v[14:15], v[72:73], v[16:17]
	v_mov_b32_e32 v36, s23
	s_add_i32 s23, s25, s7
	s_waitcnt lgkmcnt(1)
	v_mul_f64 v[18:19], v[82:83], v[18:19]
	v_fma_f64 v[16:17], -v[12:13], v[76:77], v[16:17]
	s_lshl_b32 s23, s23, 3
	v_fma_f64 v[16:17], -v[18:19], v[80:81], v[16:17]
	v_mov_b32_e32 v50, s23
	s_add_i32 s23, s25, s13
	s_waitcnt lgkmcnt(0)
	v_mul_f64 v[16:17], v[34:35], v[16:17]
	ds_read2_b64 v[32:35], v32 offset1:1
	ds_read2_b64 v[36:39], v36 offset1:1
	s_lshl_b32 s23, s23, 3
	v_mov_b32_e32 v54, s23
	ds_read2_b64 v[50:53], v50 offset1:1
	ds_read2_b64 v[54:57], v54 offset1:1
	s_add_i32 s23, s25, s14
	s_waitcnt lgkmcnt(3)
	v_fma_f64 v[22:23], -v[46:47], v[34:35], v[22:23]
	s_lshl_b32 s23, s23, 3
	s_waitcnt lgkmcnt(2)
	v_fma_f64 v[22:23], -v[48:49], v[38:39], v[22:23]
	v_mov_b32_e32 v34, s23
	s_add_i32 s23, s25, s15
	s_waitcnt lgkmcnt(1)
	v_fma_f64 v[22:23], -v[2:3], v[52:53], v[22:23]
	s_lshl_b32 s23, s23, 3
	s_waitcnt lgkmcnt(0)
	v_fma_f64 v[22:23], -v[0:1], v[56:57], v[22:23]
	ds_read2_b64 v[56:59], v34 offset1:1
	v_mov_b32_e32 v34, s23
	s_add_i32 s23, s25, s17
	s_lshl_b32 s23, s23, 3
	ds_read2_b64 v[60:63], v34 offset1:1
	v_mov_b32_e32 v34, s23
	s_add_i32 s23, s25, s20
	s_lshl_b32 s23, s23, 3
	v_mov_b32_e32 v35, s23
	s_add_i32 s23, s25, s19
	global_store_dwordx4 v[44:45], v[16:19], off offset:-88
	s_lshl_b32 s23, s23, 3
	ds_read2_b64 v[64:67], v34 offset1:1
	ds_read2_b64 v[68:71], v35 offset1:1
	v_mov_b32_e32 v34, s23
	s_add_i32 s23, s25, s21
	s_lshl_b32 s23, s23, 3
	s_waitcnt lgkmcnt(3)
	v_fma_f64 v[22:23], -v[6:7], v[58:59], v[22:23]
	v_mov_b32_e32 v35, s23
	ds_read2_b64 v[72:75], v34 offset1:1
	ds_read2_b64 v[76:79], v35 offset1:1
	s_add_i32 s23, s25, s22
	s_waitcnt lgkmcnt(4)
	v_fma_f64 v[22:23], -v[4:5], v[62:63], v[22:23]
	s_lshl_b32 s23, s23, 3
	s_waitcnt lgkmcnt(3)
	v_fma_f64 v[22:23], -v[10:11], v[66:67], v[22:23]
	v_mov_b32_e32 v34, s23
	s_add_i32 s23, s9, 0xfffffef8
	s_waitcnt lgkmcnt(2)
	v_fma_f64 v[22:23], -v[8:9], v[70:71], v[22:23]
	s_add_i32 s24, s25, s23
	v_fma_f64 v[20:21], -v[46:47], v[32:33], v[20:21]
	s_waitcnt lgkmcnt(1)
	v_fma_f64 v[22:23], -v[14:15], v[74:75], v[22:23]
	s_lshl_b32 s24, s24, 3
	v_fma_f64 v[20:21], -v[48:49], v[36:37], v[20:21]
	s_waitcnt lgkmcnt(0)
	v_fma_f64 v[22:23], -v[12:13], v[78:79], v[22:23]
	ds_read2_b64 v[78:81], v34 offset1:1
	v_mov_b32_e32 v34, s24
	s_add_i32 s24, s9, 0xfffffee0
	v_fma_f64 v[20:21], -v[2:3], v[50:51], v[20:21]
	s_add_i32 s25, s25, s24
	v_fma_f64 v[20:21], -v[0:1], v[54:55], v[20:21]
	s_lshl_b32 s25, s25, 3
	v_fma_f64 v[20:21], -v[6:7], v[56:57], v[20:21]
	ds_read2_b64 v[82:85], v34 offset1:1
	v_mov_b32_e32 v34, s25
	v_fma_f64 v[20:21], -v[4:5], v[60:61], v[20:21]
	ds_read2_b64 v[92:95], v34 offset1:1
	s_add_i32 s25, s8, 0xfffff5d8
	v_fma_f64 v[20:21], -v[10:11], v[64:65], v[20:21]
	v_mov_b32_e32 v34, s25
	v_fma_f64 v[20:21], -v[8:9], v[68:69], v[20:21]
	ds_read_b64 v[34:35], v34
	v_fma_f64 v[20:21], -v[14:15], v[72:73], v[20:21]
	s_waitcnt lgkmcnt(3)
	v_fma_f64 v[22:23], -v[18:19], v[80:81], v[22:23]
	v_fma_f64 v[20:21], -v[12:13], v[76:77], v[20:21]
	s_add_i32 s27, s6, -15
	s_waitcnt lgkmcnt(2)
	v_fma_f64 v[22:23], -v[16:17], v[84:85], v[22:23]
	v_fma_f64 v[20:21], -v[18:19], v[78:79], v[20:21]
	s_add_i32 s25, s27, s9
	s_waitcnt lgkmcnt(1)
	v_mul_f64 v[22:23], v[94:95], v[22:23]
	v_fma_f64 v[20:21], -v[16:17], v[82:83], v[20:21]
	s_lshl_b32 s25, s25, 3
	v_fma_f64 v[20:21], -v[22:23], v[92:93], v[20:21]
	v_mov_b32_e32 v32, s25
	s_waitcnt lgkmcnt(0)
	v_mul_f64 v[20:21], v[34:35], v[20:21]
	ds_read2_b64 v[32:35], v32 offset1:1
	s_add_i32 s25, s27, s12
	s_lshl_b32 s25, s25, 3
	v_mov_b32_e32 v36, s25
	ds_read2_b64 v[36:39], v36 offset1:1
	s_add_i32 s25, s27, s7
	s_lshl_b32 s25, s25, 3
	s_waitcnt lgkmcnt(1)
	v_fma_f64 v[26:27], -v[46:47], v[34:35], v[26:27]
	v_mov_b32_e32 v34, s25
	s_add_i32 s25, s27, s13
	s_lshl_b32 s25, s25, 3
	v_mov_b32_e32 v35, s25
	s_add_i32 s25, s27, s14
	global_store_dwordx4 v[44:45], v[20:23], off offset:-104
	s_lshl_b32 s25, s25, 3
	ds_read2_b64 v[50:53], v34 offset1:1
	ds_read2_b64 v[54:57], v35 offset1:1
	v_mov_b32_e32 v34, s25
	s_add_i32 s25, s27, s15
	s_lshl_b32 s25, s25, 3
	v_mov_b32_e32 v35, s25
	ds_read2_b64 v[58:61], v34 offset1:1
	ds_read2_b64 v[62:65], v35 offset1:1
	s_waitcnt lgkmcnt(4)
	v_fma_f64 v[26:27], -v[48:49], v[38:39], v[26:27]
	s_add_i32 s25, s27, s17
	s_waitcnt lgkmcnt(3)
	v_fma_f64 v[26:27], -v[2:3], v[52:53], v[26:27]
	s_lshl_b32 s25, s25, 3
	s_waitcnt lgkmcnt(2)
	v_fma_f64 v[26:27], -v[0:1], v[56:57], v[26:27]
	v_mov_b32_e32 v34, s25
	s_add_i32 s25, s27, s20
	s_waitcnt lgkmcnt(1)
	v_fma_f64 v[26:27], -v[6:7], v[60:61], v[26:27]
	s_lshl_b32 s25, s25, 3
	s_waitcnt lgkmcnt(0)
	v_fma_f64 v[26:27], -v[4:5], v[64:65], v[26:27]
	ds_read2_b64 v[64:67], v34 offset1:1
	v_mov_b32_e32 v34, s25
	s_add_i32 s25, s27, s19
	s_lshl_b32 s25, s25, 3
	ds_read2_b64 v[68:71], v34 offset1:1
	v_mov_b32_e32 v34, s25
	s_add_i32 s25, s27, s21
	s_lshl_b32 s25, s25, 3
	v_mov_b32_e32 v35, s25
	s_add_i32 s25, s27, s22
	s_lshl_b32 s25, s25, 3
	ds_read2_b64 v[72:75], v34 offset1:1
	ds_read2_b64 v[76:79], v35 offset1:1
	v_mov_b32_e32 v34, s25
	s_add_i32 s25, s27, s23
	s_lshl_b32 s25, s25, 3
	v_mov_b32_e32 v35, s25
	s_add_i32 s25, s27, s24
	s_lshl_b32 s25, s25, 3
	s_add_i32 s26, s9, 0xfffffec8
	ds_read2_b64 v[80:83], v34 offset1:1
	ds_read2_b64 v[84:87], v35 offset1:1
	v_mov_b32_e32 v34, s25
	s_add_i32 s25, s27, s26
	s_lshl_b32 s25, s25, 3
	ds_read2_b64 v[92:95], v34 offset1:1
	v_mov_b32_e32 v34, s25
	s_add_i32 s25, s9, 0xfffffeb0
	v_fma_f64 v[24:25], -v[46:47], v[32:33], v[24:25]
	s_add_i32 s27, s27, s25
	v_fma_f64 v[24:25], -v[48:49], v[36:37], v[24:25]
	s_lshl_b32 s27, s27, 3
	v_fma_f64 v[24:25], -v[2:3], v[50:51], v[24:25]
	ds_read2_b64 v[96:99], v34 offset1:1
	v_mov_b32_e32 v34, s27
	s_add_i32 s27, s8, 0xfffff448
	v_fma_f64 v[24:25], -v[0:1], v[54:55], v[24:25]
	s_sub_i32 s29, s6, 17
	ds_read2_b64 v[100:103], v34 offset1:1
	v_mov_b32_e32 v34, s27
	v_fma_f64 v[24:25], -v[6:7], v[58:59], v[24:25]
	s_add_i32 s27, s29, s9
	s_waitcnt lgkmcnt(8)
	v_fma_f64 v[26:27], -v[10:11], v[66:67], v[26:27]
	v_fma_f64 v[24:25], -v[4:5], v[62:63], v[24:25]
	s_lshl_b32 s27, s27, 3
	s_waitcnt lgkmcnt(7)
	v_fma_f64 v[26:27], -v[8:9], v[70:71], v[26:27]
	v_fma_f64 v[24:25], -v[10:11], v[64:65], v[24:25]
	v_mov_b32_e32 v32, s27
	s_add_i32 s27, s29, s12
	s_waitcnt lgkmcnt(6)
	v_fma_f64 v[26:27], -v[14:15], v[74:75], v[26:27]
	v_fma_f64 v[24:25], -v[8:9], v[68:69], v[24:25]
	s_lshl_b32 s27, s27, 3
	s_waitcnt lgkmcnt(5)
	v_fma_f64 v[26:27], -v[12:13], v[78:79], v[26:27]
	v_fma_f64 v[24:25], -v[14:15], v[72:73], v[24:25]
	v_mov_b32_e32 v36, s27
	s_waitcnt lgkmcnt(4)
	v_fma_f64 v[26:27], -v[18:19], v[82:83], v[26:27]
	ds_read_b64 v[52:53], v34
	v_fma_f64 v[24:25], -v[12:13], v[76:77], v[24:25]
	ds_read2_b64 v[32:35], v32 offset1:1
	ds_read2_b64 v[36:39], v36 offset1:1
	s_waitcnt lgkmcnt(6)
	v_fma_f64 v[26:27], -v[16:17], v[86:87], v[26:27]
	v_fma_f64 v[24:25], -v[18:19], v[80:81], v[24:25]
	s_waitcnt lgkmcnt(5)
	v_fma_f64 v[26:27], -v[22:23], v[94:95], v[26:27]
	v_fma_f64 v[24:25], -v[16:17], v[84:85], v[24:25]
	s_add_i32 s27, s29, s7
	s_waitcnt lgkmcnt(4)
	v_fma_f64 v[26:27], -v[20:21], v[98:99], v[26:27]
	v_fma_f64 v[24:25], -v[22:23], v[92:93], v[24:25]
	s_lshl_b32 s27, s27, 3
	s_waitcnt lgkmcnt(3)
	v_mul_f64 v[26:27], v[102:103], v[26:27]
	v_fma_f64 v[24:25], -v[20:21], v[96:97], v[24:25]
	s_waitcnt lgkmcnt(1)
	v_fma_f64 v[30:31], -v[46:47], v[34:35], v[30:31]
	v_mov_b32_e32 v34, s27
	s_add_i32 s27, s29, s13
	v_fma_f64 v[24:25], -v[26:27], v[100:101], v[24:25]
	s_lshl_b32 s27, s27, 3
	v_mul_f64 v[24:25], v[52:53], v[24:25]
	ds_read2_b64 v[50:53], v34 offset1:1
	v_mov_b32_e32 v34, s27
	s_add_i32 s27, s29, s14
	s_lshl_b32 s27, s27, 3
	ds_read2_b64 v[54:57], v34 offset1:1
	v_mov_b32_e32 v34, s27
	s_add_i32 s27, s29, s15
	s_lshl_b32 s27, s27, 3
	v_mov_b32_e32 v35, s27
	s_add_i32 s27, s29, s17
	global_store_dwordx4 v[44:45], v[24:27], off offset:-120
	s_lshl_b32 s27, s27, 3
	ds_read2_b64 v[58:61], v34 offset1:1
	ds_read2_b64 v[62:65], v35 offset1:1
	v_mov_b32_e32 v34, s27
	s_add_i32 s27, s29, s20
	s_waitcnt lgkmcnt(4)
	v_fma_f64 v[30:31], -v[48:49], v[38:39], v[30:31]
	s_lshl_b32 s27, s27, 3
	s_waitcnt lgkmcnt(3)
	v_fma_f64 v[30:31], -v[2:3], v[52:53], v[30:31]
	v_mov_b32_e32 v35, s27
	ds_read2_b64 v[66:69], v34 offset1:1
	ds_read2_b64 v[70:73], v35 offset1:1
	s_waitcnt lgkmcnt(4)
	v_fma_f64 v[30:31], -v[0:1], v[56:57], v[30:31]
	s_add_i32 s27, s29, s19
	s_waitcnt lgkmcnt(3)
	v_fma_f64 v[30:31], -v[6:7], v[60:61], v[30:31]
	s_lshl_b32 s27, s27, 3
	s_waitcnt lgkmcnt(2)
	v_fma_f64 v[30:31], -v[4:5], v[64:65], v[30:31]
	v_mov_b32_e32 v34, s27
	s_add_i32 s27, s29, s21
	s_waitcnt lgkmcnt(1)
	v_fma_f64 v[30:31], -v[10:11], v[68:69], v[30:31]
	s_lshl_b32 s27, s27, 3
	s_waitcnt lgkmcnt(0)
	v_fma_f64 v[30:31], -v[8:9], v[72:73], v[30:31]
	ds_read2_b64 v[72:75], v34 offset1:1
	v_mov_b32_e32 v34, s27
	s_add_i32 s27, s29, s22
	s_lshl_b32 s27, s27, 3
	ds_read2_b64 v[76:79], v34 offset1:1
	v_mov_b32_e32 v34, s27
	s_add_i32 s27, s29, s23
	s_lshl_b32 s27, s27, 3
	v_mov_b32_e32 v35, s27
	s_add_i32 s27, s29, s24
	s_lshl_b32 s27, s27, 3
	ds_read2_b64 v[80:83], v34 offset1:1
	ds_read2_b64 v[84:87], v35 offset1:1
	v_mov_b32_e32 v34, s27
	s_add_i32 s27, s29, s26
	s_lshl_b32 s27, s27, 3
	s_waitcnt lgkmcnt(3)
	v_fma_f64 v[30:31], -v[14:15], v[74:75], v[30:31]
	v_mov_b32_e32 v35, s27
	ds_read2_b64 v[92:95], v34 offset1:1
	ds_read2_b64 v[96:99], v35 offset1:1
	s_add_i32 s27, s29, s25
	s_waitcnt lgkmcnt(4)
	v_fma_f64 v[30:31], -v[12:13], v[78:79], v[30:31]
	s_lshl_b32 s27, s27, 3
	s_waitcnt lgkmcnt(3)
	v_fma_f64 v[30:31], -v[18:19], v[82:83], v[30:31]
	v_mov_b32_e32 v34, s27
	s_add_i32 s27, s9, 0xfffffe98
	s_waitcnt lgkmcnt(2)
	v_fma_f64 v[30:31], -v[16:17], v[86:87], v[30:31]
	s_add_i32 s28, s29, s27
	s_waitcnt lgkmcnt(1)
	v_fma_f64 v[30:31], -v[22:23], v[94:95], v[30:31]
	s_lshl_b32 s28, s28, 3
	s_waitcnt lgkmcnt(0)
	v_fma_f64 v[30:31], -v[20:21], v[98:99], v[30:31]
	ds_read2_b64 v[98:101], v34 offset1:1
	v_mov_b32_e32 v34, s28
	s_add_i32 s28, s9, 0xfffffe80
	s_add_i32 s29, s29, s28
	s_lshl_b32 s29, s29, 3
	ds_read2_b64 v[102:105], v34 offset1:1
	v_mov_b32_e32 v34, s29
	s_add_i32 s29, s8, 0xfffff2b8
	ds_read2_b64 v[106:109], v34 offset1:1
	v_mov_b32_e32 v34, s29
	v_fma_f64 v[28:29], -v[46:47], v[32:33], v[28:29]
	s_sub_i32 s29, s6, 19
	v_fma_f64 v[28:29], -v[48:49], v[36:37], v[28:29]
	s_add_i32 s9, s29, s9
	v_fma_f64 v[28:29], -v[2:3], v[50:51], v[28:29]
	s_lshl_b32 s9, s9, 3
	v_fma_f64 v[28:29], -v[0:1], v[54:55], v[28:29]
	v_mov_b32_e32 v32, s9
	s_add_i32 s9, s29, s12
	v_fma_f64 v[28:29], -v[6:7], v[58:59], v[28:29]
	s_lshl_b32 s9, s9, 3
	v_fma_f64 v[28:29], -v[4:5], v[62:63], v[28:29]
	v_mov_b32_e32 v36, s9
	ds_read_b64 v[52:53], v34
	v_fma_f64 v[28:29], -v[10:11], v[66:67], v[28:29]
	ds_read2_b64 v[32:35], v32 offset1:1
	ds_read2_b64 v[36:39], v36 offset1:1
	v_fma_f64 v[28:29], -v[8:9], v[70:71], v[28:29]
	v_fma_f64 v[28:29], -v[14:15], v[72:73], v[28:29]
	;; [unrolled: 1-line block ×3, first 2 shown]
	s_add_i32 s7, s29, s7
	v_fma_f64 v[28:29], -v[18:19], v[80:81], v[28:29]
	s_waitcnt lgkmcnt(1)
	v_fma_f64 v[34:35], -v[46:47], v[34:35], v[40:41]
	s_lshl_b32 s7, s7, 3
	v_fma_f64 v[28:29], -v[16:17], v[84:85], v[28:29]
	s_waitcnt lgkmcnt(0)
	v_fma_f64 v[34:35], -v[48:49], v[38:39], v[34:35]
	v_mov_b32_e32 v38, s7
	v_fma_f64 v[28:29], -v[22:23], v[92:93], v[28:29]
	ds_read2_b64 v[38:41], v38 offset1:1
	v_fma_f64 v[30:31], -v[26:27], v[100:101], v[30:31]
	v_fma_f64 v[28:29], -v[20:21], v[96:97], v[28:29]
	s_add_i32 s7, s29, s13
	v_fma_f64 v[30:31], -v[24:25], v[104:105], v[30:31]
	v_fma_f64 v[28:29], -v[26:27], v[98:99], v[28:29]
	s_lshl_b32 s7, s7, 3
	v_mul_f64 v[30:31], v[108:109], v[30:31]
	v_fma_f64 v[28:29], -v[24:25], v[102:103], v[28:29]
	v_mov_b32_e32 v50, s7
	s_add_i32 s7, s29, s14
	v_fma_f64 v[28:29], -v[30:31], v[106:107], v[28:29]
	s_lshl_b32 s7, s7, 3
	v_mul_f64 v[28:29], v[52:53], v[28:29]
	ds_read2_b64 v[50:53], v50 offset1:1
	s_waitcnt lgkmcnt(1)
	v_fma_f64 v[34:35], -v[2:3], v[40:41], v[34:35]
	v_mov_b32_e32 v40, s7
	s_add_i32 s7, s29, s15
	s_lshl_b32 s7, s7, 3
	v_mov_b32_e32 v41, s7
	s_add_i32 s7, s29, s17
	global_store_dwordx4 v[44:45], v[28:31], off offset:-136
	s_lshl_b32 s7, s7, 3
	ds_read2_b64 v[54:57], v40 offset1:1
	ds_read2_b64 v[58:61], v41 offset1:1
	v_mov_b32_e32 v40, s7
	s_add_i32 s7, s29, s20
	s_lshl_b32 s7, s7, 3
	v_mov_b32_e32 v41, s7
	ds_read2_b64 v[62:65], v40 offset1:1
	ds_read2_b64 v[66:69], v41 offset1:1
	s_waitcnt lgkmcnt(4)
	v_fma_f64 v[34:35], -v[0:1], v[52:53], v[34:35]
	s_add_i32 s7, s29, s19
	s_waitcnt lgkmcnt(3)
	v_fma_f64 v[34:35], -v[6:7], v[56:57], v[34:35]
	s_lshl_b32 s7, s7, 3
	s_waitcnt lgkmcnt(2)
	v_fma_f64 v[34:35], -v[4:5], v[60:61], v[34:35]
	v_mov_b32_e32 v40, s7
	s_add_i32 s7, s29, s21
	s_waitcnt lgkmcnt(1)
	v_fma_f64 v[34:35], -v[10:11], v[64:65], v[34:35]
	s_lshl_b32 s7, s7, 3
	s_waitcnt lgkmcnt(0)
	v_fma_f64 v[34:35], -v[8:9], v[68:69], v[34:35]
	ds_read2_b64 v[68:71], v40 offset1:1
	v_mov_b32_e32 v40, s7
	s_add_i32 s7, s29, s22
	s_lshl_b32 s7, s7, 3
	ds_read2_b64 v[72:75], v40 offset1:1
	v_mov_b32_e32 v40, s7
	s_add_i32 s7, s29, s23
	s_lshl_b32 s7, s7, 3
	v_mov_b32_e32 v41, s7
	s_add_i32 s7, s29, s24
	s_lshl_b32 s7, s7, 3
	v_fma_f64 v[32:33], -v[46:47], v[32:33], v[42:43]
	ds_read2_b64 v[76:79], v40 offset1:1
	ds_read2_b64 v[80:83], v41 offset1:1
	v_mov_b32_e32 v40, s7
	s_add_i32 s7, s29, s26
	v_fma_f64 v[32:33], -v[48:49], v[36:37], v[32:33]
	s_lshl_b32 s7, s7, 3
	v_fma_f64 v[2:3], -v[2:3], v[38:39], v[32:33]
	s_waitcnt lgkmcnt(3)
	v_fma_f64 v[34:35], -v[14:15], v[70:71], v[34:35]
	v_mov_b32_e32 v41, s7
	ds_read2_b64 v[84:87], v40 offset1:1
	ds_read2_b64 v[92:95], v41 offset1:1
	v_fma_f64 v[0:1], -v[0:1], v[50:51], v[2:3]
	s_waitcnt lgkmcnt(4)
	v_fma_f64 v[34:35], -v[12:13], v[74:75], v[34:35]
	s_add_i32 s7, s29, s25
	v_fma_f64 v[0:1], -v[6:7], v[54:55], v[0:1]
	s_waitcnt lgkmcnt(3)
	v_fma_f64 v[34:35], -v[18:19], v[78:79], v[34:35]
	s_lshl_b32 s7, s7, 3
	v_fma_f64 v[0:1], -v[4:5], v[58:59], v[0:1]
	s_waitcnt lgkmcnt(2)
	v_fma_f64 v[34:35], -v[16:17], v[82:83], v[34:35]
	v_mov_b32_e32 v40, s7
	s_add_i32 s7, s29, s27
	v_fma_f64 v[0:1], -v[10:11], v[62:63], v[0:1]
	s_waitcnt lgkmcnt(1)
	v_fma_f64 v[34:35], -v[22:23], v[86:87], v[34:35]
	s_lshl_b32 s7, s7, 3
	s_add_i32 s29, s29, s28
	v_fma_f64 v[0:1], -v[8:9], v[66:67], v[0:1]
	s_waitcnt lgkmcnt(0)
	v_fma_f64 v[34:35], -v[20:21], v[94:95], v[34:35]
	ds_read2_b64 v[94:97], v40 offset1:1
	v_mov_b32_e32 v40, s7
	s_lshl_b32 s7, s29, 3
	v_fma_f64 v[0:1], -v[14:15], v[68:69], v[0:1]
	ds_read2_b64 v[98:101], v40 offset1:1
	v_mov_b32_e32 v40, s7
	s_add_i32 s9, s7, 0xffffff40
	v_fma_f64 v[0:1], -v[12:13], v[72:73], v[0:1]
	ds_read2_b64 v[102:105], v40 offset1:1
	v_mov_b32_e32 v40, s9
	s_addk_i32 s7, 0xfe80
	v_fma_f64 v[0:1], -v[18:19], v[76:77], v[0:1]
	ds_read2_b64 v[106:109], v40 offset1:1
	v_mov_b32_e32 v40, s7
	v_fma_f64 v[0:1], -v[16:17], v[80:81], v[0:1]
	ds_read2_b64 v[110:113], v40 offset1:1
	s_add_i32 s7, s8, 0xfffff128
	v_fma_f64 v[0:1], -v[22:23], v[84:85], v[0:1]
	s_waitcnt lgkmcnt(4)
	v_fma_f64 v[34:35], -v[26:27], v[96:97], v[34:35]
	v_mov_b32_e32 v40, s7
	v_fma_f64 v[0:1], -v[20:21], v[92:93], v[0:1]
	s_waitcnt lgkmcnt(3)
	v_fma_f64 v[34:35], -v[24:25], v[100:101], v[34:35]
	ds_read_b64 v[40:41], v40
	v_fma_f64 v[0:1], -v[26:27], v[94:95], v[0:1]
	s_waitcnt lgkmcnt(3)
	v_fma_f64 v[34:35], -v[30:31], v[104:105], v[34:35]
	v_fma_f64 v[0:1], -v[24:25], v[98:99], v[0:1]
	s_waitcnt lgkmcnt(2)
	v_fma_f64 v[34:35], -v[28:29], v[108:109], v[34:35]
	v_fma_f64 v[0:1], -v[30:31], v[102:103], v[0:1]
	s_waitcnt lgkmcnt(1)
	v_mul_f64 v[34:35], v[112:113], v[34:35]
	v_fma_f64 v[0:1], -v[28:29], v[106:107], v[0:1]
	v_fma_f64 v[0:1], -v[34:35], v[110:111], v[0:1]
	s_waitcnt lgkmcnt(0)
	v_mul_f64 v[32:33], v[40:41], v[0:1]
	s_sub_i32 s6, s6, 20
	global_store_dwordx4 v[44:45], v[32:35], off offset:-152
.LBB93_41:
	s_cmp_lt_i32 s6, 0
	s_cbranch_scc1 .LBB93_54
; %bb.42:
	s_bitcmp1_b32 s6, 0
	s_cselect_b64 s[8:9], -1, 0
	s_and_b64 vcc, exec, s[8:9]
	s_mov_b32 s8, s6
	s_cbranch_vccnz .LBB93_47
; %bb.43:
	s_mov_b32 s7, 0
	s_lshl_b64 s[8:9], s[6:7], 3
	v_mov_b32_e32 v1, s9
	v_add_co_u32_e32 v0, vcc, s8, v88
	v_addc_co_u32_e32 v1, vcc, v89, v1, vcc
	global_load_dwordx2 v[2:3], v[0:1], off
	s_cmp_le_i32 s18, s6
	s_waitcnt vmcnt(0)
	v_mul_f64 v[2:3], v[2:3], s[0:1]
	s_cbranch_scc1 .LBB93_46
; %bb.44:
	s_mul_i32 s7, s16, 0xc0
	s_lshl_b32 s8, s6, 3
	s_add_i32 s7, s7, s8
	s_ashr_i32 s19, s18, 31
	s_addk_i32 s7, 0xff40
	s_lshl_b64 s[8:9], s[18:19], 3
	s_add_u32 s8, s10, s8
	s_addc_u32 s9, s11, s9
	s_add_u32 s8, s8, s4
	s_addc_u32 s9, s9, s5
	;; [unrolled: 2-line block ×3, first 2 shown]
	v_mov_b32_e32 v5, s9
	v_add_co_u32_e32 v4, vcc, s8, v90
	v_addc_co_u32_e32 v5, vcc, v5, v91, vcc
	s_mov_b32 s8, s18
.LBB93_45:                              ; =>This Inner Loop Header: Depth=1
	global_load_dwordx2 v[6:7], v[4:5], off
	v_mov_b32_e32 v8, s7
	ds_read_b64 v[8:9], v8
	s_add_i32 s8, s8, -1
	s_addk_i32 s7, 0xff40
	v_add_co_u32_e32 v4, vcc, -8, v4
	v_addc_co_u32_e32 v5, vcc, -1, v5, vcc
	s_cmp_gt_i32 s8, s6
	s_waitcnt vmcnt(0) lgkmcnt(0)
	v_fma_f64 v[2:3], -v[6:7], v[8:9], v[2:3]
	s_cbranch_scc1 .LBB93_45
.LBB93_46:
	s_mul_i32 s7, s6, 0xc8
	v_mov_b32_e32 v4, s7
	ds_read_b64 v[4:5], v4
	s_add_i32 s8, s6, -1
	s_waitcnt lgkmcnt(0)
	v_mul_f64 v[2:3], v[4:5], v[2:3]
	global_store_dwordx2 v[0:1], v[2:3], off
.LBB93_47:
	s_cmp_eq_u32 s6, 0
	s_mov_b32 s9, 0
	s_cbranch_scc1 .LBB93_54
; %bb.48:
	s_mul_i32 s6, s16, 0xc0
	s_lshl_b32 s7, s8, 3
	s_add_i32 s7, s6, s7
	s_ashr_i32 s19, s18, 31
	s_add_i32 s6, s7, 0xffffff40
	s_lshl_b64 s[12:13], s[18:19], 3
	s_add_u32 s10, s10, s12
	s_addc_u32 s11, s11, s13
	s_add_u32 s4, s10, s4
	s_addc_u32 s5, s11, s5
	;; [unrolled: 2-line block ×3, first 2 shown]
	v_mov_b32_e32 v1, s3
	v_add_co_u32_e32 v0, vcc, s2, v90
	v_addc_co_u32_e32 v1, vcc, v1, v91, vcc
	s_add_i32 s2, s7, 0xffffff38
	s_branch .LBB93_50
.LBB93_49:                              ;   in Loop: Header=BB93_50 Depth=1
	s_addk_i32 s3, 0xff38
	v_mov_b32_e32 v6, s3
	ds_read_b64 v[6:7], v6
	s_add_i32 s3, s8, -2
	s_add_i32 s6, s6, -16
	;; [unrolled: 1-line block ×3, first 2 shown]
	s_cmp_lt_i32 s8, 2
	s_waitcnt lgkmcnt(0)
	v_mul_f64 v[2:3], v[6:7], v[2:3]
	s_mov_b32 s8, s3
	global_store_dwordx2 v[4:5], v[2:3], off offset:-8
	s_cbranch_scc1 .LBB93_54
.LBB93_50:                              ; =>This Loop Header: Depth=1
                                        ;     Child Loop BB93_51 Depth 2
                                        ;     Child Loop BB93_53 Depth 2
	s_lshl_b64 s[4:5], s[8:9], 3
	v_mov_b32_e32 v3, s5
	v_add_co_u32_e32 v2, vcc, s4, v88
	v_addc_co_u32_e32 v3, vcc, v89, v3, vcc
	global_load_dwordx2 v[2:3], v[2:3], off
	v_pk_mov_b32 v[4:5], v[0:1], v[0:1] op_sel:[0,1]
	s_mov_b32 s3, s6
	s_cmp_le_i32 s18, s8
	s_mov_b32 s4, s18
	s_waitcnt vmcnt(0)
	v_mul_f64 v[2:3], v[2:3], s[0:1]
	s_cbranch_scc1 .LBB93_52
.LBB93_51:                              ;   Parent Loop BB93_50 Depth=1
                                        ; =>  This Inner Loop Header: Depth=2
	global_load_dwordx2 v[6:7], v[4:5], off
	v_mov_b32_e32 v8, s3
	ds_read_b64 v[8:9], v8
	s_add_i32 s4, s4, -1
	s_addk_i32 s3, 0xff40
	v_add_co_u32_e32 v4, vcc, -8, v4
	v_addc_co_u32_e32 v5, vcc, -1, v5, vcc
	s_cmp_gt_i32 s4, s8
	s_waitcnt vmcnt(0) lgkmcnt(0)
	v_fma_f64 v[2:3], -v[6:7], v[8:9], v[2:3]
	s_cbranch_scc1 .LBB93_51
.LBB93_52:                              ;   in Loop: Header=BB93_50 Depth=1
	s_add_i32 s4, s8, -1
	s_mov_b32 s5, s9
	s_lshl_b64 s[4:5], s[4:5], 3
	v_mov_b32_e32 v5, s5
	v_add_co_u32_e32 v4, vcc, s4, v88
	v_addc_co_u32_e32 v5, vcc, v89, v5, vcc
	global_load_dwordx2 v[8:9], v[4:5], off
	s_mul_i32 s3, s8, 0xc8
	v_mov_b32_e32 v4, s3
	ds_read_b64 v[10:11], v4
	s_ashr_i32 s11, s8, 31
	s_mov_b32 s10, s8
	s_lshl_b64 s[10:11], s[10:11], 3
	v_mov_b32_e32 v5, s11
	v_add_co_u32_e32 v4, vcc, s10, v88
	v_addc_co_u32_e32 v5, vcc, v89, v5, vcc
	s_waitcnt lgkmcnt(0)
	v_mul_f64 v[2:3], v[10:11], v[2:3]
	v_pk_mov_b32 v[6:7], v[0:1], v[0:1] op_sel:[0,1]
	s_mov_b32 s4, s2
	s_cmp_lt_i32 s18, s8
	global_store_dwordx2 v[4:5], v[2:3], off
	s_mov_b32 s5, s16
	s_waitcnt vmcnt(1)
	v_mul_f64 v[2:3], v[8:9], s[0:1]
	s_cbranch_scc1 .LBB93_49
.LBB93_53:                              ;   Parent Loop BB93_50 Depth=1
                                        ; =>  This Inner Loop Header: Depth=2
	global_load_dwordx2 v[8:9], v[6:7], off
	v_mov_b32_e32 v10, s4
	ds_read_b64 v[10:11], v10
	s_add_i32 s5, s5, -1
	s_addk_i32 s4, 0xff40
	v_add_co_u32_e32 v6, vcc, -8, v6
	v_addc_co_u32_e32 v7, vcc, -1, v7, vcc
	s_cmp_gt_i32 s5, s8
	s_waitcnt vmcnt(0) lgkmcnt(0)
	v_fma_f64 v[2:3], -v[8:9], v[10:11], v[2:3]
	s_cbranch_scc1 .LBB93_53
	s_branch .LBB93_49
.LBB93_54:
	s_endpgm
	.section	.rodata,"a",@progbits
	.p2align	6, 0x0
	.amdhsa_kernel _ZL30rocblas_trsm_small_left_deviceILi24ELi24ELb0EddPKdPdEv13rocblas_fill_18rocblas_operation_17rocblas_diagonal_iiT3_T4_lilT5_lili
		.amdhsa_group_segment_fixed_size 4608
		.amdhsa_private_segment_fixed_size 0
		.amdhsa_kernarg_size 360
		.amdhsa_user_sgpr_count 6
		.amdhsa_user_sgpr_private_segment_buffer 1
		.amdhsa_user_sgpr_dispatch_ptr 0
		.amdhsa_user_sgpr_queue_ptr 0
		.amdhsa_user_sgpr_kernarg_segment_ptr 1
		.amdhsa_user_sgpr_dispatch_id 0
		.amdhsa_user_sgpr_flat_scratch_init 0
		.amdhsa_user_sgpr_kernarg_preload_length 0
		.amdhsa_user_sgpr_kernarg_preload_offset 0
		.amdhsa_user_sgpr_private_segment_size 0
		.amdhsa_uses_dynamic_stack 0
		.amdhsa_system_sgpr_private_segment_wavefront_offset 0
		.amdhsa_system_sgpr_workgroup_id_x 1
		.amdhsa_system_sgpr_workgroup_id_y 0
		.amdhsa_system_sgpr_workgroup_id_z 1
		.amdhsa_system_sgpr_workgroup_info 0
		.amdhsa_system_vgpr_workitem_id 0
		.amdhsa_next_free_vgpr 120
		.amdhsa_next_free_sgpr 37
		.amdhsa_accum_offset 120
		.amdhsa_reserve_vcc 1
		.amdhsa_reserve_flat_scratch 0
		.amdhsa_float_round_mode_32 0
		.amdhsa_float_round_mode_16_64 0
		.amdhsa_float_denorm_mode_32 3
		.amdhsa_float_denorm_mode_16_64 3
		.amdhsa_dx10_clamp 1
		.amdhsa_ieee_mode 1
		.amdhsa_fp16_overflow 0
		.amdhsa_tg_split 0
		.amdhsa_exception_fp_ieee_invalid_op 0
		.amdhsa_exception_fp_denorm_src 0
		.amdhsa_exception_fp_ieee_div_zero 0
		.amdhsa_exception_fp_ieee_overflow 0
		.amdhsa_exception_fp_ieee_underflow 0
		.amdhsa_exception_fp_ieee_inexact 0
		.amdhsa_exception_int_div_zero 0
	.end_amdhsa_kernel
	.section	.text._ZL30rocblas_trsm_small_left_deviceILi24ELi24ELb0EddPKdPdEv13rocblas_fill_18rocblas_operation_17rocblas_diagonal_iiT3_T4_lilT5_lili,"axG",@progbits,_ZL30rocblas_trsm_small_left_deviceILi24ELi24ELb0EddPKdPdEv13rocblas_fill_18rocblas_operation_17rocblas_diagonal_iiT3_T4_lilT5_lili,comdat
.Lfunc_end93:
	.size	_ZL30rocblas_trsm_small_left_deviceILi24ELi24ELb0EddPKdPdEv13rocblas_fill_18rocblas_operation_17rocblas_diagonal_iiT3_T4_lilT5_lili, .Lfunc_end93-_ZL30rocblas_trsm_small_left_deviceILi24ELi24ELb0EddPKdPdEv13rocblas_fill_18rocblas_operation_17rocblas_diagonal_iiT3_T4_lilT5_lili
                                        ; -- End function
	.section	.AMDGPU.csdata,"",@progbits
; Kernel info:
; codeLenInByte = 22268
; NumSgprs: 41
; NumVgprs: 120
; NumAgprs: 0
; TotalNumVgprs: 120
; ScratchSize: 0
; MemoryBound: 1
; FloatMode: 240
; IeeeMode: 1
; LDSByteSize: 4608 bytes/workgroup (compile time only)
; SGPRBlocks: 5
; VGPRBlocks: 14
; NumSGPRsForWavesPerEU: 41
; NumVGPRsForWavesPerEU: 120
; AccumOffset: 120
; Occupancy: 4
; WaveLimiterHint : 1
; COMPUTE_PGM_RSRC2:SCRATCH_EN: 0
; COMPUTE_PGM_RSRC2:USER_SGPR: 6
; COMPUTE_PGM_RSRC2:TRAP_HANDLER: 0
; COMPUTE_PGM_RSRC2:TGID_X_EN: 1
; COMPUTE_PGM_RSRC2:TGID_Y_EN: 0
; COMPUTE_PGM_RSRC2:TGID_Z_EN: 1
; COMPUTE_PGM_RSRC2:TIDIG_COMP_CNT: 0
; COMPUTE_PGM_RSRC3_GFX90A:ACCUM_OFFSET: 29
; COMPUTE_PGM_RSRC3_GFX90A:TG_SPLIT: 0
	.section	.text._ZL38rocblas_trsm_small_left_device_sharedBILi24ELi24ELb1EddPKdPdEv13rocblas_fill_18rocblas_operation_17rocblas_diagonal_iiT3_T4_lilT5_lili,"axG",@progbits,_ZL38rocblas_trsm_small_left_device_sharedBILi24ELi24ELb1EddPKdPdEv13rocblas_fill_18rocblas_operation_17rocblas_diagonal_iiT3_T4_lilT5_lili,comdat
	.globl	_ZL38rocblas_trsm_small_left_device_sharedBILi24ELi24ELb1EddPKdPdEv13rocblas_fill_18rocblas_operation_17rocblas_diagonal_iiT3_T4_lilT5_lili ; -- Begin function _ZL38rocblas_trsm_small_left_device_sharedBILi24ELi24ELb1EddPKdPdEv13rocblas_fill_18rocblas_operation_17rocblas_diagonal_iiT3_T4_lilT5_lili
	.p2align	8
	.type	_ZL38rocblas_trsm_small_left_device_sharedBILi24ELi24ELb1EddPKdPdEv13rocblas_fill_18rocblas_operation_17rocblas_diagonal_iiT3_T4_lilT5_lili,@function
_ZL38rocblas_trsm_small_left_device_sharedBILi24ELi24ELb1EddPKdPdEv13rocblas_fill_18rocblas_operation_17rocblas_diagonal_iiT3_T4_lilT5_lili: ; @_ZL38rocblas_trsm_small_left_device_sharedBILi24ELi24ELb1EddPKdPdEv13rocblas_fill_18rocblas_operation_17rocblas_diagonal_iiT3_T4_lilT5_lili
; %bb.0:
	s_load_dwordx4 s[8:11], s[4:5], 0x4
	s_load_dwordx4 s[12:15], s[4:5], 0x18
	s_load_dwordx2 s[20:21], s[4:5], 0x28
	s_load_dwordx4 s[0:3], s[4:5], 0x38
	s_load_dwordx2 s[16:17], s[4:5], 0x48
	s_waitcnt lgkmcnt(0)
	s_min_i32 s30, s10, 24
	s_mov_b32 s33, 0
	s_add_i32 s31, s30, -1
	v_cmp_gt_i32_e32 vcc, s30, v0
	s_and_saveexec_b64 s[18:19], vcc
	s_cbranch_execz .LBB94_10
; %bb.1:
	s_load_dword s22, s[4:5], 0x30
	s_mul_i32 s1, s7, s1
	s_mul_hi_u32 s24, s7, s0
	s_add_i32 s1, s24, s1
	s_mul_i32 s0, s7, s0
	s_waitcnt lgkmcnt(0)
	s_ashr_i32 s23, s22, 31
	s_cmp_lt_u32 s31, 3
	s_cbranch_scc1 .LBB94_4
; %bb.2:
	s_lshl_b64 s[24:25], s[0:1], 3
	s_add_u32 s26, s14, s24
	s_addc_u32 s27, s15, s25
	s_lshl_b64 s[24:25], s[20:21], 3
	s_add_u32 s24, s26, s24
	s_addc_u32 s25, s27, s25
	v_lshlrev_b32_e32 v1, 3, v0
	v_mov_b32_e32 v3, s25
	v_add_co_u32_e32 v2, vcc, s24, v1
	s_mul_hi_i32 s36, s22, 24
	s_lshl_b64 s[24:25], s[22:23], 5
	s_lshl_b64 s[26:27], s[22:23], 4
	;; [unrolled: 1-line block ×3, first 2 shown]
	v_addc_co_u32_e32 v3, vcc, 0, v3, vcc
	s_and_b32 s33, s30, -4
	s_mul_i32 s34, s22, 24
	s_mov_b32 s35, 0
	v_mov_b32_e32 v4, s29
	v_mov_b32_e32 v5, s27
	;; [unrolled: 1-line block ×4, first 2 shown]
.LBB94_3:                               ; =>This Inner Loop Header: Depth=1
	v_add_co_u32_e32 v10, vcc, s28, v2
	v_addc_co_u32_e32 v11, vcc, v3, v4, vcc
	v_add_co_u32_e32 v12, vcc, s26, v2
	v_addc_co_u32_e32 v13, vcc, v3, v5, vcc
	v_add_co_u32_e32 v14, vcc, s34, v2
	global_load_dwordx2 v[8:9], v[2:3], off
	v_addc_co_u32_e32 v15, vcc, v3, v6, vcc
	global_load_dwordx2 v[16:17], v[10:11], off
	global_load_dwordx2 v[18:19], v[12:13], off
	;; [unrolled: 1-line block ×3, first 2 shown]
	s_add_i32 s35, s35, 4
	v_add_co_u32_e32 v2, vcc, s24, v2
	v_addc_co_u32_e32 v3, vcc, v3, v7, vcc
	s_cmp_eq_u32 s33, s35
	s_waitcnt vmcnt(2)
	ds_write2_b64 v1, v[8:9], v[16:17] offset1:24
	s_waitcnt vmcnt(0)
	ds_write2_b64 v1, v[18:19], v[20:21] offset0:48 offset1:72
	v_add_u32_e32 v1, 0x300, v1
	s_cbranch_scc0 .LBB94_3
.LBB94_4:
	s_and_b32 s24, s30, 3
	s_cmp_eq_u32 s24, 0
	s_cbranch_scc1 .LBB94_7
; %bb.5:
	s_mul_i32 s25, s33, 0xc0
	v_lshl_add_u32 v1, v0, 3, s25
	s_mul_i32 s25, s23, s33
	s_mul_hi_u32 s26, s22, s33
	s_add_i32 s27, s26, s25
	s_mul_i32 s26, s22, s33
	s_lshl_b64 s[0:1], s[0:1], 3
	s_lshl_b64 s[26:27], s[26:27], 3
	s_add_u32 s25, s0, s26
	s_addc_u32 s26, s1, s27
	s_lshl_b64 s[0:1], s[20:21], 3
	s_add_u32 s0, s25, s0
	s_addc_u32 s1, s26, s1
	s_add_u32 s0, s14, s0
	v_lshlrev_b32_e32 v2, 3, v0
	s_addc_u32 s1, s15, s1
	v_mov_b32_e32 v3, s1
	v_add_co_u32_e32 v2, vcc, s0, v2
	s_lshl_b64 s[0:1], s[22:23], 3
	v_addc_co_u32_e32 v3, vcc, 0, v3, vcc
	v_mov_b32_e32 v4, s1
.LBB94_6:                               ; =>This Inner Loop Header: Depth=1
	global_load_dwordx2 v[6:7], v[2:3], off
	v_add_co_u32_e32 v2, vcc, s0, v2
	s_add_i32 s24, s24, -1
	v_addc_co_u32_e32 v3, vcc, v3, v4, vcc
	s_cmp_lg_u32 s24, 0
	s_waitcnt vmcnt(0)
	ds_write_b64 v1, v[6:7]
	v_add_u32_e32 v1, 0xc0, v1
	s_cbranch_scc1 .LBB94_6
.LBB94_7:
	v_mul_u32_u24_e32 v1, 25, v0
	v_mov_b32_e32 v2, 0
	s_cmpk_lg_i32 s9, 0x84
	v_lshlrev_b32_e32 v1, 3, v1
	v_mov_b32_e32 v3, 0x3ff00000
	s_cbranch_scc0 .LBB94_9
; %bb.8:
	ds_read_b64 v[2:3], v1
	s_waitcnt lgkmcnt(0)
	v_div_scale_f64 v[4:5], s[0:1], v[2:3], v[2:3], 1.0
	v_rcp_f64_e32 v[6:7], v[4:5]
	v_div_scale_f64 v[8:9], vcc, 1.0, v[2:3], 1.0
	v_fma_f64 v[10:11], -v[4:5], v[6:7], 1.0
	v_fmac_f64_e32 v[6:7], v[6:7], v[10:11]
	v_fma_f64 v[10:11], -v[4:5], v[6:7], 1.0
	v_fmac_f64_e32 v[6:7], v[6:7], v[10:11]
	v_mul_f64 v[10:11], v[8:9], v[6:7]
	v_fma_f64 v[4:5], -v[4:5], v[10:11], v[8:9]
	v_div_fmas_f64 v[4:5], v[4:5], v[6:7], v[10:11]
	v_div_fixup_f64 v[2:3], v[4:5], v[2:3], 1.0
.LBB94_9:
	ds_write_b64 v1, v[2:3]
.LBB94_10:
	s_or_b64 exec, exec, s[18:19]
	s_load_dword s9, s[4:5], 0x68
	s_load_dword s22, s[4:5], 0x50
	s_load_dwordx2 s[0:1], s[4:5], 0x58
	s_mov_b32 s18, 0
	s_waitcnt lgkmcnt(0)
	s_ashr_i32 s23, s22, 31
	s_mul_i32 s1, s7, s1
	s_mul_hi_u32 s4, s7, s0
	s_mul_i32 s0, s7, s0
	s_add_i32 s1, s4, s1
	s_lshl_b64 s[0:1], s[0:1], 3
	s_add_u32 s7, s2, s0
	s_addc_u32 s14, s3, s1
	s_lshl_b64 s[4:5], s[16:17], 3
	s_add_u32 s16, s7, s4
	s_mul_i32 s7, s6, 0xffffffe8
	s_addc_u32 s17, s14, s5
	s_add_i32 s9, s9, -1
	s_add_i32 s7, s7, s11
	s_cmp_ge_u32 s6, s9
	s_mul_i32 s6, s6, 24
	s_mul_hi_i32 s15, s22, s6
	s_mul_i32 s14, s22, s6
	s_cselect_b32 s9, s7, 24
	s_ashr_i32 s7, s6, 31
	s_lshl_b64 s[14:15], s[14:15], 3
	s_add_u32 s11, s16, s14
	s_addc_u32 s24, s17, s15
	s_cmp_gt_i32 s10, 0
	v_cmp_gt_i32_e32 vcc, s9, v0
	s_cselect_b64 s[14:15], -1, 0
	s_and_b64 s[14:15], vcc, s[14:15]
	s_and_saveexec_b64 s[16:17], s[14:15]
	s_cbranch_execz .LBB94_17
; %bb.11:
	s_cmp_lt_i32 s10, 8
	s_cbranch_scc1 .LBB94_14
; %bb.12:
	v_mad_i64_i32 v[2:3], s[18:19], s22, v0, 0
	v_lshlrev_b64 v[2:3], 3, v[2:3]
	v_mov_b32_e32 v4, s24
	v_add_co_u32_e32 v1, vcc, s11, v2
	v_addc_co_u32_e32 v2, vcc, v4, v3, vcc
	v_mov_b32_e32 v3, 0x1200
	s_lshl_b32 s9, s30, 3
	v_lshl_or_b32 v3, v0, 3, v3
	s_and_b32 s9, s9, 0xc0
	s_mov_b32 s18, 0
	s_mov_b64 s[20:21], 0
.LBB94_13:                              ; =>This Inner Loop Header: Depth=1
	v_mov_b32_e32 v4, s21
	v_add_co_u32_e32 v20, vcc, s20, v1
	v_addc_co_u32_e32 v21, vcc, v2, v4, vcc
	global_load_dwordx4 v[4:7], v[20:21], off
	global_load_dwordx4 v[8:11], v[20:21], off offset:16
	global_load_dwordx4 v[12:15], v[20:21], off offset:32
	;; [unrolled: 1-line block ×3, first 2 shown]
	s_add_i32 s18, s18, 8
	s_add_u32 s20, s20, 64
	s_addc_u32 s21, s21, 0
	s_cmp_lg_u32 s9, s20
	s_waitcnt vmcnt(3)
	v_mul_f64 v[4:5], v[4:5], s[12:13]
	v_mul_f64 v[6:7], v[6:7], s[12:13]
	s_waitcnt vmcnt(2)
	v_mul_f64 v[8:9], v[8:9], s[12:13]
	v_mul_f64 v[10:11], v[10:11], s[12:13]
	;; [unrolled: 3-line block ×4, first 2 shown]
	ds_write2_b64 v3, v[4:5], v[6:7] offset1:24
	ds_write2_b64 v3, v[8:9], v[10:11] offset0:48 offset1:72
	ds_write2_b64 v3, v[12:13], v[14:15] offset0:96 offset1:120
	;; [unrolled: 1-line block ×3, first 2 shown]
	v_add_u32_e32 v3, 0x600, v3
	s_cbranch_scc1 .LBB94_13
.LBB94_14:
	s_and_b32 s9, s30, 7
	s_cmp_eq_u32 s9, 0
	s_mov_b32 s19, 0
	s_cbranch_scc1 .LBB94_17
; %bb.15:
	s_mul_i32 s20, s18, 0xc0
	v_lshl_add_u32 v1, v0, 3, s20
	s_lshl_b64 s[20:21], s[6:7], 3
	s_lshl_b64 s[18:19], s[18:19], 3
	s_add_u32 s18, s2, s18
	s_addc_u32 s19, s3, s19
	s_add_u32 s18, s18, s4
	s_addc_u32 s19, s19, s5
	v_lshlrev_b32_e32 v2, 3, v0
	s_add_u32 s18, s18, s0
	v_mov_b32_e32 v3, s21
	v_add_co_u32_e32 v4, vcc, s20, v2
	s_addc_u32 s19, s19, s1
	v_addc_co_u32_e32 v5, vcc, 0, v3, vcc
	v_pk_mov_b32 v[2:3], s[18:19], s[18:19] op_sel:[0,1]
	v_mad_u64_u32 v[2:3], s[18:19], v4, s22, v[2:3]
	v_mul_lo_u32 v4, v4, s23
	v_mul_lo_u32 v5, v5, s22
	v_add_u32_e32 v1, 0x1200, v1
	v_add3_u32 v3, v5, v3, v4
.LBB94_16:                              ; =>This Inner Loop Header: Depth=1
	global_load_dwordx2 v[4:5], v[2:3], off
	v_add_co_u32_e32 v2, vcc, 8, v2
	s_add_i32 s9, s9, -1
	v_addc_co_u32_e32 v3, vcc, 0, v3, vcc
	s_cmp_lg_u32 s9, 0
	s_waitcnt vmcnt(0)
	v_mul_f64 v[4:5], v[4:5], s[12:13]
	ds_write_b64 v1, v[4:5]
	v_add_u32_e32 v1, 0xc0, v1
	s_cbranch_scc1 .LBB94_16
.LBB94_17:
	s_or_b64 exec, exec, s[16:17]
	s_cmpk_eq_i32 s8, 0x6f
	s_mov_b64 s[8:9], -1
	s_waitcnt lgkmcnt(0)
	; wave barrier
	s_waitcnt lgkmcnt(0)
	s_cbranch_scc1 .LBB94_40
; %bb.18:
	s_cmp_gt_i32 s10, 23
	s_mov_b32 s8, s31
	s_cbranch_scc0 .LBB94_20
; %bb.19:
	s_mul_i32 s8, s31, 24
	s_mul_i32 s37, s30, 24
	v_add_lshl_u32 v1, s8, v0, 3
	s_sub_i32 s8, s37, 48
	s_add_i32 s40, s37, 0xffffff88
	s_add_i32 s34, s37, 0xffffff28
	;; [unrolled: 1-line block ×5, first 2 shown]
	s_mul_i32 s29, s31, 0xc8
	v_add_lshl_u32 v63, s8, v0, 3
	s_add_i32 s38, s37, 0xffffffb8
	s_add_i32 s39, s37, 0xffffffa0
	v_add_lshl_u32 v74, s40, v0, 3
	s_add_i32 s41, s37, 0xffffff70
	s_add_i32 s36, s37, 0xffffff58
	s_add_i32 s35, s37, 0xffffff40
	v_add_lshl_u32 v81, s34, v0, 3
	s_add_i32 s33, s37, 0xffffff10
	;; [unrolled: 4-line block ×5, first 2 shown]
	s_add_i32 s9, s37, 0xfffffdd8
	s_add_i32 s8, s37, 0xfffffdc0
	v_mov_b32_e32 v6, s29
	v_add_lshl_u32 v72, s38, v0, 3
	v_add_lshl_u32 v73, s39, v0, 3
	ds_read_b64 v[4:5], v1 offset:4608
	ds_read_b64 v[14:15], v63 offset:4608
	ds_read_b64 v[64:65], v72 offset:4608
	ds_read_b64 v[68:69], v73 offset:4608
	v_add_lshl_u32 v78, s41, v0, 3
	v_add_lshl_u32 v79, s36, v0, 3
	v_add_lshl_u32 v80, s35, v0, 3
	ds_read_b64 v[70:71], v74 offset:4608
	ds_read_b64 v[76:77], v78 offset:4608
	ds_read_b64 v[18:19], v79 offset:4608
	ds_read_b64 v[20:21], v80 offset:4608
	v_add_lshl_u32 v82, s33, v0, 3
	;; [unrolled: 7-line block ×5, first 2 shown]
	v_add_lshl_u32 v50, s9, v0, 3
	v_add_lshl_u32 v1, s8, v0, 3
	ds_read_b64 v[30:31], v52 offset:4608
	ds_read_b64 v[24:25], v51 offset:4608
	;; [unrolled: 1-line block ×4, first 2 shown]
	ds_read_b64 v[10:11], v6
	s_sub_i32 s37, s37, 24
	s_add_i32 s42, s29, 0xffffff38
	s_add_i32 s38, s38, s31
	v_mov_b32_e32 v6, s42
	s_waitcnt lgkmcnt(0)
	v_mul_f64 v[4:5], v[10:11], v[4:5]
	v_add_lshl_u32 v10, s37, v0, 3
	s_lshl_b32 s37, s38, 3
	ds_read2_b64 v[6:9], v6 offset1:1
	ds_write_b64 v10, v[4:5] offset:4608
	v_mov_b32_e32 v10, s37
	s_add_i32 s37, s29, 0xfffffe70
	v_mov_b32_e32 v11, s37
	ds_read_b64 v[66:67], v10
	ds_read2_b64 v[10:13], v11 offset1:1
	s_waitcnt lgkmcnt(3)
	v_fma_f64 v[8:9], -v[4:5], v[8:9], v[14:15]
	s_add_i32 s39, s39, s31
	v_mul_f64 v[8:9], v[6:7], v[8:9]
	s_waitcnt lgkmcnt(1)
	v_fma_f64 v[6:7], -v[4:5], v[66:67], v[64:65]
	s_lshl_b32 s37, s39, 3
	s_waitcnt lgkmcnt(0)
	v_fma_f64 v[6:7], -v[8:9], v[12:13], v[6:7]
	s_add_i32 s37, s37, -8
	v_mul_f64 v[6:7], v[10:11], v[6:7]
	v_mov_b32_e32 v10, s37
	ds_read2_b64 v[10:13], v10 offset1:1
	s_add_i32 s37, s29, 0xfffffda8
	v_mov_b32_e32 v14, s37
	ds_read2_b64 v[64:67], v14 offset1:1
	s_add_i32 s40, s40, s31
	s_waitcnt lgkmcnt(1)
	v_fma_f64 v[12:13], -v[4:5], v[12:13], v[68:69]
	s_lshl_b32 s37, s40, 3
	v_fma_f64 v[10:11], -v[8:9], v[10:11], v[12:13]
	v_mov_b32_e32 v12, s37
	s_add_i32 s37, s37, -16
	ds_write_b64 v63, v[8:9] offset:4608
	ds_write_b64 v72, v[6:7] offset:4608
	v_mov_b32_e32 v13, s37
	ds_read_b64 v[68:69], v12
	ds_read2_b64 v[12:15], v13 offset1:1
	s_waitcnt lgkmcnt(4)
	v_fma_f64 v[10:11], -v[6:7], v[66:67], v[10:11]
	v_mul_f64 v[10:11], v[64:65], v[10:11]
	s_add_i32 s37, s29, 0xfffffce0
	s_waitcnt lgkmcnt(1)
	v_fma_f64 v[64:65], -v[4:5], v[68:69], v[70:71]
	s_waitcnt lgkmcnt(0)
	v_fma_f64 v[14:15], -v[8:9], v[14:15], v[64:65]
	v_fma_f64 v[68:69], -v[6:7], v[12:13], v[14:15]
	v_mov_b32_e32 v12, s37
	ds_read2_b64 v[12:15], v12 offset1:1
	s_add_i32 s41, s41, s31
	s_lshl_b32 s37, s41, 3
	s_add_i32 s38, s37, -8
	v_mov_b32_e32 v63, s38
	ds_read2_b64 v[64:67], v63 offset1:1
	s_waitcnt lgkmcnt(1)
	v_fma_f64 v[14:15], -v[10:11], v[14:15], v[68:69]
	s_sub_i32 s37, s37, 24
	v_mul_f64 v[12:13], v[12:13], v[14:15]
	v_mov_b32_e32 v14, s37
	s_add_i32 s37, s29, 0xfffffc18
	ds_read2_b64 v[68:71], v14 offset1:1
	v_mov_b32_e32 v14, s37
	ds_write_b64 v73, v[10:11] offset:4608
	ds_write_b64 v74, v[12:13] offset:4608
	ds_read2_b64 v[72:75], v14 offset1:1
	s_waitcnt lgkmcnt(4)
	v_fma_f64 v[14:15], -v[4:5], v[66:67], v[76:77]
	v_fma_f64 v[14:15], -v[8:9], v[64:65], v[14:15]
	s_waitcnt lgkmcnt(3)
	v_fma_f64 v[14:15], -v[6:7], v[70:71], v[14:15]
	s_add_i32 s36, s36, s31
	v_fma_f64 v[14:15], -v[10:11], v[68:69], v[14:15]
	s_lshl_b32 s36, s36, 3
	s_waitcnt lgkmcnt(0)
	v_fma_f64 v[14:15], -v[12:13], v[74:75], v[14:15]
	s_add_i32 s37, s36, -8
	v_mul_f64 v[14:15], v[72:73], v[14:15]
	v_mov_b32_e32 v63, s37
	s_sub_i32 s37, s36, 24
	ds_write_b64 v78, v[14:15] offset:4608
	v_mov_b32_e32 v68, s37
	ds_read2_b64 v[64:67], v63 offset1:1
	ds_read2_b64 v[68:71], v68 offset1:1
	s_sub_i32 s36, s36, 40
	v_mov_b32_e32 v63, s36
	s_add_i32 s35, s35, s31
	s_waitcnt lgkmcnt(1)
	v_fma_f64 v[18:19], -v[4:5], v[66:67], v[18:19]
	ds_read2_b64 v[72:75], v63 offset1:1
	v_fma_f64 v[18:19], -v[8:9], v[64:65], v[18:19]
	s_add_i32 s36, s29, 0xfffffb50
	s_lshl_b32 s35, s35, 3
	s_waitcnt lgkmcnt(1)
	v_fma_f64 v[18:19], -v[6:7], v[70:71], v[18:19]
	v_mov_b32_e32 v63, s36
	s_add_i32 s36, s35, -16
	v_fma_f64 v[18:19], -v[10:11], v[68:69], v[18:19]
	ds_read_b64 v[68:69], v63
	v_mov_b32_e32 v63, s35
	v_mov_b32_e32 v64, s36
	ds_read_b64 v[70:71], v63
	ds_read2_b64 v[64:67], v64 offset1:1
	s_waitcnt lgkmcnt(3)
	v_fma_f64 v[18:19], -v[12:13], v[74:75], v[18:19]
	v_fma_f64 v[18:19], -v[14:15], v[72:73], v[18:19]
	s_waitcnt lgkmcnt(2)
	v_mul_f64 v[18:19], v[68:69], v[18:19]
	s_waitcnt lgkmcnt(1)
	v_fma_f64 v[20:21], -v[4:5], v[70:71], v[20:21]
	s_sub_i32 s36, s35, 32
	s_sub_i32 s35, s35, 48
	ds_write_b64 v79, v[18:19] offset:4608
	s_waitcnt lgkmcnt(1)
	v_fma_f64 v[20:21], -v[8:9], v[66:67], v[20:21]
	v_mov_b32_e32 v63, s36
	v_mov_b32_e32 v68, s35
	v_fma_f64 v[20:21], -v[6:7], v[64:65], v[20:21]
	ds_read2_b64 v[64:67], v63 offset1:1
	ds_read2_b64 v[68:71], v68 offset1:1
	s_add_i32 s34, s34, s31
	s_add_i32 s35, s29, 0xfffffa88
	s_lshl_b32 s34, s34, 3
	v_mov_b32_e32 v63, s35
	s_add_i32 s35, s34, -8
	ds_read_b64 v[72:73], v63
	s_waitcnt lgkmcnt(2)
	v_fma_f64 v[20:21], -v[10:11], v[66:67], v[20:21]
	v_mov_b32_e32 v63, s35
	v_fma_f64 v[20:21], -v[12:13], v[64:65], v[20:21]
	ds_read2_b64 v[64:67], v63 offset1:1
	s_sub_i32 s35, s34, 24
	s_waitcnt lgkmcnt(2)
	v_fma_f64 v[20:21], -v[14:15], v[70:71], v[20:21]
	v_mov_b32_e32 v63, s35
	v_fma_f64 v[20:21], -v[18:19], v[68:69], v[20:21]
	ds_read2_b64 v[68:71], v63 offset1:1
	s_sub_i32 s35, s34, 40
	;; [unrolled: 6-line block ×3, first 2 shown]
	v_mov_b32_e32 v63, s34
	s_waitcnt lgkmcnt(1)
	v_fma_f64 v[22:23], -v[6:7], v[70:71], v[22:23]
	s_add_i32 s33, s33, s31
	v_mul_f64 v[20:21], v[72:73], v[20:21]
	ds_read2_b64 v[72:75], v63 offset1:1
	v_fma_f64 v[22:23], -v[10:11], v[68:69], v[22:23]
	s_add_i32 s34, s29, 0xfffff9c0
	s_lshl_b32 s33, s33, 3
	s_waitcnt lgkmcnt(1)
	v_fma_f64 v[22:23], -v[12:13], v[66:67], v[22:23]
	v_mov_b32_e32 v63, s34
	s_add_i32 s34, s33, -16
	ds_write_b64 v80, v[20:21] offset:4608
	v_fma_f64 v[22:23], -v[14:15], v[64:65], v[22:23]
	ds_read_b64 v[68:69], v63
	v_mov_b32_e32 v63, s33
	v_mov_b32_e32 v64, s34
	ds_read_b64 v[70:71], v63
	ds_read2_b64 v[64:67], v64 offset1:1
	s_waitcnt lgkmcnt(4)
	v_fma_f64 v[22:23], -v[18:19], v[74:75], v[22:23]
	v_fma_f64 v[22:23], -v[20:21], v[72:73], v[22:23]
	s_sub_i32 s34, s33, 32
	s_waitcnt lgkmcnt(2)
	v_mul_f64 v[22:23], v[68:69], v[22:23]
	s_waitcnt lgkmcnt(1)
	v_fma_f64 v[26:27], -v[4:5], v[70:71], v[26:27]
	v_mov_b32_e32 v63, s34
	s_sub_i32 s34, s33, 48
	ds_write_b64 v81, v[22:23] offset:4608
	s_waitcnt lgkmcnt(1)
	v_fma_f64 v[26:27], -v[8:9], v[66:67], v[26:27]
	v_mov_b32_e32 v68, s34
	v_fma_f64 v[26:27], -v[6:7], v[64:65], v[26:27]
	ds_read2_b64 v[64:67], v63 offset1:1
	ds_read2_b64 v[68:71], v68 offset1:1
	s_sub_i32 s33, s33, 64
	s_add_i32 s12, s12, s31
	v_mov_b32_e32 v63, s33
	s_waitcnt lgkmcnt(1)
	v_fma_f64 v[26:27], -v[10:11], v[66:67], v[26:27]
	v_fma_f64 v[26:27], -v[12:13], v[64:65], v[26:27]
	s_addk_i32 s29, 0xf8f8
	s_lshl_b32 s12, s12, 3
	ds_read2_b64 v[72:75], v63 offset1:1
	s_waitcnt lgkmcnt(1)
	v_fma_f64 v[26:27], -v[14:15], v[70:71], v[26:27]
	v_mov_b32_e32 v63, s29
	s_add_i32 s29, s12, -16
	v_fma_f64 v[26:27], -v[18:19], v[68:69], v[26:27]
	ds_read_b64 v[68:69], v63
	v_mov_b32_e32 v63, s12
	v_mov_b32_e32 v64, s29
	ds_read_b64 v[70:71], v63
	ds_read2_b64 v[64:67], v64 offset1:1
	s_waitcnt lgkmcnt(3)
	v_fma_f64 v[26:27], -v[20:21], v[74:75], v[26:27]
	s_sub_i32 s29, s12, 32
	v_fma_f64 v[26:27], -v[22:23], v[72:73], v[26:27]
	s_waitcnt lgkmcnt(1)
	v_fma_f64 v[28:29], -v[4:5], v[70:71], v[28:29]
	v_mov_b32_e32 v63, s29
	v_mul_f64 v[26:27], v[68:69], v[26:27]
	s_waitcnt lgkmcnt(0)
	v_fma_f64 v[28:29], -v[8:9], v[66:67], v[28:29]
	ds_read2_b64 v[66:69], v63 offset1:1
	s_sub_i32 s29, s12, 48
	v_mov_b32_e32 v63, s29
	v_fma_f64 v[28:29], -v[6:7], v[64:65], v[28:29]
	ds_read2_b64 v[70:73], v63 offset1:1
	s_sub_i32 s12, s12, 64
	s_waitcnt lgkmcnt(1)
	v_fma_f64 v[28:29], -v[10:11], v[68:69], v[28:29]
	v_mov_b32_e32 v63, s12
	s_mul_i32 s12, s30, 0xc8
	v_fma_f64 v[28:29], -v[12:13], v[66:67], v[28:29]
	s_add_i32 s29, s12, 0xfffff768
	ds_read2_b64 v[64:67], v63 offset1:1
	v_mov_b32_e32 v63, s29
	ds_read2_b64 v[74:77], v63 offset1:1
	s_add_i32 s28, s28, s31
	s_waitcnt lgkmcnt(2)
	v_fma_f64 v[28:29], -v[14:15], v[72:73], v[28:29]
	s_lshl_b32 s28, s28, 3
	v_fma_f64 v[28:29], -v[18:19], v[70:71], v[28:29]
	s_add_i32 s29, s28, -8
	s_waitcnt lgkmcnt(1)
	v_fma_f64 v[28:29], -v[20:21], v[66:67], v[28:29]
	v_mov_b32_e32 v63, s29
	v_fma_f64 v[28:29], -v[22:23], v[64:65], v[28:29]
	ds_read2_b64 v[64:67], v63 offset1:1
	s_waitcnt lgkmcnt(1)
	v_fma_f64 v[28:29], -v[26:27], v[76:77], v[28:29]
	v_mul_f64 v[28:29], v[74:75], v[28:29]
	s_sub_i32 s29, s28, 24
	ds_write_b64 v82, v[26:27] offset:4608
	ds_write_b64 v62, v[28:29] offset:4608
	v_mov_b32_e32 v62, s29
	ds_read2_b64 v[68:71], v62 offset1:1
	s_sub_i32 s29, s28, 40
	s_waitcnt lgkmcnt(3)
	v_fma_f64 v[32:33], -v[4:5], v[66:67], v[32:33]
	v_mov_b32_e32 v62, s29
	v_fma_f64 v[32:33], -v[8:9], v[64:65], v[32:33]
	ds_read2_b64 v[62:65], v62 offset1:1
	s_sub_i32 s29, s28, 56
	s_waitcnt lgkmcnt(1)
	v_fma_f64 v[32:33], -v[6:7], v[70:71], v[32:33]
	v_mov_b32_e32 v66, s29
	ds_read2_b64 v[72:75], v66 offset1:1
	v_fma_f64 v[32:33], -v[10:11], v[68:69], v[32:33]
	s_waitcnt lgkmcnt(1)
	v_fma_f64 v[32:33], -v[12:13], v[64:65], v[32:33]
	s_addk_i32 s28, 0xffb8
	v_fma_f64 v[32:33], -v[14:15], v[62:63], v[32:33]
	v_mov_b32_e32 v62, s28
	ds_read2_b64 v[62:65], v62 offset1:1
	s_add_i32 s28, s12, 0xfffff6a0
	s_waitcnt lgkmcnt(1)
	v_fma_f64 v[32:33], -v[18:19], v[74:75], v[32:33]
	v_mov_b32_e32 v66, s28
	ds_read2_b64 v[66:69], v66 offset1:1
	s_add_i32 s27, s27, s31
	v_fma_f64 v[32:33], -v[20:21], v[72:73], v[32:33]
	s_lshl_b32 s27, s27, 3
	s_waitcnt lgkmcnt(1)
	v_fma_f64 v[32:33], -v[22:23], v[64:65], v[32:33]
	s_add_i32 s28, s27, -16
	v_fma_f64 v[32:33], -v[26:27], v[62:63], v[32:33]
	v_mov_b32_e32 v62, s27
	v_mov_b32_e32 v63, s28
	ds_read_b64 v[70:71], v62
	ds_read2_b64 v[62:65], v63 offset1:1
	s_waitcnt lgkmcnt(2)
	v_fma_f64 v[32:33], -v[28:29], v[68:69], v[32:33]
	v_mul_f64 v[32:33], v[66:67], v[32:33]
	s_sub_i32 s28, s27, 32
	ds_write_b64 v61, v[32:33] offset:4608
	s_waitcnt lgkmcnt(2)
	v_fma_f64 v[34:35], -v[4:5], v[70:71], v[34:35]
	v_mov_b32_e32 v61, s28
	s_waitcnt lgkmcnt(1)
	v_fma_f64 v[34:35], -v[8:9], v[64:65], v[34:35]
	ds_read2_b64 v[64:67], v61 offset1:1
	s_sub_i32 s28, s27, 48
	v_mov_b32_e32 v61, s28
	v_fma_f64 v[34:35], -v[6:7], v[62:63], v[34:35]
	ds_read2_b64 v[68:71], v61 offset1:1
	s_sub_i32 s28, s27, 64
	s_waitcnt lgkmcnt(1)
	v_fma_f64 v[34:35], -v[10:11], v[66:67], v[34:35]
	v_mov_b32_e32 v61, s28
	v_fma_f64 v[34:35], -v[12:13], v[64:65], v[34:35]
	ds_read2_b64 v[62:65], v61 offset1:1
	s_addk_i32 s27, 0xffb0
	v_mov_b32_e32 v61, s27
	s_waitcnt lgkmcnt(1)
	v_fma_f64 v[34:35], -v[14:15], v[70:71], v[34:35]
	ds_read2_b64 v[72:75], v61 offset1:1
	v_fma_f64 v[34:35], -v[18:19], v[68:69], v[34:35]
	s_add_i32 s27, s12, 0xfffff5d8
	s_waitcnt lgkmcnt(1)
	v_fma_f64 v[34:35], -v[20:21], v[64:65], v[34:35]
	v_mov_b32_e32 v61, s27
	v_fma_f64 v[34:35], -v[22:23], v[62:63], v[34:35]
	ds_read2_b64 v[62:65], v61 offset1:1
	s_add_i32 s26, s26, s31
	s_waitcnt lgkmcnt(1)
	v_fma_f64 v[34:35], -v[26:27], v[74:75], v[34:35]
	s_lshl_b32 s26, s26, 3
	v_fma_f64 v[34:35], -v[28:29], v[72:73], v[34:35]
	s_add_i32 s27, s26, -8
	v_mov_b32_e32 v61, s27
	s_waitcnt lgkmcnt(0)
	v_fma_f64 v[34:35], -v[32:33], v[64:65], v[34:35]
	ds_read2_b64 v[66:69], v61 offset1:1
	v_mul_f64 v[34:35], v[62:63], v[34:35]
	s_sub_i32 s27, s26, 24
	ds_write_b64 v60, v[34:35] offset:4608
	v_mov_b32_e32 v60, s27
	ds_read2_b64 v[60:63], v60 offset1:1
	s_sub_i32 s27, s26, 40
	s_waitcnt lgkmcnt(2)
	v_fma_f64 v[38:39], -v[4:5], v[68:69], v[38:39]
	v_mov_b32_e32 v64, s27
	ds_read2_b64 v[70:73], v64 offset1:1
	v_fma_f64 v[38:39], -v[8:9], v[66:67], v[38:39]
	s_waitcnt lgkmcnt(1)
	v_fma_f64 v[38:39], -v[6:7], v[62:63], v[38:39]
	s_sub_i32 s27, s26, 56
	v_fma_f64 v[38:39], -v[10:11], v[60:61], v[38:39]
	v_mov_b32_e32 v60, s27
	ds_read2_b64 v[60:63], v60 offset1:1
	s_waitcnt lgkmcnt(1)
	v_fma_f64 v[38:39], -v[12:13], v[72:73], v[38:39]
	s_add_i32 s27, s26, 0xffffffb8
	v_fma_f64 v[38:39], -v[14:15], v[70:71], v[38:39]
	v_mov_b32_e32 v64, s27
	ds_read2_b64 v[64:67], v64 offset1:1
	s_waitcnt lgkmcnt(1)
	v_fma_f64 v[38:39], -v[18:19], v[62:63], v[38:39]
	s_addk_i32 s26, 0xffa8
	v_fma_f64 v[38:39], -v[20:21], v[60:61], v[38:39]
	v_mov_b32_e32 v60, s26
	s_add_i32 s26, s12, 0xfffff510
	ds_read2_b64 v[60:63], v60 offset1:1
	v_mov_b32_e32 v68, s26
	ds_read2_b64 v[68:71], v68 offset1:1
	s_waitcnt lgkmcnt(2)
	v_fma_f64 v[38:39], -v[22:23], v[66:67], v[38:39]
	v_fma_f64 v[38:39], -v[26:27], v[64:65], v[38:39]
	s_add_i32 s25, s25, s31
	s_waitcnt lgkmcnt(1)
	v_fma_f64 v[38:39], -v[28:29], v[62:63], v[38:39]
	s_lshl_b32 s25, s25, 3
	v_fma_f64 v[38:39], -v[32:33], v[60:61], v[38:39]
	v_mov_b32_e32 v60, s25
	s_waitcnt lgkmcnt(0)
	v_fma_f64 v[38:39], -v[34:35], v[70:71], v[38:39]
	ds_read_b64 v[64:65], v60
	v_mul_f64 v[38:39], v[68:69], v[38:39]
	s_add_i32 s26, s25, -16
	ds_write_b64 v59, v[38:39] offset:4608
	v_mov_b32_e32 v59, s26
	ds_read2_b64 v[60:63], v59 offset1:1
	s_sub_i32 s26, s25, 32
	v_mov_b32_e32 v59, s26
	s_waitcnt lgkmcnt(2)
	v_fma_f64 v[42:43], -v[4:5], v[64:65], v[42:43]
	s_sub_i32 s26, s25, 48
	ds_read2_b64 v[64:67], v59 offset1:1
	v_mov_b32_e32 v59, s26
	ds_read2_b64 v[68:71], v59 offset1:1
	s_sub_i32 s26, s25, 64
	s_waitcnt lgkmcnt(2)
	v_fma_f64 v[42:43], -v[8:9], v[62:63], v[42:43]
	v_mov_b32_e32 v59, s26
	v_fma_f64 v[42:43], -v[6:7], v[60:61], v[42:43]
	ds_read2_b64 v[60:63], v59 offset1:1
	s_waitcnt lgkmcnt(2)
	v_fma_f64 v[42:43], -v[10:11], v[66:67], v[42:43]
	v_fma_f64 v[42:43], -v[12:13], v[64:65], v[42:43]
	s_add_i32 s26, s25, 0xffffffb0
	s_waitcnt lgkmcnt(1)
	v_fma_f64 v[42:43], -v[14:15], v[70:71], v[42:43]
	v_mov_b32_e32 v59, s26
	v_fma_f64 v[42:43], -v[18:19], v[68:69], v[42:43]
	ds_read2_b64 v[64:67], v59 offset1:1
	s_addk_i32 s25, 0xffa0
	s_waitcnt lgkmcnt(1)
	v_fma_f64 v[42:43], -v[20:21], v[62:63], v[42:43]
	v_mov_b32_e32 v59, s25
	v_fma_f64 v[42:43], -v[22:23], v[60:61], v[42:43]
	s_add_i32 s25, s12, 0xfffff448
	ds_read2_b64 v[60:63], v59 offset1:1
	v_mov_b32_e32 v59, s25
	ds_read2_b64 v[68:71], v59 offset1:1
	s_add_i32 s21, s21, s31
	s_waitcnt lgkmcnt(2)
	v_fma_f64 v[42:43], -v[26:27], v[66:67], v[42:43]
	s_lshl_b32 s21, s21, 3
	v_fma_f64 v[42:43], -v[28:29], v[64:65], v[42:43]
	s_add_i32 s25, s21, -8
	s_waitcnt lgkmcnt(1)
	v_fma_f64 v[42:43], -v[32:33], v[62:63], v[42:43]
	v_mov_b32_e32 v59, s25
	v_fma_f64 v[42:43], -v[34:35], v[60:61], v[42:43]
	ds_read2_b64 v[60:63], v59 offset1:1
	s_waitcnt lgkmcnt(1)
	v_fma_f64 v[42:43], -v[38:39], v[70:71], v[42:43]
	v_mul_f64 v[42:43], v[68:69], v[42:43]
	s_sub_i32 s25, s21, 24
	ds_write_b64 v58, v[42:43] offset:4608
	v_mov_b32_e32 v58, s25
	ds_read2_b64 v[64:67], v58 offset1:1
	s_sub_i32 s25, s21, 40
	s_waitcnt lgkmcnt(2)
	v_fma_f64 v[46:47], -v[4:5], v[62:63], v[46:47]
	v_mov_b32_e32 v58, s25
	v_fma_f64 v[46:47], -v[8:9], v[60:61], v[46:47]
	ds_read2_b64 v[58:61], v58 offset1:1
	s_sub_i32 s25, s21, 56
	s_waitcnt lgkmcnt(1)
	v_fma_f64 v[46:47], -v[6:7], v[66:67], v[46:47]
	v_mov_b32_e32 v62, s25
	ds_read2_b64 v[68:71], v62 offset1:1
	v_fma_f64 v[46:47], -v[10:11], v[64:65], v[46:47]
	s_waitcnt lgkmcnt(1)
	v_fma_f64 v[46:47], -v[12:13], v[60:61], v[46:47]
	s_add_i32 s25, s21, 0xffffffb8
	v_fma_f64 v[46:47], -v[14:15], v[58:59], v[46:47]
	v_mov_b32_e32 v58, s25
	ds_read2_b64 v[58:61], v58 offset1:1
	s_waitcnt lgkmcnt(1)
	v_fma_f64 v[46:47], -v[18:19], v[70:71], v[46:47]
	s_add_i32 s25, s21, 0xffffffa8
	v_fma_f64 v[46:47], -v[20:21], v[68:69], v[46:47]
	v_mov_b32_e32 v62, s25
	ds_read2_b64 v[62:65], v62 offset1:1
	s_waitcnt lgkmcnt(1)
	v_fma_f64 v[46:47], -v[22:23], v[60:61], v[46:47]
	s_addk_i32 s21, 0xff98
	v_fma_f64 v[46:47], -v[26:27], v[58:59], v[46:47]
	v_mov_b32_e32 v58, s21
	s_add_i32 s21, s12, 0xfffff380
	ds_read2_b64 v[58:61], v58 offset1:1
	v_mov_b32_e32 v66, s21
	ds_read2_b64 v[66:69], v66 offset1:1
	s_waitcnt lgkmcnt(2)
	v_fma_f64 v[46:47], -v[28:29], v[64:65], v[46:47]
	v_fma_f64 v[46:47], -v[32:33], v[62:63], v[46:47]
	s_add_i32 s20, s20, s31
	s_waitcnt lgkmcnt(1)
	v_fma_f64 v[46:47], -v[34:35], v[60:61], v[46:47]
	s_lshl_b32 s20, s20, 3
	v_fma_f64 v[46:47], -v[38:39], v[58:59], v[46:47]
	v_mov_b32_e32 v58, s20
	s_waitcnt lgkmcnt(0)
	v_fma_f64 v[46:47], -v[42:43], v[68:69], v[46:47]
	ds_read_b64 v[62:63], v58
	v_mul_f64 v[46:47], v[66:67], v[46:47]
	s_add_i32 s21, s20, -16
	ds_write_b64 v57, v[46:47] offset:4608
	v_mov_b32_e32 v57, s21
	ds_read2_b64 v[58:61], v57 offset1:1
	s_sub_i32 s21, s20, 32
	v_mov_b32_e32 v57, s21
	s_waitcnt lgkmcnt(2)
	v_fma_f64 v[48:49], -v[4:5], v[62:63], v[48:49]
	s_sub_i32 s21, s20, 48
	ds_read2_b64 v[62:65], v57 offset1:1
	v_mov_b32_e32 v57, s21
	ds_read2_b64 v[66:69], v57 offset1:1
	s_sub_i32 s21, s20, 64
	s_waitcnt lgkmcnt(2)
	v_fma_f64 v[48:49], -v[8:9], v[60:61], v[48:49]
	v_mov_b32_e32 v57, s21
	v_fma_f64 v[48:49], -v[6:7], v[58:59], v[48:49]
	ds_read2_b64 v[58:61], v57 offset1:1
	s_waitcnt lgkmcnt(2)
	v_fma_f64 v[48:49], -v[10:11], v[64:65], v[48:49]
	v_fma_f64 v[48:49], -v[12:13], v[62:63], v[48:49]
	s_add_i32 s21, s20, 0xffffffb0
	s_waitcnt lgkmcnt(1)
	v_fma_f64 v[48:49], -v[14:15], v[68:69], v[48:49]
	v_mov_b32_e32 v57, s21
	v_fma_f64 v[48:49], -v[18:19], v[66:67], v[48:49]
	ds_read2_b64 v[62:65], v57 offset1:1
	s_add_i32 s21, s20, 0xffffffa0
	s_waitcnt lgkmcnt(1)
	v_fma_f64 v[48:49], -v[20:21], v[60:61], v[48:49]
	v_mov_b32_e32 v57, s21
	v_fma_f64 v[48:49], -v[22:23], v[58:59], v[48:49]
	ds_read2_b64 v[58:61], v57 offset1:1
	s_addk_i32 s20, 0xff90
	v_mov_b32_e32 v57, s20
	s_waitcnt lgkmcnt(1)
	v_fma_f64 v[48:49], -v[26:27], v[64:65], v[48:49]
	ds_read2_b64 v[66:69], v57 offset1:1
	v_fma_f64 v[48:49], -v[28:29], v[62:63], v[48:49]
	s_add_i32 s20, s12, 0xfffff2b8
	s_waitcnt lgkmcnt(1)
	v_fma_f64 v[48:49], -v[32:33], v[60:61], v[48:49]
	v_mov_b32_e32 v57, s20
	v_fma_f64 v[48:49], -v[34:35], v[58:59], v[48:49]
	ds_read2_b64 v[58:61], v57 offset1:1
	s_add_i32 s19, s19, s31
	s_waitcnt lgkmcnt(1)
	v_fma_f64 v[48:49], -v[38:39], v[68:69], v[48:49]
	s_lshl_b32 s19, s19, 3
	v_fma_f64 v[48:49], -v[42:43], v[66:67], v[48:49]
	s_add_i32 s20, s19, -8
	v_mov_b32_e32 v57, s20
	s_waitcnt lgkmcnt(0)
	v_fma_f64 v[48:49], -v[46:47], v[60:61], v[48:49]
	ds_read2_b64 v[62:65], v57 offset1:1
	v_mul_f64 v[48:49], v[58:59], v[48:49]
	s_sub_i32 s20, s19, 24
	ds_write_b64 v56, v[48:49] offset:4608
	v_mov_b32_e32 v56, s20
	ds_read2_b64 v[56:59], v56 offset1:1
	s_sub_i32 s20, s19, 40
	s_waitcnt lgkmcnt(2)
	v_fma_f64 v[44:45], -v[4:5], v[64:65], v[44:45]
	v_mov_b32_e32 v60, s20
	ds_read2_b64 v[66:69], v60 offset1:1
	v_fma_f64 v[44:45], -v[8:9], v[62:63], v[44:45]
	s_waitcnt lgkmcnt(1)
	v_fma_f64 v[44:45], -v[6:7], v[58:59], v[44:45]
	s_sub_i32 s20, s19, 56
	v_fma_f64 v[44:45], -v[10:11], v[56:57], v[44:45]
	v_mov_b32_e32 v56, s20
	ds_read2_b64 v[56:59], v56 offset1:1
	s_waitcnt lgkmcnt(1)
	v_fma_f64 v[44:45], -v[12:13], v[68:69], v[44:45]
	s_add_i32 s20, s19, 0xffffffb8
	v_fma_f64 v[44:45], -v[14:15], v[66:67], v[44:45]
	v_mov_b32_e32 v60, s20
	ds_read2_b64 v[60:63], v60 offset1:1
	s_waitcnt lgkmcnt(1)
	v_fma_f64 v[44:45], -v[18:19], v[58:59], v[44:45]
	s_add_i32 s20, s19, 0xffffffa8
	v_fma_f64 v[44:45], -v[20:21], v[56:57], v[44:45]
	v_mov_b32_e32 v56, s20
	ds_read2_b64 v[56:59], v56 offset1:1
	s_add_i32 s20, s19, 0xffffff98
	s_waitcnt lgkmcnt(1)
	v_fma_f64 v[44:45], -v[22:23], v[62:63], v[44:45]
	v_mov_b32_e32 v64, s20
	ds_read2_b64 v[64:67], v64 offset1:1
	v_fma_f64 v[44:45], -v[26:27], v[60:61], v[44:45]
	s_waitcnt lgkmcnt(1)
	v_fma_f64 v[44:45], -v[28:29], v[58:59], v[44:45]
	s_addk_i32 s19, 0xff88
	v_fma_f64 v[44:45], -v[32:33], v[56:57], v[44:45]
	v_mov_b32_e32 v56, s19
	ds_read2_b64 v[56:59], v56 offset1:1
	s_add_i32 s19, s12, 0xfffff1f0
	s_waitcnt lgkmcnt(1)
	v_fma_f64 v[44:45], -v[34:35], v[66:67], v[44:45]
	v_mov_b32_e32 v60, s19
	ds_read2_b64 v[60:63], v60 offset1:1
	s_add_i32 s18, s18, s31
	v_fma_f64 v[44:45], -v[38:39], v[64:65], v[44:45]
	s_lshl_b32 s18, s18, 3
	s_waitcnt lgkmcnt(1)
	v_fma_f64 v[44:45], -v[42:43], v[58:59], v[44:45]
	s_add_i32 s19, s18, -16
	v_fma_f64 v[44:45], -v[46:47], v[56:57], v[44:45]
	v_mov_b32_e32 v56, s18
	v_mov_b32_e32 v57, s19
	ds_read_b64 v[64:65], v56
	ds_read2_b64 v[56:59], v57 offset1:1
	s_waitcnt lgkmcnt(2)
	v_fma_f64 v[44:45], -v[48:49], v[62:63], v[44:45]
	v_mul_f64 v[44:45], v[60:61], v[44:45]
	s_sub_i32 s19, s18, 32
	ds_write_b64 v55, v[44:45] offset:4608
	s_waitcnt lgkmcnt(2)
	v_fma_f64 v[40:41], -v[4:5], v[64:65], v[40:41]
	v_mov_b32_e32 v55, s19
	s_waitcnt lgkmcnt(1)
	v_fma_f64 v[40:41], -v[8:9], v[58:59], v[40:41]
	ds_read2_b64 v[58:61], v55 offset1:1
	s_sub_i32 s19, s18, 48
	v_mov_b32_e32 v55, s19
	v_fma_f64 v[40:41], -v[6:7], v[56:57], v[40:41]
	ds_read2_b64 v[62:65], v55 offset1:1
	s_sub_i32 s19, s18, 64
	s_waitcnt lgkmcnt(1)
	v_fma_f64 v[40:41], -v[10:11], v[60:61], v[40:41]
	v_mov_b32_e32 v55, s19
	v_fma_f64 v[40:41], -v[12:13], v[58:59], v[40:41]
	ds_read2_b64 v[56:59], v55 offset1:1
	s_add_i32 s19, s18, 0xffffffb0
	v_mov_b32_e32 v55, s19
	s_waitcnt lgkmcnt(1)
	v_fma_f64 v[40:41], -v[14:15], v[64:65], v[40:41]
	ds_read2_b64 v[66:69], v55 offset1:1
	v_fma_f64 v[40:41], -v[18:19], v[62:63], v[40:41]
	s_add_i32 s19, s18, 0xffffffa0
	s_waitcnt lgkmcnt(1)
	v_fma_f64 v[40:41], -v[20:21], v[58:59], v[40:41]
	v_mov_b32_e32 v55, s19
	v_fma_f64 v[40:41], -v[22:23], v[56:57], v[40:41]
	ds_read2_b64 v[56:59], v55 offset1:1
	s_add_i32 s19, s18, 0xffffff90
	s_waitcnt lgkmcnt(1)
	v_fma_f64 v[40:41], -v[26:27], v[68:69], v[40:41]
	v_mov_b32_e32 v55, s19
	v_fma_f64 v[40:41], -v[28:29], v[66:67], v[40:41]
	ds_read2_b64 v[60:63], v55 offset1:1
	s_addk_i32 s18, 0xff80
	s_waitcnt lgkmcnt(1)
	v_fma_f64 v[40:41], -v[32:33], v[58:59], v[40:41]
	v_mov_b32_e32 v55, s18
	v_fma_f64 v[40:41], -v[34:35], v[56:57], v[40:41]
	s_add_i32 s18, s12, 0xfffff128
	ds_read2_b64 v[56:59], v55 offset1:1
	v_mov_b32_e32 v55, s18
	ds_read2_b64 v[64:67], v55 offset1:1
	s_add_i32 s17, s17, s31
	s_waitcnt lgkmcnt(2)
	v_fma_f64 v[40:41], -v[38:39], v[62:63], v[40:41]
	s_lshl_b32 s17, s17, 3
	v_fma_f64 v[40:41], -v[42:43], v[60:61], v[40:41]
	s_add_i32 s18, s17, -8
	s_waitcnt lgkmcnt(1)
	v_fma_f64 v[40:41], -v[46:47], v[58:59], v[40:41]
	v_mov_b32_e32 v55, s18
	v_fma_f64 v[40:41], -v[48:49], v[56:57], v[40:41]
	ds_read2_b64 v[56:59], v55 offset1:1
	s_waitcnt lgkmcnt(1)
	v_fma_f64 v[40:41], -v[44:45], v[66:67], v[40:41]
	v_mul_f64 v[40:41], v[64:65], v[40:41]
	s_sub_i32 s18, s17, 24
	ds_write_b64 v54, v[40:41] offset:4608
	v_mov_b32_e32 v54, s18
	ds_read2_b64 v[60:63], v54 offset1:1
	s_sub_i32 s18, s17, 40
	s_waitcnt lgkmcnt(2)
	v_fma_f64 v[36:37], -v[4:5], v[58:59], v[36:37]
	v_mov_b32_e32 v54, s18
	v_fma_f64 v[36:37], -v[8:9], v[56:57], v[36:37]
	ds_read2_b64 v[54:57], v54 offset1:1
	s_sub_i32 s18, s17, 56
	s_waitcnt lgkmcnt(1)
	v_fma_f64 v[36:37], -v[6:7], v[62:63], v[36:37]
	v_mov_b32_e32 v58, s18
	ds_read2_b64 v[64:67], v58 offset1:1
	v_fma_f64 v[36:37], -v[10:11], v[60:61], v[36:37]
	s_waitcnt lgkmcnt(1)
	v_fma_f64 v[36:37], -v[12:13], v[56:57], v[36:37]
	s_add_i32 s18, s17, 0xffffffb8
	v_fma_f64 v[36:37], -v[14:15], v[54:55], v[36:37]
	v_mov_b32_e32 v54, s18
	ds_read2_b64 v[54:57], v54 offset1:1
	s_waitcnt lgkmcnt(1)
	v_fma_f64 v[36:37], -v[18:19], v[66:67], v[36:37]
	s_add_i32 s18, s17, 0xffffffa8
	v_fma_f64 v[36:37], -v[20:21], v[64:65], v[36:37]
	v_mov_b32_e32 v58, s18
	ds_read2_b64 v[58:61], v58 offset1:1
	;; [unrolled: 6-line block ×3, first 2 shown]
	s_add_i32 s18, s17, 0xffffff88
	s_waitcnt lgkmcnt(1)
	v_fma_f64 v[36:37], -v[28:29], v[60:61], v[36:37]
	v_mov_b32_e32 v62, s18
	ds_read2_b64 v[62:65], v62 offset1:1
	v_fma_f64 v[36:37], -v[32:33], v[58:59], v[36:37]
	s_waitcnt lgkmcnt(1)
	v_fma_f64 v[36:37], -v[34:35], v[56:57], v[36:37]
	s_addk_i32 s17, 0xff78
	v_fma_f64 v[36:37], -v[38:39], v[54:55], v[36:37]
	v_mov_b32_e32 v54, s17
	ds_read2_b64 v[54:57], v54 offset1:1
	s_add_i32 s17, s12, 0xfffff060
	s_waitcnt lgkmcnt(1)
	v_fma_f64 v[36:37], -v[42:43], v[64:65], v[36:37]
	v_mov_b32_e32 v58, s17
	ds_read2_b64 v[58:61], v58 offset1:1
	s_add_i32 s16, s16, s31
	v_fma_f64 v[36:37], -v[46:47], v[62:63], v[36:37]
	s_lshl_b32 s16, s16, 3
	s_waitcnt lgkmcnt(1)
	v_fma_f64 v[36:37], -v[48:49], v[56:57], v[36:37]
	s_add_i32 s17, s16, -16
	v_fma_f64 v[36:37], -v[44:45], v[54:55], v[36:37]
	v_mov_b32_e32 v54, s16
	v_mov_b32_e32 v55, s17
	ds_read_b64 v[62:63], v54
	ds_read2_b64 v[54:57], v55 offset1:1
	s_waitcnt lgkmcnt(2)
	v_fma_f64 v[36:37], -v[40:41], v[60:61], v[36:37]
	v_mul_f64 v[36:37], v[58:59], v[36:37]
	s_sub_i32 s17, s16, 32
	ds_write_b64 v53, v[36:37] offset:4608
	s_waitcnt lgkmcnt(2)
	v_fma_f64 v[30:31], -v[4:5], v[62:63], v[30:31]
	v_mov_b32_e32 v53, s17
	s_waitcnt lgkmcnt(1)
	v_fma_f64 v[30:31], -v[8:9], v[56:57], v[30:31]
	ds_read2_b64 v[56:59], v53 offset1:1
	s_sub_i32 s17, s16, 48
	v_mov_b32_e32 v53, s17
	v_fma_f64 v[30:31], -v[6:7], v[54:55], v[30:31]
	ds_read2_b64 v[60:63], v53 offset1:1
	s_sub_i32 s17, s16, 64
	s_waitcnt lgkmcnt(1)
	v_fma_f64 v[30:31], -v[10:11], v[58:59], v[30:31]
	v_mov_b32_e32 v53, s17
	v_fma_f64 v[30:31], -v[12:13], v[56:57], v[30:31]
	ds_read2_b64 v[54:57], v53 offset1:1
	s_add_i32 s17, s16, 0xffffffb0
	v_mov_b32_e32 v53, s17
	s_waitcnt lgkmcnt(1)
	v_fma_f64 v[30:31], -v[14:15], v[62:63], v[30:31]
	ds_read2_b64 v[64:67], v53 offset1:1
	v_fma_f64 v[30:31], -v[18:19], v[60:61], v[30:31]
	s_add_i32 s17, s16, 0xffffffa0
	s_waitcnt lgkmcnt(1)
	v_fma_f64 v[30:31], -v[20:21], v[56:57], v[30:31]
	v_mov_b32_e32 v53, s17
	v_fma_f64 v[30:31], -v[22:23], v[54:55], v[30:31]
	ds_read2_b64 v[54:57], v53 offset1:1
	s_add_i32 s17, s16, 0xffffff90
	s_waitcnt lgkmcnt(1)
	v_fma_f64 v[30:31], -v[26:27], v[66:67], v[30:31]
	v_mov_b32_e32 v53, s17
	v_fma_f64 v[30:31], -v[28:29], v[64:65], v[30:31]
	ds_read2_b64 v[58:61], v53 offset1:1
	;; [unrolled: 6-line block ×3, first 2 shown]
	s_addk_i32 s16, 0xff70
	v_mov_b32_e32 v53, s16
	s_waitcnt lgkmcnt(1)
	v_fma_f64 v[30:31], -v[38:39], v[60:61], v[30:31]
	ds_read2_b64 v[62:65], v53 offset1:1
	v_fma_f64 v[30:31], -v[42:43], v[58:59], v[30:31]
	s_add_i32 s16, s12, 0xffffef98
	s_waitcnt lgkmcnt(1)
	v_fma_f64 v[30:31], -v[46:47], v[56:57], v[30:31]
	v_mov_b32_e32 v53, s16
	v_fma_f64 v[30:31], -v[48:49], v[54:55], v[30:31]
	ds_read2_b64 v[54:57], v53 offset1:1
	s_add_i32 s13, s13, s31
	s_waitcnt lgkmcnt(1)
	v_fma_f64 v[30:31], -v[44:45], v[64:65], v[30:31]
	s_lshl_b32 s13, s13, 3
	v_fma_f64 v[30:31], -v[40:41], v[62:63], v[30:31]
	s_add_i32 s16, s13, -8
	v_mov_b32_e32 v53, s16
	s_waitcnt lgkmcnt(0)
	v_fma_f64 v[30:31], -v[36:37], v[56:57], v[30:31]
	ds_read2_b64 v[58:61], v53 offset1:1
	v_mul_f64 v[30:31], v[54:55], v[30:31]
	s_sub_i32 s16, s13, 24
	ds_write_b64 v52, v[30:31] offset:4608
	v_mov_b32_e32 v52, s16
	ds_read2_b64 v[52:55], v52 offset1:1
	s_sub_i32 s16, s13, 40
	s_waitcnt lgkmcnt(2)
	v_fma_f64 v[24:25], -v[4:5], v[60:61], v[24:25]
	v_mov_b32_e32 v56, s16
	ds_read2_b64 v[62:65], v56 offset1:1
	v_fma_f64 v[24:25], -v[8:9], v[58:59], v[24:25]
	s_waitcnt lgkmcnt(1)
	v_fma_f64 v[24:25], -v[6:7], v[54:55], v[24:25]
	s_sub_i32 s16, s13, 56
	v_fma_f64 v[24:25], -v[10:11], v[52:53], v[24:25]
	v_mov_b32_e32 v52, s16
	ds_read2_b64 v[52:55], v52 offset1:1
	s_waitcnt lgkmcnt(1)
	v_fma_f64 v[24:25], -v[12:13], v[64:65], v[24:25]
	s_add_i32 s16, s13, 0xffffffb8
	v_fma_f64 v[24:25], -v[14:15], v[62:63], v[24:25]
	v_mov_b32_e32 v56, s16
	ds_read2_b64 v[56:59], v56 offset1:1
	s_waitcnt lgkmcnt(1)
	v_fma_f64 v[24:25], -v[18:19], v[54:55], v[24:25]
	s_add_i32 s16, s13, 0xffffffa8
	v_fma_f64 v[24:25], -v[20:21], v[52:53], v[24:25]
	v_mov_b32_e32 v52, s16
	ds_read2_b64 v[52:55], v52 offset1:1
	s_add_i32 s16, s13, 0xffffff98
	s_waitcnt lgkmcnt(1)
	v_fma_f64 v[24:25], -v[22:23], v[58:59], v[24:25]
	v_mov_b32_e32 v60, s16
	ds_read2_b64 v[60:63], v60 offset1:1
	v_fma_f64 v[24:25], -v[26:27], v[56:57], v[24:25]
	s_waitcnt lgkmcnt(1)
	v_fma_f64 v[24:25], -v[28:29], v[54:55], v[24:25]
	s_add_i32 s16, s13, 0xffffff88
	v_fma_f64 v[24:25], -v[32:33], v[52:53], v[24:25]
	v_mov_b32_e32 v52, s16
	ds_read2_b64 v[52:55], v52 offset1:1
	s_waitcnt lgkmcnt(1)
	v_fma_f64 v[24:25], -v[34:35], v[62:63], v[24:25]
	s_add_i32 s16, s13, 0xffffff78
	v_fma_f64 v[24:25], -v[38:39], v[60:61], v[24:25]
	v_mov_b32_e32 v56, s16
	ds_read2_b64 v[56:59], v56 offset1:1
	s_waitcnt lgkmcnt(1)
	v_fma_f64 v[24:25], -v[42:43], v[54:55], v[24:25]
	s_addk_i32 s13, 0xff68
	v_fma_f64 v[24:25], -v[46:47], v[52:53], v[24:25]
	v_mov_b32_e32 v52, s13
	s_add_i32 s13, s12, 0xffffeed0
	ds_read2_b64 v[52:55], v52 offset1:1
	v_mov_b32_e32 v60, s13
	ds_read2_b64 v[60:63], v60 offset1:1
	s_waitcnt lgkmcnt(2)
	v_fma_f64 v[24:25], -v[48:49], v[58:59], v[24:25]
	v_fma_f64 v[24:25], -v[44:45], v[56:57], v[24:25]
	s_add_i32 s9, s9, s31
	s_waitcnt lgkmcnt(1)
	v_fma_f64 v[24:25], -v[40:41], v[54:55], v[24:25]
	s_lshl_b32 s9, s9, 3
	v_fma_f64 v[24:25], -v[36:37], v[52:53], v[24:25]
	v_mov_b32_e32 v52, s9
	s_waitcnt lgkmcnt(0)
	v_fma_f64 v[24:25], -v[30:31], v[62:63], v[24:25]
	ds_read_b64 v[56:57], v52
	v_mul_f64 v[24:25], v[60:61], v[24:25]
	s_add_i32 s13, s9, -16
	ds_write_b64 v51, v[24:25] offset:4608
	v_mov_b32_e32 v51, s13
	ds_read2_b64 v[52:55], v51 offset1:1
	s_sub_i32 s13, s9, 32
	v_mov_b32_e32 v51, s13
	s_waitcnt lgkmcnt(2)
	v_fma_f64 v[16:17], -v[4:5], v[56:57], v[16:17]
	s_sub_i32 s13, s9, 48
	ds_read2_b64 v[56:59], v51 offset1:1
	v_mov_b32_e32 v51, s13
	ds_read2_b64 v[60:63], v51 offset1:1
	s_sub_i32 s13, s9, 64
	s_waitcnt lgkmcnt(2)
	v_fma_f64 v[16:17], -v[8:9], v[54:55], v[16:17]
	v_mov_b32_e32 v51, s13
	v_fma_f64 v[16:17], -v[6:7], v[52:53], v[16:17]
	ds_read2_b64 v[52:55], v51 offset1:1
	s_waitcnt lgkmcnt(2)
	v_fma_f64 v[16:17], -v[10:11], v[58:59], v[16:17]
	v_fma_f64 v[16:17], -v[12:13], v[56:57], v[16:17]
	s_add_i32 s13, s9, 0xffffffb0
	s_waitcnt lgkmcnt(1)
	v_fma_f64 v[16:17], -v[14:15], v[62:63], v[16:17]
	v_mov_b32_e32 v51, s13
	v_fma_f64 v[16:17], -v[18:19], v[60:61], v[16:17]
	ds_read2_b64 v[56:59], v51 offset1:1
	s_add_i32 s13, s9, 0xffffffa0
	s_waitcnt lgkmcnt(1)
	v_fma_f64 v[16:17], -v[20:21], v[54:55], v[16:17]
	v_mov_b32_e32 v51, s13
	v_fma_f64 v[16:17], -v[22:23], v[52:53], v[16:17]
	ds_read2_b64 v[52:55], v51 offset1:1
	s_add_i32 s13, s9, 0xffffff90
	v_mov_b32_e32 v51, s13
	s_waitcnt lgkmcnt(1)
	v_fma_f64 v[16:17], -v[26:27], v[58:59], v[16:17]
	ds_read2_b64 v[60:63], v51 offset1:1
	v_fma_f64 v[16:17], -v[28:29], v[56:57], v[16:17]
	s_add_i32 s13, s9, 0xffffff80
	s_waitcnt lgkmcnt(1)
	v_fma_f64 v[16:17], -v[32:33], v[54:55], v[16:17]
	v_mov_b32_e32 v51, s13
	v_fma_f64 v[16:17], -v[34:35], v[52:53], v[16:17]
	ds_read2_b64 v[52:55], v51 offset1:1
	s_add_i32 s13, s9, 0xffffff70
	s_waitcnt lgkmcnt(1)
	v_fma_f64 v[16:17], -v[38:39], v[62:63], v[16:17]
	v_mov_b32_e32 v51, s13
	v_fma_f64 v[16:17], -v[42:43], v[60:61], v[16:17]
	ds_read2_b64 v[56:59], v51 offset1:1
	s_addk_i32 s9, 0xff60
	s_waitcnt lgkmcnt(1)
	v_fma_f64 v[16:17], -v[46:47], v[54:55], v[16:17]
	v_mov_b32_e32 v51, s9
	v_fma_f64 v[16:17], -v[48:49], v[52:53], v[16:17]
	ds_read2_b64 v[52:55], v51 offset1:1
	s_add_i32 s9, s12, 0xffffee08
	v_mov_b32_e32 v51, s9
	s_add_i32 s8, s8, s31
	ds_read2_b64 v[60:63], v51 offset1:1
	s_waitcnt lgkmcnt(2)
	v_fma_f64 v[16:17], -v[44:45], v[58:59], v[16:17]
	s_lshl_b32 s8, s8, 3
	v_fma_f64 v[16:17], -v[40:41], v[56:57], v[16:17]
	s_add_i32 s9, s8, -8
	s_waitcnt lgkmcnt(1)
	v_fma_f64 v[16:17], -v[36:37], v[54:55], v[16:17]
	v_mov_b32_e32 v51, s9
	v_fma_f64 v[16:17], -v[30:31], v[52:53], v[16:17]
	ds_read2_b64 v[52:55], v51 offset1:1
	s_waitcnt lgkmcnt(1)
	v_fma_f64 v[16:17], -v[24:25], v[62:63], v[16:17]
	v_mul_f64 v[16:17], v[60:61], v[16:17]
	s_sub_i32 s9, s8, 24
	ds_write_b64 v50, v[16:17] offset:4608
	v_mov_b32_e32 v50, s9
	ds_read2_b64 v[56:59], v50 offset1:1
	s_waitcnt lgkmcnt(2)
	v_fma_f64 v[2:3], -v[4:5], v[54:55], v[2:3]
	s_sub_i32 s9, s8, 40
	v_fma_f64 v[8:9], -v[8:9], v[52:53], v[2:3]
	v_mov_b32_e32 v2, s9
	ds_read2_b64 v[2:5], v2 offset1:1
	s_sub_i32 s9, s8, 56
	v_mov_b32_e32 v50, s9
	ds_read2_b64 v[50:53], v50 offset1:1
	s_waitcnt lgkmcnt(2)
	v_fma_f64 v[6:7], -v[6:7], v[58:59], v[8:9]
	v_fma_f64 v[6:7], -v[10:11], v[56:57], v[6:7]
	s_waitcnt lgkmcnt(1)
	v_fma_f64 v[4:5], -v[12:13], v[4:5], v[6:7]
	v_fma_f64 v[2:3], -v[14:15], v[2:3], v[4:5]
	s_add_i32 s9, s8, 0xffffffb8
	s_waitcnt lgkmcnt(0)
	v_fma_f64 v[6:7], -v[18:19], v[52:53], v[2:3]
	v_mov_b32_e32 v2, s9
	ds_read2_b64 v[2:5], v2 offset1:1
	s_add_i32 s9, s8, 0xffffffa8
	v_fma_f64 v[10:11], -v[20:21], v[50:51], v[6:7]
	v_mov_b32_e32 v6, s9
	ds_read2_b64 v[6:9], v6 offset1:1
	s_waitcnt lgkmcnt(1)
	v_fma_f64 v[4:5], -v[22:23], v[4:5], v[10:11]
	s_add_i32 s9, s8, 0xffffff98
	v_fma_f64 v[14:15], -v[26:27], v[2:3], v[4:5]
	v_mov_b32_e32 v2, s9
	s_add_i32 s9, s8, 0xffffff88
	ds_read2_b64 v[2:5], v2 offset1:1
	v_mov_b32_e32 v10, s9
	ds_read2_b64 v[10:13], v10 offset1:1
	s_waitcnt lgkmcnt(2)
	v_fma_f64 v[8:9], -v[28:29], v[8:9], v[14:15]
	v_fma_f64 v[6:7], -v[32:33], v[6:7], v[8:9]
	s_waitcnt lgkmcnt(1)
	v_fma_f64 v[4:5], -v[34:35], v[4:5], v[6:7]
	v_fma_f64 v[2:3], -v[38:39], v[2:3], v[4:5]
	s_add_i32 s9, s8, 0xffffff78
	s_waitcnt lgkmcnt(0)
	v_fma_f64 v[6:7], -v[42:43], v[12:13], v[2:3]
	v_mov_b32_e32 v2, s9
	ds_read2_b64 v[2:5], v2 offset1:1
	s_add_i32 s9, s8, 0xffffff68
	v_fma_f64 v[10:11], -v[46:47], v[10:11], v[6:7]
	v_mov_b32_e32 v6, s9
	ds_read2_b64 v[6:9], v6 offset1:1
	s_waitcnt lgkmcnt(1)
	v_fma_f64 v[4:5], -v[48:49], v[4:5], v[10:11]
	s_addk_i32 s8, 0xff58
	v_fma_f64 v[14:15], -v[44:45], v[2:3], v[4:5]
	v_mov_b32_e32 v2, s8
	s_add_i32 s8, s12, 0xffffed40
	ds_read2_b64 v[2:5], v2 offset1:1
	v_mov_b32_e32 v10, s8
	ds_read2_b64 v[10:13], v10 offset1:1
	s_waitcnt lgkmcnt(2)
	v_fma_f64 v[8:9], -v[40:41], v[8:9], v[14:15]
	v_fma_f64 v[6:7], -v[36:37], v[6:7], v[8:9]
	s_waitcnt lgkmcnt(1)
	v_fma_f64 v[4:5], -v[30:31], v[4:5], v[6:7]
	v_fma_f64 v[2:3], -v[24:25], v[2:3], v[4:5]
	s_waitcnt lgkmcnt(0)
	v_fma_f64 v[2:3], -v[16:17], v[12:13], v[2:3]
	v_mul_f64 v[2:3], v[10:11], v[2:3]
	s_sub_i32 s8, s30, 25
	ds_write_b64 v1, v[2:3] offset:4608
.LBB94_20:
	s_cmp_gt_i32 s8, -1
	s_cbranch_scc0 .LBB94_39
; %bb.21:
	s_cmp_lt_u32 s8, 19
	s_cbranch_scc1 .LBB94_26
; %bb.22:
	s_mul_i32 s9, s8, 24
	s_sub_i32 s12, s9, 48
	v_add_lshl_u32 v1, s12, v0, 3
	s_add_i32 s12, s9, 0xffffffb8
	v_add_lshl_u32 v50, s9, v0, 3
	s_sub_i32 s26, s9, 24
	v_add_lshl_u32 v2, s12, v0, 3
	s_add_i32 s12, s9, 0xffffffa0
	v_add_lshl_u32 v51, s26, v0, 3
	ds_read_b64 v[6:7], v50 offset:4608
	ds_read_b64 v[8:9], v51 offset:4608
	ds_read_b64 v[10:11], v1 offset:4608
	ds_read_b64 v[14:15], v2 offset:4608
	v_add_lshl_u32 v1, s12, v0, 3
	s_add_i32 s12, s9, 0xffffff88
	v_add_lshl_u32 v2, s12, v0, 3
	s_add_i32 s12, s9, 0xffffff70
	v_add_lshl_u32 v3, s12, v0, 3
	s_add_i32 s12, s9, 0xffffff58
	v_add_lshl_u32 v4, s12, v0, 3
	s_add_i32 s12, s9, 0xffffff40
	ds_read_b64 v[16:17], v1 offset:4608
	ds_read_b64 v[18:19], v2 offset:4608
	;; [unrolled: 1-line block ×4, first 2 shown]
	v_add_lshl_u32 v1, s12, v0, 3
	s_add_i32 s12, s9, 0xffffff28
	v_add_lshl_u32 v2, s12, v0, 3
	s_add_i32 s12, s9, 0xffffff10
	s_add_i32 s21, s9, 0xfffffee0
	;; [unrolled: 1-line block ×3, first 2 shown]
	v_add_lshl_u32 v3, s12, v0, 3
	s_add_i32 s25, s9, 0xfffffef8
	v_add_lshl_u32 v48, s21, v0, 3
	s_add_i32 s20, s9, 0xfffffec8
	s_add_i32 s19, s9, 0xfffffeb0
	;; [unrolled: 1-line block ×3, first 2 shown]
	v_add_lshl_u32 v44, s17, v0, 3
	s_add_i32 s16, s9, 0xfffffe68
	s_add_i32 s13, s9, 0xfffffe50
	s_addk_i32 s9, 0xfe38
	v_add_lshl_u32 v49, s25, v0, 3
	ds_read_b64 v[28:29], v1 offset:4608
	ds_read_b64 v[30:31], v2 offset:4608
	;; [unrolled: 1-line block ×4, first 2 shown]
	v_add_lshl_u32 v47, s20, v0, 3
	v_add_lshl_u32 v46, s19, v0, 3
	;; [unrolled: 1-line block ×3, first 2 shown]
	ds_read_b64 v[40:41], v48 offset:4608
	ds_read_b64 v[36:37], v47 offset:4608
	ds_read_b64 v[32:33], v46 offset:4608
	ds_read_b64 v[26:27], v45 offset:4608
	v_add_lshl_u32 v43, s16, v0, 3
	v_add_lshl_u32 v42, s13, v0, 3
	;; [unrolled: 1-line block ×3, first 2 shown]
	ds_read_b64 v[22:23], v44 offset:4608
	ds_read_b64 v[12:13], v43 offset:4608
	;; [unrolled: 1-line block ×4, first 2 shown]
	s_cmp_le_i32 s31, s8
	s_cbranch_scc1 .LBB94_25
; %bb.23:
	s_mul_i32 s12, s8, 0xc0
	s_lshl_b32 s27, s30, 3
	s_add_i32 s12, s12, s27
	s_mul_i32 s27, s30, 0xc0
	v_lshl_add_u32 v52, v0, 3, s27
	s_addk_i32 s12, 0xf1b8
	v_add_u32_e32 v52, 0x1140, v52
	s_mov_b32 s27, s31
.LBB94_24:                              ; =>This Inner Loop Header: Depth=1
	v_mov_b32_e32 v53, s12
	v_add_u32_e32 v86, 0x800, v53
	v_add_u32_e32 v90, 0x400, v53
	ds_read_b64 v[94:95], v52
	ds_read2_b64 v[54:57], v53 offset0:192 offset1:216
	ds_read2_b64 v[58:61], v53 offset0:144 offset1:168
	;; [unrolled: 1-line block ×4, first 2 shown]
	ds_read2_b64 v[70:73], v53 offset1:24
	ds_read2_b64 v[74:77], v86 offset0:176 offset1:200
	ds_read2_b64 v[78:81], v86 offset0:128 offset1:152
	;; [unrolled: 1-line block ×5, first 2 shown]
	s_add_i32 s27, s27, -1
	s_add_i32 s12, s12, -8
	v_add_u32_e32 v52, 0xffffff40, v52
	s_cmp_gt_i32 s27, s8
	s_waitcnt lgkmcnt(9)
	v_fma_f64 v[34:35], -v[94:95], v[56:57], v[34:35]
	v_fma_f64 v[38:39], -v[94:95], v[54:55], v[38:39]
	s_waitcnt lgkmcnt(8)
	v_fma_f64 v[40:41], -v[94:95], v[60:61], v[40:41]
	v_fma_f64 v[36:37], -v[94:95], v[58:59], v[36:37]
	;; [unrolled: 3-line block ×10, first 2 shown]
	s_cbranch_scc1 .LBB94_24
.LBB94_25:
	s_mul_i32 s12, s8, 0xc8
	v_add_u32_e32 v52, 0x1200, v50
	v_add_u32_e32 v50, 0x1200, v51
	v_mov_b32_e32 v51, s12
	ds_read_b64 v[58:59], v51
	s_add_i32 s28, s12, 0xffffff38
	s_sub_i32 s27, s26, 24
	v_mov_b32_e32 v51, s28
	ds_read2_b64 v[54:57], v51 offset1:1
	s_add_i32 s28, s27, s8
	s_lshl_b32 s28, s28, 3
	s_waitcnt lgkmcnt(1)
	v_mul_f64 v[6:7], v[58:59], v[6:7]
	v_mov_b32_e32 v51, s28
	s_add_i32 s28, s12, 0xfffffe70
	ds_write_b64 v52, v[6:7]
	v_mov_b32_e32 v58, s28
	s_sub_i32 s28, s26, 48
	ds_read_b64 v[52:53], v51
	ds_read2_b64 v[58:61], v58 offset1:1
	s_add_i32 s29, s28, s8
	s_waitcnt lgkmcnt(3)
	v_fma_f64 v[8:9], -v[6:7], v[56:57], v[8:9]
	s_lshl_b32 s29, s29, 3
	v_mul_f64 v[8:9], v[54:55], v[8:9]
	s_add_i32 s29, s29, -8
	ds_write_b64 v50, v[8:9]
	v_mov_b32_e32 v50, s29
	s_waitcnt lgkmcnt(2)
	v_fma_f64 v[10:11], -v[6:7], v[52:53], v[10:11]
	ds_read2_b64 v[50:53], v50 offset1:1
	s_add_i32 s29, s12, 0xfffffda8
	s_waitcnt lgkmcnt(2)
	v_fma_f64 v[10:11], -v[8:9], v[60:61], v[10:11]
	v_mov_b32_e32 v54, s29
	ds_read2_b64 v[54:57], v54 offset1:1
	v_mul_f64 v[10:11], v[58:59], v[10:11]
	v_add_lshl_u32 v58, s27, v0, 3
	s_add_i32 s27, s26, 0xffffffb8
	s_add_i32 s29, s27, s8
	s_waitcnt lgkmcnt(1)
	v_fma_f64 v[14:15], -v[6:7], v[52:53], v[14:15]
	s_lshl_b32 s29, s29, 3
	v_fma_f64 v[14:15], -v[8:9], v[50:51], v[14:15]
	v_mov_b32_e32 v50, s29
	s_add_i32 s29, s29, -16
	ds_write_b64 v58, v[10:11] offset:4608
	v_mov_b32_e32 v51, s29
	s_waitcnt lgkmcnt(1)
	v_fma_f64 v[14:15], -v[10:11], v[56:57], v[14:15]
	ds_read_b64 v[56:57], v50
	ds_read2_b64 v[50:53], v51 offset1:1
	v_mul_f64 v[14:15], v[54:55], v[14:15]
	v_add_lshl_u32 v54, s28, v0, 3
	s_add_i32 s28, s12, 0xfffffce0
	s_waitcnt lgkmcnt(1)
	v_fma_f64 v[16:17], -v[6:7], v[56:57], v[16:17]
	s_waitcnt lgkmcnt(0)
	v_fma_f64 v[16:17], -v[8:9], v[52:53], v[16:17]
	v_fma_f64 v[16:17], -v[10:11], v[50:51], v[16:17]
	v_mov_b32_e32 v50, s28
	s_add_i32 s28, s26, 0xffffffa0
	ds_read2_b64 v[50:53], v50 offset1:1
	s_add_i32 s29, s28, s8
	s_lshl_b32 s29, s29, 3
	s_add_i32 s33, s29, -8
	ds_write_b64 v54, v[14:15] offset:4608
	v_mov_b32_e32 v54, s33
	ds_read2_b64 v[54:57], v54 offset1:1
	s_waitcnt lgkmcnt(2)
	v_fma_f64 v[16:17], -v[14:15], v[52:53], v[16:17]
	v_mul_f64 v[16:17], v[50:51], v[16:17]
	v_add_lshl_u32 v50, s27, v0, 3
	s_sub_i32 s27, s29, 24
	ds_write_b64 v50, v[16:17] offset:4608
	v_mov_b32_e32 v50, s27
	s_add_i32 s27, s12, 0xfffffc18
	ds_read2_b64 v[50:53], v50 offset1:1
	v_mov_b32_e32 v58, s27
	ds_read2_b64 v[58:61], v58 offset1:1
	s_waitcnt lgkmcnt(3)
	v_fma_f64 v[18:19], -v[6:7], v[56:57], v[18:19]
	v_fma_f64 v[18:19], -v[8:9], v[54:55], v[18:19]
	s_waitcnt lgkmcnt(1)
	v_fma_f64 v[18:19], -v[10:11], v[52:53], v[18:19]
	s_add_i32 s27, s26, 0xffffff88
	v_fma_f64 v[18:19], -v[14:15], v[50:51], v[18:19]
	v_add_lshl_u32 v50, s28, v0, 3
	s_add_i32 s28, s27, s8
	s_waitcnt lgkmcnt(0)
	v_fma_f64 v[18:19], -v[16:17], v[60:61], v[18:19]
	s_lshl_b32 s28, s28, 3
	v_mul_f64 v[18:19], v[58:59], v[18:19]
	s_add_i32 s29, s28, -8
	ds_write_b64 v50, v[18:19] offset:4608
	v_mov_b32_e32 v50, s29
	s_sub_i32 s29, s28, 24
	v_mov_b32_e32 v54, s29
	ds_read2_b64 v[50:53], v50 offset1:1
	ds_read2_b64 v[54:57], v54 offset1:1
	s_sub_i32 s28, s28, 40
	v_mov_b32_e32 v58, s28
	s_add_i32 s28, s12, 0xfffffb50
	s_waitcnt lgkmcnt(1)
	v_fma_f64 v[20:21], -v[6:7], v[52:53], v[20:21]
	v_fma_f64 v[20:21], -v[8:9], v[50:51], v[20:21]
	v_mov_b32_e32 v50, s28
	s_add_i32 s28, s26, 0xffffff70
	s_add_i32 s29, s28, s8
	s_lshl_b32 s29, s29, 3
	ds_read2_b64 v[58:61], v58 offset1:1
	s_waitcnt lgkmcnt(1)
	v_fma_f64 v[20:21], -v[10:11], v[56:57], v[20:21]
	s_add_i32 s33, s29, -16
	v_fma_f64 v[20:21], -v[14:15], v[54:55], v[20:21]
	ds_read_b64 v[54:55], v50
	v_mov_b32_e32 v50, s29
	v_mov_b32_e32 v51, s33
	ds_read_b64 v[56:57], v50
	ds_read2_b64 v[50:53], v51 offset1:1
	s_waitcnt lgkmcnt(3)
	v_fma_f64 v[20:21], -v[16:17], v[60:61], v[20:21]
	v_fma_f64 v[20:21], -v[18:19], v[58:59], v[20:21]
	s_waitcnt lgkmcnt(2)
	v_mul_f64 v[20:21], v[54:55], v[20:21]
	s_waitcnt lgkmcnt(1)
	v_fma_f64 v[24:25], -v[6:7], v[56:57], v[24:25]
	v_add_lshl_u32 v54, s27, v0, 3
	s_waitcnt lgkmcnt(0)
	v_fma_f64 v[24:25], -v[8:9], v[52:53], v[24:25]
	s_sub_i32 s27, s29, 32
	v_fma_f64 v[24:25], -v[10:11], v[50:51], v[24:25]
	v_mov_b32_e32 v50, s27
	s_sub_i32 s27, s29, 48
	ds_write_b64 v54, v[20:21] offset:4608
	v_mov_b32_e32 v54, s27
	ds_read2_b64 v[50:53], v50 offset1:1
	ds_read2_b64 v[54:57], v54 offset1:1
	s_add_i32 s27, s12, 0xfffffa88
	v_mov_b32_e32 v58, s27
	s_add_i32 s27, s26, 0xffffff58
	s_waitcnt lgkmcnt(1)
	v_fma_f64 v[24:25], -v[14:15], v[52:53], v[24:25]
	v_fma_f64 v[24:25], -v[16:17], v[50:51], v[24:25]
	s_waitcnt lgkmcnt(0)
	v_fma_f64 v[24:25], -v[18:19], v[56:57], v[24:25]
	v_fma_f64 v[24:25], -v[20:21], v[54:55], v[24:25]
	v_add_lshl_u32 v54, s28, v0, 3
	s_add_i32 s28, s27, s8
	s_lshl_b32 s28, s28, 3
	ds_read_b64 v[58:59], v58
	s_add_i32 s29, s28, -8
	v_mov_b32_e32 v50, s29
	ds_read2_b64 v[50:53], v50 offset1:1
	s_sub_i32 s29, s28, 24
	s_waitcnt lgkmcnt(1)
	v_mul_f64 v[24:25], v[58:59], v[24:25]
	ds_write_b64 v54, v[24:25] offset:4608
	v_mov_b32_e32 v54, s29
	ds_read2_b64 v[54:57], v54 offset1:1
	s_waitcnt lgkmcnt(2)
	v_fma_f64 v[28:29], -v[6:7], v[52:53], v[28:29]
	s_sub_i32 s29, s28, 40
	v_fma_f64 v[28:29], -v[8:9], v[50:51], v[28:29]
	v_mov_b32_e32 v50, s29
	ds_read2_b64 v[50:53], v50 offset1:1
	s_sub_i32 s28, s28, 56
	s_waitcnt lgkmcnt(1)
	v_fma_f64 v[28:29], -v[10:11], v[56:57], v[28:29]
	v_mov_b32_e32 v58, s28
	ds_read2_b64 v[58:61], v58 offset1:1
	v_fma_f64 v[28:29], -v[14:15], v[54:55], v[28:29]
	s_waitcnt lgkmcnt(1)
	v_fma_f64 v[28:29], -v[16:17], v[52:53], v[28:29]
	s_add_i32 s28, s12, 0xfffff9c0
	v_fma_f64 v[28:29], -v[18:19], v[50:51], v[28:29]
	v_mov_b32_e32 v50, s28
	s_add_i32 s28, s26, 0xffffff40
	s_add_i32 s29, s28, s8
	s_lshl_b32 s29, s29, 3
	s_add_i32 s33, s29, -16
	ds_read_b64 v[54:55], v50
	v_mov_b32_e32 v50, s29
	v_mov_b32_e32 v51, s33
	ds_read_b64 v[56:57], v50
	ds_read2_b64 v[50:53], v51 offset1:1
	s_waitcnt lgkmcnt(3)
	v_fma_f64 v[28:29], -v[20:21], v[60:61], v[28:29]
	v_fma_f64 v[28:29], -v[24:25], v[58:59], v[28:29]
	s_waitcnt lgkmcnt(2)
	v_mul_f64 v[28:29], v[54:55], v[28:29]
	s_waitcnt lgkmcnt(1)
	v_fma_f64 v[30:31], -v[6:7], v[56:57], v[30:31]
	v_add_lshl_u32 v54, s27, v0, 3
	s_waitcnt lgkmcnt(0)
	v_fma_f64 v[30:31], -v[8:9], v[52:53], v[30:31]
	s_sub_i32 s27, s29, 32
	v_fma_f64 v[30:31], -v[10:11], v[50:51], v[30:31]
	v_mov_b32_e32 v50, s27
	s_sub_i32 s27, s29, 48
	ds_write_b64 v54, v[28:29] offset:4608
	v_mov_b32_e32 v54, s27
	ds_read2_b64 v[50:53], v50 offset1:1
	ds_read2_b64 v[54:57], v54 offset1:1
	s_sub_i32 s27, s29, 64
	v_mov_b32_e32 v58, s27
	s_add_i32 s27, s12, 0xfffff8f8
	s_waitcnt lgkmcnt(1)
	v_fma_f64 v[30:31], -v[14:15], v[52:53], v[30:31]
	s_addk_i32 s26, 0xff28
	v_fma_f64 v[30:31], -v[16:17], v[50:51], v[30:31]
	v_mov_b32_e32 v50, s27
	s_add_i32 s27, s26, s8
	ds_read2_b64 v[58:61], v58 offset1:1
	s_lshl_b32 s27, s27, 3
	s_waitcnt lgkmcnt(1)
	v_fma_f64 v[30:31], -v[18:19], v[56:57], v[30:31]
	s_add_i32 s29, s27, -16
	v_fma_f64 v[30:31], -v[20:21], v[54:55], v[30:31]
	ds_read_b64 v[54:55], v50
	v_mov_b32_e32 v50, s27
	v_mov_b32_e32 v51, s29
	ds_read_b64 v[56:57], v50
	ds_read2_b64 v[50:53], v51 offset1:1
	s_waitcnt lgkmcnt(3)
	v_fma_f64 v[30:31], -v[24:25], v[60:61], v[30:31]
	v_fma_f64 v[30:31], -v[28:29], v[58:59], v[30:31]
	s_waitcnt lgkmcnt(2)
	v_mul_f64 v[30:31], v[54:55], v[30:31]
	v_add_lshl_u32 v54, s28, v0, 3
	s_waitcnt lgkmcnt(1)
	v_fma_f64 v[34:35], -v[6:7], v[56:57], v[34:35]
	s_sub_i32 s28, s27, 32
	s_waitcnt lgkmcnt(0)
	v_fma_f64 v[34:35], -v[8:9], v[52:53], v[34:35]
	v_mov_b32_e32 v52, s28
	ds_write_b64 v54, v[30:31] offset:4608
	ds_read2_b64 v[52:55], v52 offset1:1
	s_sub_i32 s28, s27, 48
	v_fma_f64 v[34:35], -v[10:11], v[50:51], v[34:35]
	v_mov_b32_e32 v50, s28
	ds_read2_b64 v[56:59], v50 offset1:1
	s_sub_i32 s27, s27, 64
	s_waitcnt lgkmcnt(1)
	v_fma_f64 v[34:35], -v[14:15], v[54:55], v[34:35]
	v_mov_b32_e32 v50, s27
	v_fma_f64 v[34:35], -v[16:17], v[52:53], v[34:35]
	ds_read2_b64 v[50:53], v50 offset1:1
	s_add_i32 s27, s12, 0xfffff830
	v_mov_b32_e32 v54, s27
	ds_read2_b64 v[60:63], v54 offset1:1
	s_waitcnt lgkmcnt(2)
	v_fma_f64 v[34:35], -v[18:19], v[58:59], v[34:35]
	s_add_i32 s25, s25, s8
	v_fma_f64 v[34:35], -v[20:21], v[56:57], v[34:35]
	s_lshl_b32 s25, s25, 3
	s_waitcnt lgkmcnt(1)
	v_fma_f64 v[34:35], -v[24:25], v[52:53], v[34:35]
	v_add_lshl_u32 v54, s26, v0, 3
	s_add_i32 s26, s25, -8
	v_fma_f64 v[34:35], -v[28:29], v[50:51], v[34:35]
	v_mov_b32_e32 v50, s26
	ds_read2_b64 v[50:53], v50 offset1:1
	s_waitcnt lgkmcnt(1)
	v_fma_f64 v[34:35], -v[30:31], v[62:63], v[34:35]
	v_mul_f64 v[34:35], v[60:61], v[34:35]
	s_sub_i32 s26, s25, 24
	ds_write_b64 v54, v[34:35] offset:4608
	v_mov_b32_e32 v54, s26
	ds_read2_b64 v[54:57], v54 offset1:1
	s_waitcnt lgkmcnt(2)
	v_fma_f64 v[38:39], -v[6:7], v[52:53], v[38:39]
	s_sub_i32 s26, s25, 40
	v_fma_f64 v[38:39], -v[8:9], v[50:51], v[38:39]
	v_mov_b32_e32 v50, s26
	ds_read2_b64 v[50:53], v50 offset1:1
	s_sub_i32 s26, s25, 56
	s_waitcnt lgkmcnt(1)
	v_fma_f64 v[38:39], -v[10:11], v[56:57], v[38:39]
	v_mov_b32_e32 v58, s26
	ds_read2_b64 v[58:61], v58 offset1:1
	v_fma_f64 v[38:39], -v[14:15], v[54:55], v[38:39]
	s_waitcnt lgkmcnt(1)
	v_fma_f64 v[38:39], -v[16:17], v[52:53], v[38:39]
	s_addk_i32 s25, 0xffb8
	v_fma_f64 v[38:39], -v[18:19], v[50:51], v[38:39]
	v_mov_b32_e32 v50, s25
	ds_read2_b64 v[50:53], v50 offset1:1
	s_add_i32 s25, s12, 0xfffff768
	s_waitcnt lgkmcnt(1)
	v_fma_f64 v[38:39], -v[20:21], v[60:61], v[38:39]
	v_mov_b32_e32 v54, s25
	ds_read2_b64 v[54:57], v54 offset1:1
	s_add_i32 s21, s21, s8
	v_fma_f64 v[38:39], -v[24:25], v[58:59], v[38:39]
	s_lshl_b32 s21, s21, 3
	s_waitcnt lgkmcnt(1)
	v_fma_f64 v[38:39], -v[28:29], v[52:53], v[38:39]
	s_add_i32 s25, s21, -16
	v_fma_f64 v[38:39], -v[30:31], v[50:51], v[38:39]
	v_mov_b32_e32 v50, s21
	v_mov_b32_e32 v51, s25
	ds_read_b64 v[58:59], v50
	ds_read2_b64 v[50:53], v51 offset1:1
	s_waitcnt lgkmcnt(2)
	v_fma_f64 v[38:39], -v[34:35], v[56:57], v[38:39]
	v_mul_f64 v[38:39], v[54:55], v[38:39]
	s_sub_i32 s25, s21, 32
	ds_write_b64 v49, v[38:39] offset:4608
	s_waitcnt lgkmcnt(2)
	v_fma_f64 v[40:41], -v[6:7], v[58:59], v[40:41]
	v_mov_b32_e32 v49, s25
	s_waitcnt lgkmcnt(1)
	v_fma_f64 v[40:41], -v[8:9], v[52:53], v[40:41]
	ds_read2_b64 v[52:55], v49 offset1:1
	s_sub_i32 s25, s21, 48
	v_mov_b32_e32 v49, s25
	v_fma_f64 v[40:41], -v[10:11], v[50:51], v[40:41]
	ds_read2_b64 v[56:59], v49 offset1:1
	s_sub_i32 s25, s21, 64
	s_waitcnt lgkmcnt(1)
	v_fma_f64 v[40:41], -v[14:15], v[54:55], v[40:41]
	v_mov_b32_e32 v49, s25
	v_fma_f64 v[40:41], -v[16:17], v[52:53], v[40:41]
	ds_read2_b64 v[50:53], v49 offset1:1
	s_addk_i32 s21, 0xffb0
	v_mov_b32_e32 v49, s21
	s_waitcnt lgkmcnt(1)
	v_fma_f64 v[40:41], -v[18:19], v[58:59], v[40:41]
	ds_read2_b64 v[60:63], v49 offset1:1
	v_fma_f64 v[40:41], -v[20:21], v[56:57], v[40:41]
	s_add_i32 s21, s12, 0xfffff6a0
	s_waitcnt lgkmcnt(1)
	v_fma_f64 v[40:41], -v[24:25], v[52:53], v[40:41]
	v_mov_b32_e32 v49, s21
	v_fma_f64 v[40:41], -v[28:29], v[50:51], v[40:41]
	ds_read2_b64 v[50:53], v49 offset1:1
	s_add_i32 s20, s20, s8
	s_waitcnt lgkmcnt(1)
	v_fma_f64 v[40:41], -v[30:31], v[62:63], v[40:41]
	s_lshl_b32 s20, s20, 3
	v_fma_f64 v[40:41], -v[34:35], v[60:61], v[40:41]
	s_add_i32 s21, s20, -8
	v_mov_b32_e32 v49, s21
	s_waitcnt lgkmcnt(0)
	v_fma_f64 v[40:41], -v[38:39], v[52:53], v[40:41]
	ds_read2_b64 v[54:57], v49 offset1:1
	v_mul_f64 v[40:41], v[50:51], v[40:41]
	s_sub_i32 s21, s20, 24
	ds_write_b64 v48, v[40:41] offset:4608
	v_mov_b32_e32 v48, s21
	ds_read2_b64 v[48:51], v48 offset1:1
	s_sub_i32 s21, s20, 40
	s_waitcnt lgkmcnt(2)
	v_fma_f64 v[36:37], -v[6:7], v[56:57], v[36:37]
	v_mov_b32_e32 v52, s21
	ds_read2_b64 v[58:61], v52 offset1:1
	v_fma_f64 v[36:37], -v[8:9], v[54:55], v[36:37]
	s_waitcnt lgkmcnt(1)
	v_fma_f64 v[36:37], -v[10:11], v[50:51], v[36:37]
	s_sub_i32 s21, s20, 56
	v_fma_f64 v[36:37], -v[14:15], v[48:49], v[36:37]
	v_mov_b32_e32 v48, s21
	ds_read2_b64 v[48:51], v48 offset1:1
	s_waitcnt lgkmcnt(1)
	v_fma_f64 v[36:37], -v[16:17], v[60:61], v[36:37]
	s_add_i32 s21, s20, 0xffffffb8
	v_fma_f64 v[36:37], -v[18:19], v[58:59], v[36:37]
	v_mov_b32_e32 v52, s21
	ds_read2_b64 v[52:55], v52 offset1:1
	s_waitcnt lgkmcnt(1)
	v_fma_f64 v[36:37], -v[20:21], v[50:51], v[36:37]
	s_addk_i32 s20, 0xffa8
	v_fma_f64 v[36:37], -v[24:25], v[48:49], v[36:37]
	v_mov_b32_e32 v48, s20
	s_add_i32 s20, s12, 0xfffff5d8
	ds_read2_b64 v[48:51], v48 offset1:1
	v_mov_b32_e32 v56, s20
	ds_read2_b64 v[56:59], v56 offset1:1
	s_waitcnt lgkmcnt(2)
	v_fma_f64 v[36:37], -v[28:29], v[54:55], v[36:37]
	v_fma_f64 v[36:37], -v[30:31], v[52:53], v[36:37]
	s_add_i32 s19, s19, s8
	s_waitcnt lgkmcnt(1)
	v_fma_f64 v[36:37], -v[34:35], v[50:51], v[36:37]
	s_lshl_b32 s19, s19, 3
	v_fma_f64 v[36:37], -v[38:39], v[48:49], v[36:37]
	v_mov_b32_e32 v48, s19
	s_waitcnt lgkmcnt(0)
	v_fma_f64 v[36:37], -v[40:41], v[58:59], v[36:37]
	ds_read_b64 v[52:53], v48
	v_mul_f64 v[36:37], v[56:57], v[36:37]
	s_add_i32 s20, s19, -16
	ds_write_b64 v47, v[36:37] offset:4608
	v_mov_b32_e32 v47, s20
	ds_read2_b64 v[48:51], v47 offset1:1
	s_sub_i32 s20, s19, 32
	v_mov_b32_e32 v47, s20
	s_waitcnt lgkmcnt(2)
	v_fma_f64 v[32:33], -v[6:7], v[52:53], v[32:33]
	s_sub_i32 s20, s19, 48
	ds_read2_b64 v[52:55], v47 offset1:1
	v_mov_b32_e32 v47, s20
	ds_read2_b64 v[56:59], v47 offset1:1
	s_sub_i32 s20, s19, 64
	s_waitcnt lgkmcnt(2)
	v_fma_f64 v[32:33], -v[8:9], v[50:51], v[32:33]
	v_mov_b32_e32 v47, s20
	v_fma_f64 v[32:33], -v[10:11], v[48:49], v[32:33]
	ds_read2_b64 v[48:51], v47 offset1:1
	s_waitcnt lgkmcnt(2)
	v_fma_f64 v[32:33], -v[14:15], v[54:55], v[32:33]
	v_fma_f64 v[32:33], -v[16:17], v[52:53], v[32:33]
	s_add_i32 s20, s19, 0xffffffb0
	s_waitcnt lgkmcnt(1)
	v_fma_f64 v[32:33], -v[18:19], v[58:59], v[32:33]
	v_mov_b32_e32 v47, s20
	v_fma_f64 v[32:33], -v[20:21], v[56:57], v[32:33]
	ds_read2_b64 v[52:55], v47 offset1:1
	s_addk_i32 s19, 0xffa0
	s_waitcnt lgkmcnt(1)
	v_fma_f64 v[32:33], -v[24:25], v[50:51], v[32:33]
	v_mov_b32_e32 v47, s19
	v_fma_f64 v[32:33], -v[28:29], v[48:49], v[32:33]
	s_add_i32 s19, s12, 0xfffff510
	ds_read2_b64 v[48:51], v47 offset1:1
	v_mov_b32_e32 v47, s19
	ds_read2_b64 v[56:59], v47 offset1:1
	s_add_i32 s18, s18, s8
	s_waitcnt lgkmcnt(2)
	v_fma_f64 v[32:33], -v[30:31], v[54:55], v[32:33]
	s_lshl_b32 s18, s18, 3
	v_fma_f64 v[32:33], -v[34:35], v[52:53], v[32:33]
	s_add_i32 s19, s18, -8
	s_waitcnt lgkmcnt(1)
	v_fma_f64 v[32:33], -v[38:39], v[50:51], v[32:33]
	v_mov_b32_e32 v47, s19
	v_fma_f64 v[32:33], -v[40:41], v[48:49], v[32:33]
	ds_read2_b64 v[48:51], v47 offset1:1
	s_waitcnt lgkmcnt(1)
	v_fma_f64 v[32:33], -v[36:37], v[58:59], v[32:33]
	v_mul_f64 v[32:33], v[56:57], v[32:33]
	s_sub_i32 s19, s18, 24
	ds_write_b64 v46, v[32:33] offset:4608
	v_mov_b32_e32 v46, s19
	ds_read2_b64 v[52:55], v46 offset1:1
	s_sub_i32 s19, s18, 40
	s_waitcnt lgkmcnt(2)
	v_fma_f64 v[26:27], -v[6:7], v[50:51], v[26:27]
	v_mov_b32_e32 v46, s19
	v_fma_f64 v[26:27], -v[8:9], v[48:49], v[26:27]
	ds_read2_b64 v[46:49], v46 offset1:1
	s_sub_i32 s19, s18, 56
	s_waitcnt lgkmcnt(1)
	v_fma_f64 v[26:27], -v[10:11], v[54:55], v[26:27]
	v_mov_b32_e32 v50, s19
	ds_read2_b64 v[56:59], v50 offset1:1
	v_fma_f64 v[26:27], -v[14:15], v[52:53], v[26:27]
	s_waitcnt lgkmcnt(1)
	v_fma_f64 v[26:27], -v[16:17], v[48:49], v[26:27]
	s_add_i32 s19, s18, 0xffffffb8
	v_fma_f64 v[26:27], -v[18:19], v[46:47], v[26:27]
	v_mov_b32_e32 v46, s19
	ds_read2_b64 v[46:49], v46 offset1:1
	s_waitcnt lgkmcnt(1)
	v_fma_f64 v[26:27], -v[20:21], v[58:59], v[26:27]
	s_add_i32 s19, s18, 0xffffffa8
	v_fma_f64 v[26:27], -v[24:25], v[56:57], v[26:27]
	v_mov_b32_e32 v50, s19
	ds_read2_b64 v[50:53], v50 offset1:1
	s_waitcnt lgkmcnt(1)
	v_fma_f64 v[26:27], -v[28:29], v[48:49], v[26:27]
	s_addk_i32 s18, 0xff98
	v_fma_f64 v[26:27], -v[30:31], v[46:47], v[26:27]
	v_mov_b32_e32 v46, s18
	s_add_i32 s18, s12, 0xfffff448
	ds_read2_b64 v[46:49], v46 offset1:1
	v_mov_b32_e32 v54, s18
	ds_read2_b64 v[54:57], v54 offset1:1
	s_waitcnt lgkmcnt(2)
	v_fma_f64 v[26:27], -v[34:35], v[52:53], v[26:27]
	v_fma_f64 v[26:27], -v[38:39], v[50:51], v[26:27]
	s_add_i32 s17, s17, s8
	s_waitcnt lgkmcnt(1)
	v_fma_f64 v[26:27], -v[40:41], v[48:49], v[26:27]
	s_lshl_b32 s17, s17, 3
	v_fma_f64 v[26:27], -v[36:37], v[46:47], v[26:27]
	v_mov_b32_e32 v46, s17
	s_waitcnt lgkmcnt(0)
	v_fma_f64 v[26:27], -v[32:33], v[56:57], v[26:27]
	ds_read_b64 v[50:51], v46
	v_mul_f64 v[26:27], v[54:55], v[26:27]
	s_add_i32 s18, s17, -16
	ds_write_b64 v45, v[26:27] offset:4608
	v_mov_b32_e32 v45, s18
	ds_read2_b64 v[46:49], v45 offset1:1
	s_sub_i32 s18, s17, 32
	v_mov_b32_e32 v45, s18
	s_waitcnt lgkmcnt(2)
	v_fma_f64 v[22:23], -v[6:7], v[50:51], v[22:23]
	s_sub_i32 s18, s17, 48
	ds_read2_b64 v[50:53], v45 offset1:1
	v_mov_b32_e32 v45, s18
	ds_read2_b64 v[54:57], v45 offset1:1
	s_sub_i32 s18, s17, 64
	s_waitcnt lgkmcnt(2)
	v_fma_f64 v[22:23], -v[8:9], v[48:49], v[22:23]
	v_mov_b32_e32 v45, s18
	v_fma_f64 v[22:23], -v[10:11], v[46:47], v[22:23]
	ds_read2_b64 v[46:49], v45 offset1:1
	s_waitcnt lgkmcnt(2)
	v_fma_f64 v[22:23], -v[14:15], v[52:53], v[22:23]
	v_fma_f64 v[22:23], -v[16:17], v[50:51], v[22:23]
	s_add_i32 s18, s17, 0xffffffb0
	s_waitcnt lgkmcnt(1)
	v_fma_f64 v[22:23], -v[18:19], v[56:57], v[22:23]
	v_mov_b32_e32 v45, s18
	v_fma_f64 v[22:23], -v[20:21], v[54:55], v[22:23]
	ds_read2_b64 v[50:53], v45 offset1:1
	s_add_i32 s18, s17, 0xffffffa0
	s_waitcnt lgkmcnt(1)
	v_fma_f64 v[22:23], -v[24:25], v[48:49], v[22:23]
	v_mov_b32_e32 v45, s18
	v_fma_f64 v[22:23], -v[28:29], v[46:47], v[22:23]
	ds_read2_b64 v[46:49], v45 offset1:1
	s_addk_i32 s17, 0xff90
	v_mov_b32_e32 v45, s17
	s_waitcnt lgkmcnt(1)
	v_fma_f64 v[22:23], -v[30:31], v[52:53], v[22:23]
	ds_read2_b64 v[54:57], v45 offset1:1
	v_fma_f64 v[22:23], -v[34:35], v[50:51], v[22:23]
	s_add_i32 s17, s12, 0xfffff380
	s_waitcnt lgkmcnt(1)
	v_fma_f64 v[22:23], -v[38:39], v[48:49], v[22:23]
	v_mov_b32_e32 v45, s17
	v_fma_f64 v[22:23], -v[40:41], v[46:47], v[22:23]
	ds_read2_b64 v[46:49], v45 offset1:1
	s_add_i32 s16, s16, s8
	s_waitcnt lgkmcnt(1)
	v_fma_f64 v[22:23], -v[36:37], v[56:57], v[22:23]
	s_lshl_b32 s16, s16, 3
	v_fma_f64 v[22:23], -v[32:33], v[54:55], v[22:23]
	s_add_i32 s17, s16, -8
	v_mov_b32_e32 v45, s17
	s_waitcnt lgkmcnt(0)
	v_fma_f64 v[22:23], -v[26:27], v[48:49], v[22:23]
	ds_read2_b64 v[50:53], v45 offset1:1
	v_mul_f64 v[22:23], v[46:47], v[22:23]
	s_sub_i32 s17, s16, 24
	ds_write_b64 v44, v[22:23] offset:4608
	v_mov_b32_e32 v44, s17
	ds_read2_b64 v[44:47], v44 offset1:1
	s_sub_i32 s17, s16, 40
	s_waitcnt lgkmcnt(2)
	v_fma_f64 v[12:13], -v[6:7], v[52:53], v[12:13]
	v_mov_b32_e32 v48, s17
	ds_read2_b64 v[54:57], v48 offset1:1
	v_fma_f64 v[12:13], -v[8:9], v[50:51], v[12:13]
	s_waitcnt lgkmcnt(1)
	v_fma_f64 v[12:13], -v[10:11], v[46:47], v[12:13]
	s_sub_i32 s17, s16, 56
	v_fma_f64 v[12:13], -v[14:15], v[44:45], v[12:13]
	v_mov_b32_e32 v44, s17
	ds_read2_b64 v[44:47], v44 offset1:1
	s_waitcnt lgkmcnt(1)
	v_fma_f64 v[12:13], -v[16:17], v[56:57], v[12:13]
	s_add_i32 s17, s16, 0xffffffb8
	v_fma_f64 v[12:13], -v[18:19], v[54:55], v[12:13]
	v_mov_b32_e32 v48, s17
	ds_read2_b64 v[48:51], v48 offset1:1
	s_waitcnt lgkmcnt(1)
	v_fma_f64 v[12:13], -v[20:21], v[46:47], v[12:13]
	s_add_i32 s17, s16, 0xffffffa8
	v_fma_f64 v[12:13], -v[24:25], v[44:45], v[12:13]
	v_mov_b32_e32 v44, s17
	ds_read2_b64 v[44:47], v44 offset1:1
	s_add_i32 s17, s16, 0xffffff98
	s_waitcnt lgkmcnt(1)
	v_fma_f64 v[12:13], -v[28:29], v[50:51], v[12:13]
	v_mov_b32_e32 v52, s17
	ds_read2_b64 v[52:55], v52 offset1:1
	v_fma_f64 v[12:13], -v[30:31], v[48:49], v[12:13]
	s_waitcnt lgkmcnt(1)
	v_fma_f64 v[12:13], -v[34:35], v[46:47], v[12:13]
	s_addk_i32 s16, 0xff88
	v_fma_f64 v[12:13], -v[38:39], v[44:45], v[12:13]
	v_mov_b32_e32 v44, s16
	ds_read2_b64 v[44:47], v44 offset1:1
	s_add_i32 s16, s12, 0xfffff2b8
	s_waitcnt lgkmcnt(1)
	v_fma_f64 v[12:13], -v[40:41], v[54:55], v[12:13]
	v_mov_b32_e32 v48, s16
	ds_read2_b64 v[48:51], v48 offset1:1
	s_add_i32 s13, s13, s8
	v_fma_f64 v[12:13], -v[36:37], v[52:53], v[12:13]
	s_lshl_b32 s13, s13, 3
	s_waitcnt lgkmcnt(1)
	v_fma_f64 v[12:13], -v[32:33], v[46:47], v[12:13]
	s_add_i32 s16, s13, -16
	v_fma_f64 v[12:13], -v[26:27], v[44:45], v[12:13]
	v_mov_b32_e32 v44, s13
	v_mov_b32_e32 v45, s16
	ds_read_b64 v[52:53], v44
	ds_read2_b64 v[44:47], v45 offset1:1
	s_waitcnt lgkmcnt(2)
	v_fma_f64 v[12:13], -v[22:23], v[50:51], v[12:13]
	v_mul_f64 v[12:13], v[48:49], v[12:13]
	s_sub_i32 s16, s13, 32
	ds_write_b64 v43, v[12:13] offset:4608
	s_waitcnt lgkmcnt(2)
	v_fma_f64 v[4:5], -v[6:7], v[52:53], v[4:5]
	v_mov_b32_e32 v43, s16
	s_waitcnt lgkmcnt(1)
	v_fma_f64 v[4:5], -v[8:9], v[46:47], v[4:5]
	ds_read2_b64 v[46:49], v43 offset1:1
	s_sub_i32 s16, s13, 48
	v_mov_b32_e32 v43, s16
	v_fma_f64 v[4:5], -v[10:11], v[44:45], v[4:5]
	ds_read2_b64 v[50:53], v43 offset1:1
	s_sub_i32 s16, s13, 64
	s_waitcnt lgkmcnt(1)
	v_fma_f64 v[4:5], -v[14:15], v[48:49], v[4:5]
	v_mov_b32_e32 v43, s16
	v_fma_f64 v[4:5], -v[16:17], v[46:47], v[4:5]
	ds_read2_b64 v[44:47], v43 offset1:1
	s_add_i32 s16, s13, 0xffffffb0
	v_mov_b32_e32 v43, s16
	s_waitcnt lgkmcnt(1)
	v_fma_f64 v[4:5], -v[18:19], v[52:53], v[4:5]
	ds_read2_b64 v[54:57], v43 offset1:1
	v_fma_f64 v[4:5], -v[20:21], v[50:51], v[4:5]
	s_add_i32 s16, s13, 0xffffffa0
	s_waitcnt lgkmcnt(1)
	v_fma_f64 v[4:5], -v[24:25], v[46:47], v[4:5]
	v_mov_b32_e32 v43, s16
	v_fma_f64 v[4:5], -v[28:29], v[44:45], v[4:5]
	ds_read2_b64 v[44:47], v43 offset1:1
	s_add_i32 s16, s13, 0xffffff90
	s_waitcnt lgkmcnt(1)
	v_fma_f64 v[4:5], -v[30:31], v[56:57], v[4:5]
	v_mov_b32_e32 v43, s16
	v_fma_f64 v[4:5], -v[34:35], v[54:55], v[4:5]
	ds_read2_b64 v[48:51], v43 offset1:1
	s_addk_i32 s13, 0xff80
	s_waitcnt lgkmcnt(1)
	v_fma_f64 v[4:5], -v[38:39], v[46:47], v[4:5]
	v_mov_b32_e32 v43, s13
	v_fma_f64 v[4:5], -v[40:41], v[44:45], v[4:5]
	ds_read2_b64 v[44:47], v43 offset1:1
	s_add_i32 s9, s9, s8
	s_add_i32 s13, s12, 0xfffff1f0
	s_waitcnt lgkmcnt(1)
	v_fma_f64 v[4:5], -v[36:37], v[50:51], v[4:5]
	s_lshl_b32 s9, s9, 3
	v_mov_b32_e32 v43, s13
	v_fma_f64 v[4:5], -v[32:33], v[48:49], v[4:5]
	s_add_i32 s13, s9, -8
	ds_read2_b64 v[52:55], v43 offset1:1
	s_waitcnt lgkmcnt(1)
	v_fma_f64 v[4:5], -v[26:27], v[46:47], v[4:5]
	v_mov_b32_e32 v43, s13
	v_fma_f64 v[4:5], -v[22:23], v[44:45], v[4:5]
	s_sub_i32 s13, s9, 24
	ds_read2_b64 v[44:47], v43 offset1:1
	v_mov_b32_e32 v43, s13
	ds_read2_b64 v[48:51], v43 offset1:1
	s_sub_i32 s13, s9, 40
	s_waitcnt lgkmcnt(2)
	v_fma_f64 v[4:5], -v[12:13], v[54:55], v[4:5]
	s_waitcnt lgkmcnt(1)
	v_fma_f64 v[2:3], -v[6:7], v[46:47], v[2:3]
	v_fma_f64 v[2:3], -v[8:9], v[44:45], v[2:3]
	s_waitcnt lgkmcnt(0)
	v_fma_f64 v[6:7], -v[10:11], v[50:51], v[2:3]
	v_mov_b32_e32 v2, s13
	v_mul_f64 v[52:53], v[52:53], v[4:5]
	ds_read2_b64 v[2:5], v2 offset1:1
	s_sub_i32 s13, s9, 56
	v_fma_f64 v[10:11], -v[14:15], v[48:49], v[6:7]
	v_mov_b32_e32 v6, s13
	ds_read2_b64 v[6:9], v6 offset1:1
	s_waitcnt lgkmcnt(1)
	v_fma_f64 v[4:5], -v[16:17], v[4:5], v[10:11]
	s_add_i32 s13, s9, 0xffffffb8
	v_fma_f64 v[10:11], -v[18:19], v[2:3], v[4:5]
	v_mov_b32_e32 v2, s13
	s_add_i32 s13, s9, 0xffffffa8
	ds_read2_b64 v[2:5], v2 offset1:1
	v_mov_b32_e32 v14, s13
	ds_read2_b64 v[14:17], v14 offset1:1
	s_waitcnt lgkmcnt(2)
	v_fma_f64 v[8:9], -v[20:21], v[8:9], v[10:11]
	v_fma_f64 v[6:7], -v[24:25], v[6:7], v[8:9]
	s_waitcnt lgkmcnt(1)
	v_fma_f64 v[4:5], -v[28:29], v[4:5], v[6:7]
	v_fma_f64 v[2:3], -v[30:31], v[2:3], v[4:5]
	s_add_i32 s13, s9, 0xffffff98
	s_waitcnt lgkmcnt(0)
	v_fma_f64 v[6:7], -v[34:35], v[16:17], v[2:3]
	v_mov_b32_e32 v2, s13
	ds_read2_b64 v[2:5], v2 offset1:1
	s_add_i32 s13, s9, 0xffffff88
	v_fma_f64 v[10:11], -v[38:39], v[14:15], v[6:7]
	v_mov_b32_e32 v6, s13
	ds_read2_b64 v[6:9], v6 offset1:1
	s_waitcnt lgkmcnt(1)
	v_fma_f64 v[4:5], -v[40:41], v[4:5], v[10:11]
	s_addk_i32 s9, 0xff78
	v_fma_f64 v[10:11], -v[36:37], v[2:3], v[4:5]
	v_mov_b32_e32 v2, s9
	s_add_i32 s9, s12, 0xfffff128
	ds_read2_b64 v[2:5], v2 offset1:1
	v_mov_b32_e32 v14, s9
	ds_read2_b64 v[14:17], v14 offset1:1
	s_waitcnt lgkmcnt(2)
	v_fma_f64 v[8:9], -v[32:33], v[8:9], v[10:11]
	v_fma_f64 v[6:7], -v[26:27], v[6:7], v[8:9]
	s_waitcnt lgkmcnt(1)
	v_fma_f64 v[4:5], -v[22:23], v[4:5], v[6:7]
	v_fma_f64 v[2:3], -v[12:13], v[2:3], v[4:5]
	s_waitcnt lgkmcnt(0)
	v_fma_f64 v[2:3], -v[52:53], v[16:17], v[2:3]
	v_mul_f64 v[2:3], v[14:15], v[2:3]
	s_sub_i32 s8, s8, 20
	ds_write_b64 v42, v[52:53] offset:4608
	ds_write_b64 v1, v[2:3] offset:4608
.LBB94_26:
	s_cmp_lt_i32 s8, 0
	s_cbranch_scc1 .LBB94_39
; %bb.27:
	s_bitcmp1_b32 s8, 0
	s_cselect_b64 s[12:13], -1, 0
	s_and_b64 vcc, exec, s[12:13]
	s_mov_b32 s9, s8
	s_cbranch_vccnz .LBB94_32
; %bb.28:
	s_mul_i32 s9, s8, 24
	v_add_lshl_u32 v1, s9, v0, 3
	ds_read_b64 v[2:3], v1 offset:4608
	s_cmp_le_i32 s31, s8
	s_cbranch_scc1 .LBB94_31
; %bb.29:
	s_mul_i32 s9, s8, 0xc0
	s_lshl_b32 s12, s30, 3
	s_add_i32 s9, s9, s12
	s_mul_i32 s12, s30, 0xc0
	v_lshl_add_u32 v4, v0, 3, s12
	s_add_i32 s9, s9, -8
	v_add_u32_e32 v4, 0x1140, v4
	s_mov_b32 s12, s31
.LBB94_30:                              ; =>This Inner Loop Header: Depth=1
	v_mov_b32_e32 v5, s9
	ds_read_b64 v[6:7], v4
	ds_read_b64 v[8:9], v5
	s_add_i32 s12, s12, -1
	s_add_i32 s9, s9, -8
	v_add_u32_e32 v4, 0xffffff40, v4
	s_cmp_gt_i32 s12, s8
	s_waitcnt lgkmcnt(0)
	v_fma_f64 v[2:3], -v[6:7], v[8:9], v[2:3]
	s_cbranch_scc1 .LBB94_30
.LBB94_31:
	s_mul_i32 s9, s8, 0xc8
	v_mov_b32_e32 v4, s9
	ds_read_b64 v[4:5], v4
	v_add_u32_e32 v1, 0x1200, v1
	s_add_i32 s9, s8, -1
	s_waitcnt lgkmcnt(0)
	v_mul_f64 v[2:3], v[4:5], v[2:3]
	ds_write_b64 v1, v[2:3]
.LBB94_32:
	s_cmp_eq_u32 s8, 0
	s_cbranch_scc1 .LBB94_39
; %bb.33:
	s_mul_i32 s8, s9, 0xc0
	s_lshl_b32 s12, s30, 3
	s_mul_i32 s13, s30, 0xc0
	s_add_i32 s12, s8, s12
	v_lshl_add_u32 v1, v0, 3, s13
	s_add_i32 s8, s12, -8
	v_add_u32_e32 v1, 0x1140, v1
	s_addk_i32 s12, 0xff38
	s_branch .LBB94_35
.LBB94_34:                              ;   in Loop: Header=BB94_35 Depth=1
	s_addk_i32 s13, 0xff38
	v_mov_b32_e32 v3, s13
	v_add_u32_e32 v2, 0x1200, v6
	ds_read_b64 v[6:7], v3
	s_add_i32 s13, s9, -2
	s_addk_i32 s8, 0xfe80
	s_addk_i32 s12, 0xfe80
	s_cmp_lt_i32 s9, 2
	s_waitcnt lgkmcnt(0)
	v_mul_f64 v[4:5], v[6:7], v[4:5]
	s_mov_b32 s9, s13
	ds_write_b64 v2, v[4:5]
	s_cbranch_scc1 .LBB94_39
.LBB94_35:                              ; =>This Loop Header: Depth=1
                                        ;     Child Loop BB94_36 Depth 2
                                        ;     Child Loop BB94_38 Depth 2
	s_mul_i32 s16, s9, 24
	v_add_lshl_u32 v4, s16, v0, 3
	ds_read_b64 v[2:3], v4 offset:4608
	s_cmp_le_i32 s31, s9
	v_mov_b32_e32 v5, v1
	s_mov_b32 s13, s8
	s_mov_b32 s17, s31
	s_cbranch_scc1 .LBB94_37
.LBB94_36:                              ;   Parent Loop BB94_35 Depth=1
                                        ; =>  This Inner Loop Header: Depth=2
	v_mov_b32_e32 v8, s13
	ds_read_b64 v[6:7], v5
	ds_read_b64 v[8:9], v8
	s_add_i32 s17, s17, -1
	s_add_i32 s13, s13, -8
	v_add_u32_e32 v5, 0xffffff40, v5
	s_cmp_gt_i32 s17, s9
	s_waitcnt lgkmcnt(0)
	v_fma_f64 v[2:3], -v[6:7], v[8:9], v[2:3]
	s_cbranch_scc1 .LBB94_36
.LBB94_37:                              ;   in Loop: Header=BB94_35 Depth=1
	s_mul_i32 s13, s9, 0xc8
	v_add_u32_e32 v7, 0x1200, v4
	v_mov_b32_e32 v4, s13
	ds_read_b64 v[8:9], v4
	s_sub_i32 s16, s16, 24
	v_add_lshl_u32 v6, s16, v0, 3
	ds_read_b64 v[4:5], v6 offset:4608
	s_cmp_lt_i32 s31, s9
	s_waitcnt lgkmcnt(1)
	v_mul_f64 v[2:3], v[8:9], v[2:3]
	ds_write_b64 v7, v[2:3]
	v_mov_b32_e32 v2, v1
	s_mov_b32 s16, s12
	s_mov_b32 s17, s30
	s_cbranch_scc1 .LBB94_34
.LBB94_38:                              ;   Parent Loop BB94_35 Depth=1
                                        ; =>  This Inner Loop Header: Depth=2
	v_mov_b32_e32 v3, s16
	ds_read_b64 v[8:9], v2
	ds_read_b64 v[10:11], v3
	s_add_i32 s17, s17, -1
	s_add_i32 s16, s16, -8
	v_add_u32_e32 v2, 0xffffff40, v2
	s_cmp_gt_i32 s17, s9
	s_waitcnt lgkmcnt(0)
	v_fma_f64 v[4:5], -v[8:9], v[10:11], v[4:5]
	s_cbranch_scc1 .LBB94_38
	s_branch .LBB94_34
.LBB94_39:
	s_mov_b64 s[8:9], 0
.LBB94_40:
	s_and_b64 vcc, exec, s[8:9]
	s_cbranch_vccz .LBB94_60
; %bb.41:
	s_cmp_gt_i32 s10, 23
	s_cselect_b64 s[8:9], -1, 0
	s_mov_b32 s12, 0
	s_and_b64 vcc, exec, s[8:9]
	s_cbranch_vccz .LBB94_43
; %bb.42:
	v_lshlrev_b32_e32 v1, 3, v0
	v_add_u32_e32 v78, 0x1000, v1
	v_add_u32_e32 v86, 0x1800, v1
	;; [unrolled: 1-line block ×3, first 2 shown]
	v_mov_b32_e32 v84, 0
	ds_read2_b64 v[50:53], v78 offset0:64 offset1:88
	ds_read2_b64 v[42:45], v78 offset0:112 offset1:136
	;; [unrolled: 1-line block ×4, first 2 shown]
	ds_read2_b64 v[30:33], v86 offset1:24
	ds_read2_b64 v[26:29], v86 offset0:48 offset1:72
	ds_read2_b64 v[22:25], v86 offset0:96 offset1:120
	;; [unrolled: 1-line block ×5, first 2 shown]
	v_add_u32_e32 v1, 0x2000, v1
	ds_read_b128 v[54:57], v84
	ds_read2_b64 v[6:9], v1 offset0:32 offset1:56
	ds_read2_b64 v[2:5], v1 offset0:80 offset1:104
	;; [unrolled: 1-line block ×3, first 2 shown]
	ds_read_b128 v[46:49], v84 offset:16
	s_waitcnt lgkmcnt(4)
	v_mul_f64 v[62:63], v[54:55], v[50:51]
	v_fma_f64 v[54:55], -v[62:63], v[56:57], v[52:53]
	ds_read2_b64 v[50:53], v84 offset0:27 offset1:28
	s_waitcnt lgkmcnt(2)
	v_mul_f64 v[64:65], v[58:59], v[54:55]
	ds_read_b128 v[54:57], v84 offset:400
	s_waitcnt lgkmcnt(2)
	v_fma_f64 v[42:43], -v[62:63], v[46:47], v[42:43]
	v_fma_f64 v[42:43], -v[64:65], v[60:61], v[42:43]
	ds_read2_b64 v[58:61], v84 offset0:45 offset1:46
	v_fma_f64 v[46:47], -v[62:63], v[48:49], v[44:45]
	s_waitcnt lgkmcnt(1)
	v_mul_f64 v[66:67], v[54:55], v[42:43]
	ds_read2_b64 v[42:45], v84 offset0:75 offset1:76
	v_fma_f64 v[46:47], -v[64:65], v[50:51], v[46:47]
	ds_write2_b64 v78, v[62:63], v[64:65] offset0:64 offset1:88
	v_fma_f64 v[50:51], -v[66:67], v[56:57], v[46:47]
	ds_read2_b64 v[46:49], v84 offset0:77 offset1:78
	ds_read_b128 v[54:57], v84 offset:32
	s_waitcnt lgkmcnt(3)
	v_mul_f64 v[68:69], v[42:43], v[50:51]
	ds_write2_b64 v78, v[66:67], v[68:69] offset0:112 offset1:136
	ds_read_b128 v[74:77], v84 offset:48
	ds_read_b128 v[70:73], v84 offset:416
	s_movk_i32 s13, 0x400
	s_waitcnt lgkmcnt(3)
	v_fma_f64 v[38:39], -v[62:63], v[54:55], v[38:39]
	v_fma_f64 v[38:39], -v[64:65], v[52:53], v[38:39]
	ds_read_b128 v[50:53], v84 offset:432
	ds_read_b128 v[80:83], v84 offset:800
	s_waitcnt lgkmcnt(2)
	v_fma_f64 v[38:39], -v[66:67], v[70:71], v[38:39]
	v_fma_f64 v[38:39], -v[68:69], v[44:45], v[38:39]
	ds_read2_b64 v[42:45], v84 offset0:29 offset1:30
	ds_read_b128 v[88:91], v84 offset:816
	v_fma_f64 v[34:35], -v[62:63], v[74:75], v[34:35]
	s_waitcnt lgkmcnt(2)
	v_mul_f64 v[70:71], v[80:81], v[38:39]
	v_fma_f64 v[38:39], -v[62:63], v[56:57], v[40:41]
	s_waitcnt lgkmcnt(1)
	v_fma_f64 v[42:43], -v[64:65], v[42:43], v[38:39]
	ds_read2_b64 v[38:41], v84 offset0:125 offset1:126
	v_fma_f64 v[42:43], -v[66:67], v[72:73], v[42:43]
	v_fma_f64 v[42:43], -v[68:69], v[46:47], v[42:43]
	;; [unrolled: 1-line block ×4, first 2 shown]
	s_waitcnt lgkmcnt(0)
	v_mul_f64 v[72:73], v[38:39], v[42:43]
	ds_read_b128 v[42:45], v84 offset:1200
	ds_read2_b64 v[54:57], v84 offset0:31 offset1:32
	v_fma_f64 v[34:35], -v[66:67], v[50:51], v[34:35]
	v_fma_f64 v[34:35], -v[68:69], v[48:49], v[34:35]
	ds_read2_b64 v[46:49], v84 offset0:79 offset1:80
	v_fma_f64 v[34:35], -v[70:71], v[88:89], v[34:35]
	v_fma_f64 v[34:35], -v[72:73], v[40:41], v[34:35]
	ds_read2_b64 v[38:41], v84 offset0:141 offset1:142
	s_waitcnt lgkmcnt(3)
	v_mul_f64 v[74:75], v[42:43], v[34:35]
	v_fma_f64 v[34:35], -v[62:63], v[76:77], v[36:37]
	ds_read2_b64 v[80:83], v84 offset0:127 offset1:128
	s_waitcnt lgkmcnt(3)
	v_fma_f64 v[34:35], -v[64:65], v[54:55], v[34:35]
	v_fma_f64 v[34:35], -v[66:67], v[52:53], v[34:35]
	ds_read2_b64 v[50:53], v84 offset0:81 offset1:82
	s_waitcnt lgkmcnt(3)
	v_fma_f64 v[34:35], -v[68:69], v[46:47], v[34:35]
	v_fma_f64 v[42:43], -v[70:71], v[90:91], v[34:35]
	ds_read2_b64 v[34:37], v84 offset0:175 offset1:176
	ds_write2_b64 v78, v[70:71], v[72:73] offset0:160 offset1:184
	s_waitcnt lgkmcnt(3)
	v_fma_f64 v[42:43], -v[72:73], v[80:81], v[42:43]
	v_fma_f64 v[46:47], -v[74:75], v[44:45], v[42:43]
	ds_read2_b64 v[88:91], v84 offset0:177 offset1:178
	ds_read_b128 v[42:45], v84 offset:64
	s_waitcnt lgkmcnt(3)
	v_mul_f64 v[76:77], v[34:35], v[46:47]
	ds_write2_b64 v78, v[74:75], v[76:77] offset0:208 offset1:232
	ds_read_b128 v[92:95], v84 offset:80
	ds_read_b128 v[78:81], v84 offset:448
	s_movk_i32 s12, 0x1000
	s_waitcnt lgkmcnt(3)
	v_fma_f64 v[30:31], -v[62:63], v[42:43], v[30:31]
	v_fma_f64 v[30:31], -v[64:65], v[56:57], v[30:31]
	ds_read_b128 v[54:57], v84 offset:464
	ds_read_b128 v[96:99], v84 offset:832
	;; [unrolled: 1-line block ×4, first 2 shown]
	s_waitcnt lgkmcnt(4)
	v_fma_f64 v[30:31], -v[66:67], v[78:79], v[30:31]
	v_fma_f64 v[30:31], -v[68:69], v[48:49], v[30:31]
	ds_read_b128 v[108:111], v84 offset:1232
	ds_read_b128 v[112:115], v84 offset:1600
	s_waitcnt lgkmcnt(4)
	v_fma_f64 v[30:31], -v[70:71], v[96:97], v[30:31]
	v_fma_f64 v[30:31], -v[72:73], v[82:83], v[30:31]
	ds_read2_b64 v[116:119], v84 offset0:33 offset1:34
	ds_read_b128 v[120:123], v84 offset:1616
	s_waitcnt lgkmcnt(4)
	v_fma_f64 v[30:31], -v[74:75], v[104:105], v[30:31]
	v_fma_f64 v[30:31], -v[76:77], v[36:37], v[30:31]
	s_waitcnt lgkmcnt(2)
	v_mul_f64 v[78:79], v[112:113], v[30:31]
	v_fma_f64 v[30:31], -v[62:63], v[44:45], v[32:33]
	s_waitcnt lgkmcnt(1)
	v_fma_f64 v[34:35], -v[64:65], v[116:117], v[30:31]
	ds_read2_b64 v[30:33], v84 offset0:129 offset1:130
	ds_read2_b64 v[42:45], v84 offset0:131 offset1:132
	v_fma_f64 v[26:27], -v[62:63], v[92:93], v[26:27]
	v_fma_f64 v[34:35], -v[66:67], v[80:81], v[34:35]
	;; [unrolled: 1-line block ×6, first 2 shown]
	ds_read2_b64 v[80:83], v84 offset0:225 offset1:226
	v_fma_f64 v[26:27], -v[68:69], v[52:53], v[26:27]
	s_waitcnt lgkmcnt(2)
	v_fma_f64 v[30:31], -v[72:73], v[30:31], v[34:35]
	ds_read2_b64 v[34:37], v84 offset0:227 offset1:228
	v_fma_f64 v[26:27], -v[70:71], v[100:101], v[26:27]
	v_fma_f64 v[30:31], -v[74:75], v[106:107], v[30:31]
	;; [unrolled: 1-line block ×3, first 2 shown]
	ds_read_b128 v[96:99], v84 offset:2000
	ds_read2_b64 v[46:49], v84 offset0:35 offset1:36
	v_fma_f64 v[30:31], -v[76:77], v[88:89], v[30:31]
	v_fma_f64 v[26:27], -v[74:75], v[108:109], v[26:27]
	v_fma_f64 v[30:31], -v[78:79], v[114:115], v[30:31]
	v_fma_f64 v[26:27], -v[76:77], v[90:91], v[26:27]
	ds_read2_b64 v[88:91], v84 offset0:83 offset1:84
	s_waitcnt lgkmcnt(4)
	v_mul_f64 v[80:81], v[80:81], v[30:31]
	v_fma_f64 v[26:27], -v[78:79], v[120:121], v[26:27]
	v_fma_f64 v[26:27], -v[80:81], v[82:83], v[26:27]
	ds_read2_b64 v[30:33], v84 offset0:237 offset1:238
	s_waitcnt lgkmcnt(3)
	v_mul_f64 v[82:83], v[96:97], v[26:27]
	v_fma_f64 v[26:27], -v[62:63], v[94:95], v[28:29]
	s_waitcnt lgkmcnt(2)
	v_fma_f64 v[26:27], -v[64:65], v[46:47], v[26:27]
	v_fma_f64 v[26:27], -v[66:67], v[56:57], v[26:27]
	ds_read2_b64 v[92:95], v84 offset0:179 offset1:180
	ds_read2_b64 v[54:57], v84 offset0:181 offset1:182
	s_waitcnt lgkmcnt(3)
	v_fma_f64 v[26:27], -v[68:69], v[88:89], v[26:27]
	v_fma_f64 v[26:27], -v[70:71], v[102:103], v[26:27]
	;; [unrolled: 1-line block ×3, first 2 shown]
	v_mov_b32_e32 v28, 0x898
	ds_read2_b64 v[50:53], v84 offset0:85 offset1:86
	ds_read2_b64 v[100:103], v28 offset1:1
	v_fma_f64 v[26:27], -v[74:75], v[110:111], v[26:27]
	s_waitcnt lgkmcnt(3)
	v_fma_f64 v[26:27], -v[76:77], v[92:93], v[26:27]
	v_fma_f64 v[26:27], -v[78:79], v[122:123], v[26:27]
	;; [unrolled: 1-line block ×3, first 2 shown]
	ds_write2_b64 v86, v[78:79], v[80:81] offset1:24
	v_fma_f64 v[34:35], -v[82:83], v[98:99], v[26:27]
	ds_read_b128 v[26:29], v84 offset:4400
	ds_read_b128 v[96:99], v84 offset:96
	s_waitcnt lgkmcnt(3)
	v_mul_f64 v[34:35], v[100:101], v[34:35]
	ds_write2_b64 v86, v[82:83], v[34:35] offset0:48 offset1:72
	ds_read_b128 v[104:107], v84 offset:112
	ds_read_b128 v[108:111], v84 offset:480
	s_waitcnt lgkmcnt(3)
	v_fma_f64 v[22:23], -v[62:63], v[96:97], v[22:23]
	v_fma_f64 v[22:23], -v[64:65], v[48:49], v[22:23]
	ds_read_b128 v[46:49], v84 offset:496
	ds_read_b128 v[112:115], v84 offset:864
	s_waitcnt lgkmcnt(2)
	v_fma_f64 v[22:23], -v[66:67], v[108:109], v[22:23]
	v_fma_f64 v[22:23], -v[68:69], v[90:91], v[22:23]
	ds_read_b128 v[88:91], v84 offset:880
	ds_read_b128 v[116:119], v84 offset:1248
	v_fma_f64 v[24:25], -v[62:63], v[98:99], v[24:25]
	s_waitcnt lgkmcnt(2)
	v_fma_f64 v[22:23], -v[70:71], v[112:113], v[22:23]
	v_fma_f64 v[22:23], -v[72:73], v[44:45], v[22:23]
	ds_read_b128 v[42:45], v84 offset:1264
	ds_read_b128 v[120:123], v84 offset:1632
	s_waitcnt lgkmcnt(2)
	v_fma_f64 v[22:23], -v[74:75], v[116:117], v[22:23]
	v_fma_f64 v[22:23], -v[76:77], v[94:95], v[22:23]
	ds_read_b128 v[92:95], v84 offset:1648
	ds_read_b128 v[124:127], v84 offset:2016
	;; [unrolled: 1-line block ×4, first 2 shown]
	s_waitcnt lgkmcnt(4)
	v_fma_f64 v[22:23], -v[78:79], v[120:121], v[22:23]
	v_fma_f64 v[22:23], -v[80:81], v[36:37], v[22:23]
	v_mov_b32_e32 v36, 0x8a8
	s_waitcnt lgkmcnt(2)
	v_fma_f64 v[22:23], -v[82:83], v[124:125], v[22:23]
	v_fma_f64 v[22:23], -v[34:35], v[102:103], v[22:23]
	ds_read2_b64 v[100:103], v84 offset0:37 offset1:38
	ds_read_b128 v[136:139], v84 offset:2416
	ds_read2_b64 v[96:99], v84 offset0:39 offset1:40
	ds_read2_b64 v[140:143], v84 offset0:133 offset1:134
	v_fma_f64 v[18:19], -v[62:63], v[104:105], v[18:19]
	s_waitcnt lgkmcnt(3)
	v_fma_f64 v[24:25], -v[64:65], v[100:101], v[24:25]
	v_fma_f64 v[24:25], -v[66:67], v[110:111], v[24:25]
	v_fma_f64 v[24:25], -v[68:69], v[50:51], v[24:25]
	v_fma_f64 v[24:25], -v[70:71], v[114:115], v[24:25]
	s_waitcnt lgkmcnt(0)
	v_fma_f64 v[24:25], -v[72:73], v[140:141], v[24:25]
	v_fma_f64 v[24:25], -v[74:75], v[118:119], v[24:25]
	v_fma_f64 v[24:25], -v[76:77], v[54:55], v[24:25]
	ds_read2_b64 v[108:111], v84 offset0:135 offset1:136
	ds_read2_b64 v[112:115], v84 offset0:229 offset1:230
	v_fma_f64 v[24:25], -v[78:79], v[122:123], v[24:25]
	v_mov_b32_e32 v37, 0xa28
	ds_read2_b64 v[116:119], v36 offset1:1
	ds_read2_b64 v[120:123], v37 offset1:1
	ds_read2_b64 v[144:147], v84 offset0:231 offset1:232
	v_fma_f64 v[18:19], -v[64:65], v[102:103], v[18:19]
	ds_read2_b64 v[100:103], v84 offset0:87 offset1:88
	v_fma_f64 v[20:21], -v[62:63], v[106:107], v[20:21]
	;; [unrolled: 2-line block ×3, first 2 shown]
	v_fma_f64 v[20:21], -v[64:65], v[96:97], v[20:21]
	v_fma_f64 v[18:19], -v[68:69], v[52:53], v[18:19]
	;; [unrolled: 1-line block ×4, first 2 shown]
	s_waitcnt lgkmcnt(1)
	v_fma_f64 v[20:21], -v[68:69], v[100:101], v[20:21]
	v_fma_f64 v[18:19], -v[72:73], v[142:143], v[18:19]
	;; [unrolled: 1-line block ×5, first 2 shown]
	v_mov_b32_e32 v36, 0x8b8
	v_fma_f64 v[18:19], -v[76:77], v[56:57], v[18:19]
	ds_read2_b64 v[46:49], v84 offset0:89 offset1:90
	ds_read2_b64 v[88:91], v36 offset1:1
	v_fma_f64 v[20:21], -v[74:75], v[44:45], v[20:21]
	v_fma_f64 v[24:25], -v[80:81], v[112:113], v[24:25]
	;; [unrolled: 1-line block ×3, first 2 shown]
	s_waitcnt lgkmcnt(2)
	v_fma_f64 v[20:21], -v[76:77], v[104:105], v[20:21]
	v_mov_b32_e32 v36, 0xa38
	v_fma_f64 v[24:25], -v[82:83], v[126:127], v[24:25]
	v_fma_f64 v[18:19], -v[80:81], v[114:115], v[18:19]
	ds_read_b128 v[50:53], v84 offset:2800
	ds_read2_b64 v[42:45], v84 offset0:185 offset1:186
	v_fma_f64 v[20:21], -v[78:79], v[94:95], v[20:21]
	ds_read2_b64 v[92:95], v36 offset1:1
	v_mul_f64 v[22:23], v[132:133], v[22:23]
	v_fma_f64 v[24:25], -v[34:35], v[116:117], v[24:25]
	v_fma_f64 v[18:19], -v[82:83], v[128:129], v[18:19]
	;; [unrolled: 1-line block ×3, first 2 shown]
	v_mov_b32_e32 v36, 0xbb8
	v_fma_f64 v[24:25], -v[22:23], v[134:135], v[24:25]
	v_fma_f64 v[18:19], -v[34:35], v[118:119], v[18:19]
	;; [unrolled: 1-line block ×3, first 2 shown]
	ds_read2_b64 v[112:115], v36 offset1:1
	v_mul_f64 v[24:25], v[120:121], v[24:25]
	v_fma_f64 v[18:19], -v[22:23], v[136:137], v[18:19]
	s_waitcnt lgkmcnt(4)
	v_fma_f64 v[20:21], -v[34:35], v[88:89], v[20:21]
	v_fma_f64 v[18:19], -v[24:25], v[122:123], v[18:19]
	;; [unrolled: 1-line block ×3, first 2 shown]
	ds_write2_b64 v86, v[22:23], v[24:25] offset0:96 offset1:120
	s_waitcnt lgkmcnt(4)
	v_mul_f64 v[18:19], v[50:51], v[18:19]
	s_waitcnt lgkmcnt(2)
	v_fma_f64 v[20:21], -v[24:25], v[92:93], v[20:21]
	v_mov_b32_e32 v36, 0x8c8
	ds_read_b128 v[54:57], v84 offset:2816
	v_fma_f64 v[20:21], -v[18:19], v[52:53], v[20:21]
	ds_read2_b64 v[50:53], v36 offset1:1
	ds_read_b128 v[116:119], v84 offset:128
	s_waitcnt lgkmcnt(4)
	v_mul_f64 v[20:21], v[112:113], v[20:21]
	ds_write2_b64 v86, v[18:19], v[20:21] offset0:144 offset1:168
	ds_read_b128 v[120:123], v84 offset:144
	ds_read_b128 v[124:127], v84 offset:512
	s_waitcnt lgkmcnt(3)
	v_fma_f64 v[14:15], -v[62:63], v[116:117], v[14:15]
	v_fma_f64 v[14:15], -v[64:65], v[98:99], v[14:15]
	ds_read_b128 v[96:99], v84 offset:528
	ds_read_b128 v[128:131], v84 offset:896
	s_waitcnt lgkmcnt(2)
	v_fma_f64 v[14:15], -v[66:67], v[124:125], v[14:15]
	v_fma_f64 v[14:15], -v[68:69], v[102:103], v[14:15]
	ds_read_b128 v[100:103], v84 offset:912
	ds_read_b128 v[132:135], v84 offset:1280
	v_fma_f64 v[36:37], -v[62:63], v[118:119], v[16:17]
	s_waitcnt lgkmcnt(2)
	v_fma_f64 v[14:15], -v[70:71], v[128:129], v[14:15]
	v_fma_f64 v[14:15], -v[72:73], v[110:111], v[14:15]
	ds_read_b128 v[108:111], v84 offset:1296
	ds_read_b128 v[136:139], v84 offset:1664
	s_waitcnt lgkmcnt(2)
	v_fma_f64 v[14:15], -v[74:75], v[132:133], v[14:15]
	v_fma_f64 v[14:15], -v[76:77], v[106:107], v[14:15]
	ds_read_b128 v[104:107], v84 offset:1680
	ds_read_b128 v[140:143], v84 offset:2048
	v_fma_f64 v[10:11], -v[62:63], v[120:121], v[10:11]
	s_waitcnt lgkmcnt(2)
	v_fma_f64 v[14:15], -v[78:79], v[136:137], v[14:15]
	v_fma_f64 v[14:15], -v[80:81], v[146:147], v[14:15]
	ds_read_b128 v[144:147], v84 offset:2432
	ds_read_b128 v[148:151], v84 offset:2064
	s_waitcnt lgkmcnt(2)
	v_fma_f64 v[14:15], -v[82:83], v[140:141], v[14:15]
	v_fma_f64 v[14:15], -v[34:35], v[90:91], v[14:15]
	ds_read_b128 v[88:91], v84 offset:2448
	s_waitcnt lgkmcnt(2)
	v_fma_f64 v[14:15], -v[22:23], v[144:145], v[14:15]
	v_fma_f64 v[14:15], -v[24:25], v[94:95], v[14:15]
	ds_read_b128 v[92:95], v84 offset:3200
	v_fma_f64 v[14:15], -v[18:19], v[54:55], v[14:15]
	v_fma_f64 v[14:15], -v[20:21], v[114:115], v[14:15]
	ds_read2_b64 v[112:115], v84 offset0:41 offset1:42
	ds_read_b128 v[152:155], v84 offset:2864
	ds_read2_b64 v[116:119], v84 offset0:137 offset1:138
	s_waitcnt lgkmcnt(3)
	v_mul_f64 v[160:161], v[92:93], v[14:15]
	ds_read2_b64 v[14:17], v84 offset0:43 offset1:44
	s_waitcnt lgkmcnt(3)
	v_fma_f64 v[36:37], -v[64:65], v[112:113], v[36:37]
	v_fma_f64 v[36:37], -v[66:67], v[126:127], v[36:37]
	v_fma_f64 v[36:37], -v[68:69], v[46:47], v[36:37]
	v_fma_f64 v[36:37], -v[70:71], v[130:131], v[36:37]
	ds_read2_b64 v[128:131], v84 offset0:233 offset1:234
	s_waitcnt lgkmcnt(2)
	v_fma_f64 v[36:37], -v[72:73], v[116:117], v[36:37]
	v_fma_f64 v[36:37], -v[74:75], v[134:135], v[36:37]
	;; [unrolled: 1-line block ×3, first 2 shown]
	v_mov_b32_e32 v42, 0xa48
	v_fma_f64 v[36:37], -v[78:79], v[138:139], v[36:37]
	ds_read2_b64 v[136:139], v42 offset1:1
	s_waitcnt lgkmcnt(1)
	v_fma_f64 v[36:37], -v[80:81], v[128:129], v[36:37]
	v_fma_f64 v[36:37], -v[82:83], v[142:143], v[36:37]
	;; [unrolled: 1-line block ×3, first 2 shown]
	v_mov_b32_e32 v42, 0xbc8
	v_fma_f64 v[10:11], -v[64:65], v[114:115], v[10:11]
	ds_read2_b64 v[124:127], v84 offset0:139 offset1:140
	ds_read2_b64 v[140:143], v42 offset1:1
	v_fma_f64 v[36:37], -v[22:23], v[146:147], v[36:37]
	v_fma_f64 v[10:11], -v[66:67], v[96:97], v[10:11]
	s_waitcnt lgkmcnt(2)
	v_fma_f64 v[36:37], -v[24:25], v[136:137], v[36:37]
	v_mov_b32_e32 v42, 0xd48
	v_fma_f64 v[10:11], -v[68:69], v[48:49], v[10:11]
	ds_read2_b64 v[132:135], v84 offset0:235 offset1:236
	v_fma_f64 v[36:37], -v[18:19], v[56:57], v[36:37]
	ds_read2_b64 v[54:57], v42 offset1:1
	v_fma_f64 v[10:11], -v[70:71], v[100:101], v[10:11]
	v_fma_f64 v[10:11], -v[72:73], v[118:119], v[10:11]
	;; [unrolled: 1-line block ×3, first 2 shown]
	s_waitcnt lgkmcnt(2)
	v_fma_f64 v[36:37], -v[20:21], v[140:141], v[36:37]
	v_fma_f64 v[10:11], -v[76:77], v[44:45], v[10:11]
	v_fma_f64 v[36:37], -v[160:161], v[94:95], v[36:37]
	v_mov_b32_e32 v42, 0x8d8
	v_fma_f64 v[10:11], -v[78:79], v[104:105], v[10:11]
	ds_read2_b64 v[92:95], v42 offset1:1
	s_waitcnt lgkmcnt(1)
	v_mul_f64 v[162:163], v[54:55], v[36:37]
	v_fma_f64 v[10:11], -v[80:81], v[130:131], v[10:11]
	ds_read_b128 v[42:45], v84 offset:2832
	ds_write2_b64 v86, v[160:161], v[162:163] offset0:192 offset1:216
	v_fma_f64 v[10:11], -v[82:83], v[148:149], v[10:11]
	v_fma_f64 v[10:11], -v[34:35], v[52:53], v[10:11]
	ds_read_b128 v[46:49], v84 offset:2848
	ds_read_b128 v[50:53], v84 offset:3216
	v_fma_f64 v[10:11], -v[22:23], v[88:89], v[10:11]
	v_fma_f64 v[10:11], -v[24:25], v[138:139], v[10:11]
	s_waitcnt lgkmcnt(3)
	v_fma_f64 v[10:11], -v[18:19], v[42:43], v[10:11]
	ds_read_b128 v[86:89], v84 offset:3600
	ds_read_b128 v[112:115], v84 offset:3232
	v_fma_f64 v[10:11], -v[20:21], v[142:143], v[10:11]
	s_waitcnt lgkmcnt(2)
	v_fma_f64 v[10:11], -v[160:161], v[50:51], v[10:11]
	ds_read2_b64 v[116:119], v84 offset0:91 offset1:92
	v_fma_f64 v[10:11], -v[162:163], v[56:57], v[10:11]
	s_waitcnt lgkmcnt(2)
	v_mul_f64 v[164:165], v[86:87], v[10:11]
	v_fma_f64 v[10:11], -v[62:63], v[122:123], v[12:13]
	v_fma_f64 v[10:11], -v[64:65], v[14:15], v[10:11]
	;; [unrolled: 1-line block ×3, first 2 shown]
	ds_read2_b64 v[96:99], v84 offset0:187 offset1:188
	s_waitcnt lgkmcnt(1)
	v_fma_f64 v[14:15], -v[68:69], v[116:117], v[14:15]
	v_fma_f64 v[14:15], -v[70:71], v[102:103], v[14:15]
	;; [unrolled: 1-line block ×4, first 2 shown]
	s_waitcnt lgkmcnt(0)
	v_fma_f64 v[14:15], -v[76:77], v[96:97], v[14:15]
	v_fma_f64 v[14:15], -v[78:79], v[106:107], v[14:15]
	;; [unrolled: 1-line block ×3, first 2 shown]
	v_mov_b32_e32 v36, 0xa58
	ds_read2_b64 v[10:13], v84 offset0:93 offset1:94
	ds_read2_b64 v[104:107], v36 offset1:1
	v_fma_f64 v[14:15], -v[82:83], v[150:151], v[14:15]
	v_fma_f64 v[14:15], -v[34:35], v[92:93], v[14:15]
	v_mov_b32_e32 v36, 0xbd8
	ds_read2_b64 v[100:103], v84 offset0:189 offset1:190
	v_fma_f64 v[14:15], -v[22:23], v[90:91], v[14:15]
	ds_read2_b64 v[90:93], v36 offset1:1
	s_waitcnt lgkmcnt(2)
	v_fma_f64 v[14:15], -v[24:25], v[104:105], v[14:15]
	v_fma_f64 v[14:15], -v[18:19], v[44:45], v[14:15]
	v_mov_b32_e32 v36, 0xd58
	ds_read2_b64 v[42:45], v36 offset1:1
	s_waitcnt lgkmcnt(1)
	v_fma_f64 v[14:15], -v[20:21], v[90:91], v[14:15]
	v_fma_f64 v[14:15], -v[160:161], v[52:53], v[14:15]
	ds_read_b128 v[50:53], v84 offset:160
	v_mov_b32_e32 v36, 0xed8
	ds_read_b128 v[54:57], v84 offset:3248
	ds_read2_b64 v[108:111], v36 offset1:1
	s_waitcnt lgkmcnt(3)
	v_fma_f64 v[14:15], -v[162:163], v[42:43], v[14:15]
	v_fma_f64 v[14:15], -v[164:165], v[88:89], v[14:15]
	s_waitcnt lgkmcnt(2)
	v_fma_f64 v[6:7], -v[62:63], v[50:51], v[6:7]
	v_fma_f64 v[6:7], -v[64:65], v[16:17], v[6:7]
	s_waitcnt lgkmcnt(0)
	v_mul_f64 v[166:167], v[108:109], v[14:15]
	ds_write2_b64 v85, v[164:165], v[166:167] offset0:112 offset1:136
	ds_read_b128 v[86:89], v84 offset:176
	ds_read_b128 v[120:123], v84 offset:544
	;; [unrolled: 1-line block ×4, first 2 shown]
	s_waitcnt lgkmcnt(3)
	v_fma_f64 v[2:3], -v[62:63], v[86:87], v[2:3]
	s_waitcnt lgkmcnt(2)
	v_fma_f64 v[6:7], -v[66:67], v[120:121], v[6:7]
	v_fma_f64 v[6:7], -v[68:69], v[118:119], v[6:7]
	ds_read_b128 v[116:119], v84 offset:944
	ds_read_b128 v[136:139], v84 offset:1312
	s_waitcnt lgkmcnt(2)
	v_fma_f64 v[6:7], -v[70:71], v[128:129], v[6:7]
	v_fma_f64 v[6:7], -v[72:73], v[126:127], v[6:7]
	ds_read_b128 v[124:127], v84 offset:1328
	ds_read_b128 v[140:143], v84 offset:1696
	v_fma_f64 v[2:3], -v[64:65], v[60:61], v[2:3]
	s_waitcnt lgkmcnt(2)
	v_fma_f64 v[6:7], -v[74:75], v[136:137], v[6:7]
	v_fma_f64 v[6:7], -v[76:77], v[98:99], v[6:7]
	ds_read_b128 v[96:99], v84 offset:1712
	ds_read_b128 v[144:147], v84 offset:2080
	s_waitcnt lgkmcnt(2)
	v_fma_f64 v[6:7], -v[78:79], v[140:141], v[6:7]
	v_fma_f64 v[6:7], -v[80:81], v[134:135], v[6:7]
	ds_read_b128 v[132:135], v84 offset:2464
	ds_read_b128 v[148:151], v84 offset:2096
	;; [unrolled: 1-line block ×3, first 2 shown]
	s_waitcnt lgkmcnt(3)
	v_fma_f64 v[6:7], -v[82:83], v[144:145], v[6:7]
	v_fma_f64 v[6:7], -v[34:35], v[94:95], v[6:7]
	s_waitcnt lgkmcnt(2)
	v_fma_f64 v[6:7], -v[22:23], v[132:133], v[6:7]
	v_fma_f64 v[6:7], -v[24:25], v[106:107], v[6:7]
	;; [unrolled: 1-line block ×4, first 2 shown]
	ds_read_b128 v[90:93], v84 offset:3616
	v_fma_f64 v[6:7], -v[160:161], v[112:113], v[6:7]
	v_fma_f64 v[6:7], -v[162:163], v[44:45], v[6:7]
	ds_read_b128 v[42:45], v84 offset:4000
	ds_read_b128 v[104:107], v84 offset:3632
	v_fma_f64 v[2:3], -v[66:67], v[14:15], v[2:3]
	s_waitcnt lgkmcnt(2)
	v_fma_f64 v[6:7], -v[164:165], v[90:91], v[6:7]
	v_fma_f64 v[6:7], -v[166:167], v[110:111], v[6:7]
	s_waitcnt lgkmcnt(1)
	v_mul_f64 v[42:43], v[42:43], v[6:7]
	v_fma_f64 v[6:7], -v[62:63], v[52:53], v[8:9]
	v_fma_f64 v[6:7], -v[64:65], v[58:59], v[6:7]
	;; [unrolled: 1-line block ×9, first 2 shown]
	v_mov_b32_e32 v6, 0x8e8
	ds_read2_b64 v[6:9], v6 offset1:1
	v_fma_f64 v[10:11], -v[80:81], v[30:31], v[10:11]
	v_mov_b32_e32 v30, 0xa68
	ds_read2_b64 v[36:39], v30 offset1:1
	v_fma_f64 v[10:11], -v[82:83], v[146:147], v[10:11]
	v_fma_f64 v[2:3], -v[68:69], v[12:13], v[2:3]
	s_waitcnt lgkmcnt(1)
	v_fma_f64 v[6:7], -v[34:35], v[6:7], v[10:11]
	v_mov_b32_e32 v10, 0xbe8
	v_fma_f64 v[2:3], -v[70:71], v[116:117], v[2:3]
	ds_read_b128 v[108:111], v84 offset:4016
	ds_read2_b64 v[50:53], v10 offset1:1
	v_fma_f64 v[2:3], -v[72:73], v[40:41], v[2:3]
	v_fma_f64 v[2:3], -v[74:75], v[124:125], v[2:3]
	;; [unrolled: 1-line block ×4, first 2 shown]
	s_waitcnt lgkmcnt(2)
	v_fma_f64 v[6:7], -v[24:25], v[36:37], v[6:7]
	v_mov_b32_e32 v10, 0xd68
	v_fma_f64 v[2:3], -v[78:79], v[96:97], v[2:3]
	v_fma_f64 v[6:7], -v[18:19], v[48:49], v[6:7]
	ds_read2_b64 v[46:49], v10 offset1:1
	v_fma_f64 v[2:3], -v[80:81], v[32:33], v[2:3]
	s_waitcnt lgkmcnt(1)
	v_fma_f64 v[6:7], -v[20:21], v[50:51], v[6:7]
	v_mov_b32_e32 v10, 0xee8
	v_fma_f64 v[2:3], -v[82:83], v[148:149], v[2:3]
	v_fma_f64 v[6:7], -v[160:161], v[114:115], v[6:7]
	ds_read2_b64 v[112:115], v10 offset1:1
	v_fma_f64 v[2:3], -v[34:35], v[8:9], v[2:3]
	v_mov_b32_e32 v10, 0x1068
	v_fma_f64 v[2:3], -v[22:23], v[156:157], v[2:3]
	ds_read2_b64 v[120:123], v10 offset1:1
	v_fma_f64 v[2:3], -v[24:25], v[38:39], v[2:3]
	s_waitcnt lgkmcnt(2)
	v_fma_f64 v[6:7], -v[162:163], v[46:47], v[6:7]
	v_fma_f64 v[2:3], -v[18:19], v[152:153], v[2:3]
	v_fma_f64 v[6:7], -v[164:165], v[92:93], v[6:7]
	v_fma_f64 v[2:3], -v[20:21], v[52:53], v[2:3]
	s_waitcnt lgkmcnt(1)
	v_fma_f64 v[6:7], -v[166:167], v[112:113], v[6:7]
	v_fma_f64 v[2:3], -v[160:161], v[54:55], v[2:3]
	;; [unrolled: 1-line block ×4, first 2 shown]
	s_waitcnt lgkmcnt(0)
	v_mul_f64 v[10:11], v[120:121], v[6:7]
	v_fma_f64 v[2:3], -v[164:165], v[104:105], v[2:3]
	ds_read2_b64 v[6:9], v84 offset0:47 offset1:95
	v_fma_f64 v[2:3], -v[166:167], v[114:115], v[2:3]
	v_fma_f64 v[2:3], -v[42:43], v[108:109], v[2:3]
	v_fma_f64 v[2:3], -v[10:11], v[122:123], v[2:3]
	v_mul_f64 v[12:13], v[26:27], v[2:3]
	v_fma_f64 v[14:15], -v[62:63], v[88:89], v[4:5]
	ds_read2_b64 v[2:5], v84 offset0:143 offset1:191
	s_waitcnt lgkmcnt(1)
	v_fma_f64 v[6:7], -v[64:65], v[6:7], v[14:15]
	v_fma_f64 v[6:7], -v[66:67], v[16:17], v[6:7]
	;; [unrolled: 1-line block ×4, first 2 shown]
	s_waitcnt lgkmcnt(0)
	v_fma_f64 v[2:3], -v[72:73], v[2:3], v[6:7]
	v_fma_f64 v[2:3], -v[74:75], v[126:127], v[2:3]
	v_fma_f64 v[6:7], -v[76:77], v[4:5], v[2:3]
	v_add_u32_e64 v2, s13, 0
	ds_read2_b64 v[2:5], v2 offset0:111 offset1:159
	s_movk_i32 s13, 0x800
	v_add_u32_e64 v16, s13, 0
	v_fma_f64 v[14:15], -v[78:79], v[98:99], v[6:7]
	ds_read2_b64 v[6:9], v16 offset0:79 offset1:127
	s_waitcnt lgkmcnt(1)
	v_fma_f64 v[2:3], -v[80:81], v[2:3], v[14:15]
	v_fma_f64 v[2:3], -v[82:83], v[150:151], v[2:3]
	;; [unrolled: 1-line block ×4, first 2 shown]
	s_waitcnt lgkmcnt(0)
	v_fma_f64 v[2:3], -v[24:25], v[6:7], v[2:3]
	v_fma_f64 v[6:7], -v[18:19], v[154:155], v[2:3]
	ds_read2_b64 v[2:5], v16 offset0:175 offset1:223
	v_fma_f64 v[6:7], -v[20:21], v[8:9], v[6:7]
	v_fma_f64 v[14:15], -v[160:161], v[56:57], v[6:7]
	v_add_u32_e64 v6, s12, 0
	ds_read2_b64 v[6:9], v6 offset0:15 offset1:63
	s_waitcnt lgkmcnt(1)
	v_fma_f64 v[2:3], -v[162:163], v[2:3], v[14:15]
	v_fma_f64 v[2:3], -v[164:165], v[106:107], v[2:3]
	;; [unrolled: 1-line block ×4, first 2 shown]
	s_waitcnt lgkmcnt(0)
	v_fma_f64 v[2:3], -v[10:11], v[6:7], v[2:3]
	v_fma_f64 v[2:3], -v[12:13], v[28:29], v[2:3]
	v_mul_f64 v[2:3], v[8:9], v[2:3]
	s_mov_b32 s12, 24
	ds_write2_b64 v1, v[42:43], v[10:11] offset0:32 offset1:56
	ds_write2_b64 v1, v[12:13], v[2:3] offset0:80 offset1:104
.LBB94_43:
	s_cmp_lt_i32 s12, s30
	s_cbranch_scc0 .LBB94_60
; %bb.44:
	s_add_i32 s13, s12, 19
	s_cmp_ge_u32 s13, s30
	s_cbranch_scc1 .LBB94_49
; %bb.45:
	s_mul_i32 s16, s12, 24
	v_add_lshl_u32 v1, s16, v0, 3
	v_add_u32_e32 v2, 0x1000, v1
	ds_read2_b64 v[34:37], v2 offset0:64 offset1:88
	ds_read2_b64 v[46:49], v2 offset0:112 offset1:136
	;; [unrolled: 1-line block ×4, first 2 shown]
	v_add_u32_e32 v2, 0x1800, v1
	ds_read2_b64 v[22:25], v2 offset1:24
	ds_read2_b64 v[18:21], v2 offset0:48 offset1:72
	ds_read2_b64 v[14:17], v2 offset0:96 offset1:120
	;; [unrolled: 1-line block ×4, first 2 shown]
	v_add_u32_e32 v2, 0x1c00, v1
	ds_read2_b64 v[2:5], v2 offset0:112 offset1:136
	s_andn2_b64 vcc, exec, s[8:9]
	s_cbranch_vccnz .LBB94_48
; %bb.46:
	v_mov_b32_e32 v38, 0x1200
	s_lshl_b32 s8, s12, 3
	v_lshl_or_b32 v38, v0, 3, v38
	s_mov_b32 s9, 0
.LBB94_47:                              ; =>This Inner Loop Header: Depth=1
	v_mov_b32_e32 v39, s8
	ds_read_b64 v[44:45], v38
	ds_read_b128 v[40:43], v39
	ds_read_b128 v[50:53], v39 offset:16
	ds_read_b128 v[54:57], v39 offset:32
	;; [unrolled: 1-line block ×9, first 2 shown]
	s_add_i32 s9, s9, 1
	s_addk_i32 s8, 0xc0
	v_add_u32_e32 v38, 0xc0, v38
	s_cmp_lt_u32 s9, s12
	s_waitcnt lgkmcnt(9)
	v_fma_f64 v[34:35], -v[44:45], v[40:41], v[34:35]
	v_fma_f64 v[36:37], -v[44:45], v[42:43], v[36:37]
	s_waitcnt lgkmcnt(8)
	v_fma_f64 v[46:47], -v[44:45], v[50:51], v[46:47]
	v_fma_f64 v[48:49], -v[44:45], v[52:53], v[48:49]
	;; [unrolled: 3-line block ×10, first 2 shown]
	s_cbranch_scc1 .LBB94_47
.LBB94_48:
	s_mul_i32 s9, s12, 0xc8
	v_add_u32_e32 v38, 0x1200, v1
	v_mov_b32_e32 v1, s9
	ds_read_b128 v[40:43], v1
	ds_read_b128 v[50:53], v1 offset:16
	ds_read2_b64 v[56:59], v1 offset0:25 offset1:26
	s_add_i32 s17, s16, 24
	s_add_i32 s19, s16, 0xd8
	s_waitcnt lgkmcnt(2)
	v_mul_f64 v[54:55], v[40:41], v[34:35]
	ds_write_b64 v38, v[54:55]
	v_fma_f64 v[38:39], -v[54:55], v[42:43], v[36:37]
	s_waitcnt lgkmcnt(1)
	v_mul_f64 v[56:57], v[56:57], v[38:39]
	v_add_lshl_u32 v38, s17, v0, 3
	ds_write_b64 v38, v[56:57] offset:4608
	v_fma_f64 v[38:39], -v[54:55], v[50:51], v[46:47]
	ds_read_b128 v[44:47], v1 offset:400
	s_add_i32 s17, s12, s17
	s_lshl_b32 s18, s17, 3
	v_fma_f64 v[42:43], -v[56:57], v[58:59], v[38:39]
	ds_read2_b64 v[38:41], v1 offset0:75 offset1:76
	v_mov_b32_e32 v60, s18
	s_waitcnt lgkmcnt(1)
	v_mul_f64 v[58:59], v[44:45], v[42:43]
	ds_read2_b64 v[42:45], v60 offset0:3 offset1:4
	s_add_i32 s17, s16, 48
	v_add_lshl_u32 v50, s17, v0, 3
	v_fma_f64 v[52:53], -v[54:55], v[52:53], v[48:49]
	ds_write_b64 v50, v[58:59] offset:4608
	ds_read_b128 v[48:51], v1 offset:3600
	s_waitcnt lgkmcnt(2)
	v_fma_f64 v[42:43], -v[56:57], v[42:43], v[52:53]
	ds_read_b128 v[34:37], v1 offset:64
	ds_read_b128 v[62:65], v1 offset:32
	s_add_i32 s17, s12, s17
	v_fma_f64 v[42:43], -v[58:59], v[46:47], v[42:43]
	s_add_i32 s18, s16, 0x48
	s_lshl_b32 s17, s17, 3
	v_mul_f64 v[38:39], v[38:39], v[42:43]
	v_add_lshl_u32 v42, s18, v0, 3
	ds_write_b64 v42, v[38:39] offset:4608
	v_mov_b32_e32 v61, s17
	ds_read_b128 v[66:69], v61 offset:32
	ds_read_b128 v[70:73], v1 offset:48
	;; [unrolled: 1-line block ×3, first 2 shown]
	ds_read2_b64 v[78:81], v1 offset0:125 offset1:126
	s_waitcnt lgkmcnt(5)
	v_fma_f64 v[30:31], -v[54:55], v[62:63], v[30:31]
	v_fma_f64 v[30:31], -v[56:57], v[44:45], v[30:31]
	s_waitcnt lgkmcnt(3)
	v_fma_f64 v[30:31], -v[58:59], v[66:67], v[30:31]
	ds_read_b128 v[42:45], v61 offset:48
	ds_read2_b64 v[82:85], v60 offset0:5 offset1:6
	s_add_i32 s17, s12, s18
	v_fma_f64 v[30:31], -v[38:39], v[40:41], v[30:31]
	s_add_i32 s18, s16, 0x60
	s_lshl_b32 s17, s17, 3
	s_waitcnt lgkmcnt(3)
	v_mul_f64 v[30:31], v[74:75], v[30:31]
	v_add_lshl_u32 v40, s18, v0, 3
	ds_write_b64 v40, v[30:31] offset:4608
	v_mov_b32_e32 v150, s17
	v_fma_f64 v[32:33], -v[54:55], v[64:65], v[32:33]
	ds_read2_b64 v[62:65], v150 offset0:5 offset1:6
	ds_read2_b64 v[86:89], v60 offset0:7 offset1:8
	s_waitcnt lgkmcnt(3)
	v_fma_f64 v[32:33], -v[56:57], v[82:83], v[32:33]
	s_add_i32 s17, s12, s18
	v_fma_f64 v[32:33], -v[58:59], v[68:69], v[32:33]
	s_lshl_b32 s17, s17, 3
	s_waitcnt lgkmcnt(1)
	v_fma_f64 v[32:33], -v[38:39], v[62:63], v[32:33]
	v_mov_b32_e32 v126, s17
	v_fma_f64 v[32:33], -v[30:31], v[76:77], v[32:33]
	s_add_i32 s18, s16, 0x78
	v_fma_f64 v[26:27], -v[54:55], v[70:71], v[26:27]
	ds_read_b128 v[74:77], v126 offset:48
	v_mul_f64 v[32:33], v[78:79], v[32:33]
	v_add_lshl_u32 v40, s18, v0, 3
	v_fma_f64 v[26:27], -v[56:57], v[84:85], v[26:27]
	ds_write_b64 v40, v[32:33] offset:4608
	v_fma_f64 v[26:27], -v[58:59], v[42:43], v[26:27]
	ds_read2_b64 v[40:43], v1 offset0:150 offset1:175
	v_fma_f64 v[26:27], -v[38:39], v[64:65], v[26:27]
	ds_read_b128 v[62:65], v126 offset:64
	s_waitcnt lgkmcnt(3)
	v_fma_f64 v[26:27], -v[30:31], v[74:75], v[26:27]
	s_add_i32 s17, s12, s18
	v_fma_f64 v[26:27], -v[32:33], v[80:81], v[26:27]
	s_add_i32 s18, s16, 0x90
	s_lshl_b32 s17, s17, 3
	s_waitcnt lgkmcnt(1)
	v_mul_f64 v[40:41], v[40:41], v[26:27]
	v_add_lshl_u32 v26, s18, v0, 3
	ds_read2_b64 v[66:69], v150 offset0:7 offset1:8
	ds_write_b64 v26, v[40:41] offset:4608
	v_fma_f64 v[26:27], -v[54:55], v[72:73], v[28:29]
	v_mov_b32_e32 v151, s17
	s_add_i32 s17, s12, s18
	v_fma_f64 v[26:27], -v[56:57], v[86:87], v[26:27]
	s_lshl_b32 s17, s17, 3
	v_fma_f64 v[26:27], -v[58:59], v[44:45], v[26:27]
	ds_read2_b64 v[44:47], v151 offset0:7 offset1:8
	v_mov_b32_e32 v138, s17
	ds_read2_b64 v[70:73], v138 offset0:7 offset1:8
	s_waitcnt lgkmcnt(3)
	v_fma_f64 v[26:27], -v[38:39], v[66:67], v[26:27]
	v_fma_f64 v[52:53], -v[30:31], v[76:77], v[26:27]
	ds_read2_b64 v[74:77], v138 offset0:9 offset1:10
	ds_read_b128 v[78:81], v61 offset:64
	ds_read_b128 v[82:85], v61 offset:80
	s_waitcnt lgkmcnt(4)
	v_fma_f64 v[44:45], -v[32:33], v[44:45], v[52:53]
	s_waitcnt lgkmcnt(3)
	v_fma_f64 v[44:45], -v[40:41], v[70:71], v[44:45]
	s_add_i32 s17, s16, 0xa8
	v_mul_f64 v[42:43], v[42:43], v[44:45]
	v_add_lshl_u32 v44, s17, v0, 3
	v_fma_f64 v[22:23], -v[54:55], v[34:35], v[22:23]
	s_add_i32 s17, s12, s17
	v_fma_f64 v[22:23], -v[56:57], v[88:89], v[22:23]
	s_lshl_b32 s17, s17, 3
	s_waitcnt lgkmcnt(1)
	v_fma_f64 v[22:23], -v[58:59], v[78:79], v[22:23]
	v_mov_b32_e32 v127, s17
	ds_read_b128 v[26:29], v126 offset:144
	v_fma_f64 v[22:23], -v[38:39], v[68:69], v[22:23]
	ds_read_b128 v[66:69], v127 offset:64
	ds_write_b64 v44, v[42:43] offset:4608
	v_fma_f64 v[22:23], -v[30:31], v[62:63], v[22:23]
	v_fma_f64 v[22:23], -v[32:33], v[46:47], v[22:23]
	ds_read_b128 v[44:47], v1 offset:1600
	ds_read_b64 v[34:35], v138 offset:152
	v_fma_f64 v[22:23], -v[40:41], v[72:73], v[22:23]
	s_waitcnt lgkmcnt(3)
	v_fma_f64 v[22:23], -v[42:43], v[66:67], v[22:23]
	s_add_i32 s17, s16, 0xc0
	ds_read2_b64 v[70:73], v1 offset0:225 offset1:226
	ds_read2_b64 v[86:89], v60 offset0:9 offset1:10
	s_waitcnt lgkmcnt(3)
	v_mul_f64 v[44:45], v[44:45], v[22:23]
	v_add_lshl_u32 v22, s17, v0, 3
	ds_write_b64 v22, v[44:45] offset:4608
	ds_read2_b64 v[90:93], v60 offset0:11 offset1:12
	ds_read2_b64 v[94:97], v150 offset0:9 offset1:10
	v_fma_f64 v[22:23], -v[54:55], v[36:37], v[24:25]
	s_waitcnt lgkmcnt(3)
	v_fma_f64 v[22:23], -v[56:57], v[86:87], v[22:23]
	v_fma_f64 v[22:23], -v[58:59], v[80:81], v[22:23]
	ds_read2_b64 v[78:81], v151 offset0:9 offset1:10
	ds_read2_b64 v[98:101], v150 offset0:11 offset1:12
	s_waitcnt lgkmcnt(2)
	v_fma_f64 v[22:23], -v[38:39], v[94:95], v[22:23]
	s_add_i32 s18, s12, s16
	v_fma_f64 v[22:23], -v[30:31], v[64:65], v[22:23]
	s_lshl_b32 s18, s18, 3
	s_waitcnt lgkmcnt(1)
	v_fma_f64 v[22:23], -v[32:33], v[78:79], v[22:23]
	v_fma_f64 v[22:23], -v[40:41], v[74:75], v[22:23]
	v_mov_b32_e32 v142, s18
	ds_read2_b64 v[62:65], v151 offset0:11 offset1:12
	v_fma_f64 v[22:23], -v[42:43], v[68:69], v[22:23]
	ds_read_b128 v[66:69], v142 offset:80
	ds_read_b128 v[102:105], v126 offset:80
	s_add_i32 s17, s12, s17
	s_lshl_b32 s17, s17, 3
	v_fma_f64 v[22:23], -v[44:45], v[46:47], v[22:23]
	s_waitcnt lgkmcnt(1)
	v_fma_f64 v[18:19], -v[54:55], v[66:67], v[18:19]
	v_fma_f64 v[18:19], -v[56:57], v[88:89], v[18:19]
	ds_read_b128 v[86:89], v126 offset:96
	v_fma_f64 v[18:19], -v[58:59], v[82:83], v[18:19]
	v_fma_f64 v[18:19], -v[38:39], v[96:97], v[18:19]
	s_waitcnt lgkmcnt(1)
	v_fma_f64 v[18:19], -v[30:31], v[102:103], v[18:19]
	v_mul_f64 v[36:37], v[70:71], v[22:23]
	v_add_lshl_u32 v22, s19, v0, 3
	v_fma_f64 v[18:19], -v[32:33], v[80:81], v[18:19]
	ds_read_b128 v[78:81], v127 offset:80
	v_mov_b32_e32 v128, s17
	ds_write_b64 v22, v[36:37] offset:4608
	ds_read_b128 v[22:25], v127 offset:144
	ds_read_b128 v[94:97], v128 offset:80
	;; [unrolled: 1-line block ×3, first 2 shown]
	v_fma_f64 v[18:19], -v[40:41], v[76:77], v[18:19]
	v_fma_f64 v[20:21], -v[54:55], v[68:69], v[20:21]
	ds_read_b128 v[74:77], v127 offset:96
	s_waitcnt lgkmcnt(5)
	v_fma_f64 v[18:19], -v[42:43], v[78:79], v[18:19]
	ds_read_b128 v[106:109], v128 offset:96
	ds_read2_b64 v[66:69], v138 offset0:11 offset1:12
	v_fma_f64 v[20:21], -v[56:57], v[90:91], v[20:21]
	s_waitcnt lgkmcnt(4)
	v_fma_f64 v[18:19], -v[44:45], v[94:95], v[18:19]
	v_fma_f64 v[20:21], -v[58:59], v[84:85], v[20:21]
	;; [unrolled: 1-line block ×3, first 2 shown]
	s_add_i32 s18, s16, 0xf0
	v_fma_f64 v[20:21], -v[38:39], v[98:99], v[20:21]
	s_add_i32 s17, s12, s19
	ds_read_b128 v[70:73], v1 offset:2400
	s_waitcnt lgkmcnt(4)
	v_mul_f64 v[18:19], v[110:111], v[18:19]
	v_add_lshl_u32 v46, s18, v0, 3
	v_fma_f64 v[20:21], -v[30:31], v[104:105], v[20:21]
	s_lshl_b32 s17, s17, 3
	ds_write_b64 v46, v[18:19] offset:4608
	v_fma_f64 v[20:21], -v[32:33], v[62:63], v[20:21]
	v_mov_b32_e32 v152, s17
	ds_read2_b64 v[82:85], v138 offset0:13 offset1:14
	ds_read2_b64 v[102:105], v152 offset0:11 offset1:12
	s_waitcnt lgkmcnt(4)
	v_fma_f64 v[20:21], -v[40:41], v[66:67], v[20:21]
	s_add_i32 s17, s12, s18
	s_add_i32 s18, s9, 0x898
	v_fma_f64 v[20:21], -v[42:43], v[80:81], v[20:21]
	v_mov_b32_e32 v46, s18
	v_fma_f64 v[20:21], -v[44:45], v[96:97], v[20:21]
	ds_read_b128 v[78:81], v128 offset:144
	ds_read2_b64 v[94:97], v46 offset1:1
	s_lshl_b32 s17, s17, 3
	s_waitcnt lgkmcnt(2)
	v_fma_f64 v[20:21], -v[36:37], v[102:103], v[20:21]
	v_mov_b32_e32 v130, s17
	v_fma_f64 v[20:21], -v[18:19], v[112:113], v[20:21]
	s_add_i32 s18, s16, 0x108
	ds_read_b128 v[110:113], v130 offset:96
	ds_read_b128 v[114:117], v142 offset:96
	s_waitcnt lgkmcnt(2)
	v_mul_f64 v[20:21], v[94:95], v[20:21]
	v_add_lshl_u32 v46, s18, v0, 3
	ds_write_b64 v46, v[20:21] offset:4608
	ds_read_b128 v[118:121], v61 offset:96
	ds_read_b128 v[122:125], v142 offset:112
	s_waitcnt lgkmcnt(3)
	v_fma_f64 v[14:15], -v[54:55], v[114:115], v[14:15]
	v_fma_f64 v[14:15], -v[56:57], v[92:93], v[14:15]
	s_add_i32 s17, s12, s18
	s_waitcnt lgkmcnt(1)
	v_fma_f64 v[14:15], -v[58:59], v[118:119], v[14:15]
	v_fma_f64 v[14:15], -v[38:39], v[100:101], v[14:15]
	;; [unrolled: 1-line block ×10, first 2 shown]
	s_add_i32 s18, s16, 0x120
	ds_read_b128 v[90:93], v61 offset:112
	ds_read2_b64 v[62:65], v60 offset0:13 offset1:14
	v_mul_f64 v[46:47], v[70:71], v[14:15]
	v_add_lshl_u32 v14, s18, v0, 3
	ds_write_b64 v14, v[46:47] offset:4608
	v_fma_f64 v[52:53], -v[54:55], v[116:117], v[16:17]
	ds_read2_b64 v[14:17], v60 offset0:15 offset1:16
	ds_read2_b64 v[66:69], v150 offset0:13 offset1:14
	s_waitcnt lgkmcnt(3)
	v_fma_f64 v[52:53], -v[56:57], v[62:63], v[52:53]
	ds_read2_b64 v[94:97], v151 offset0:13 offset1:14
	ds_read2_b64 v[98:101], v150 offset0:15 offset1:16
	v_fma_f64 v[52:53], -v[58:59], v[120:121], v[52:53]
	s_lshl_b32 s17, s17, 3
	s_waitcnt lgkmcnt(2)
	v_fma_f64 v[52:53], -v[38:39], v[66:67], v[52:53]
	v_fma_f64 v[52:53], -v[30:31], v[88:89], v[52:53]
	s_waitcnt lgkmcnt(1)
	v_fma_f64 v[52:53], -v[32:33], v[94:95], v[52:53]
	v_fma_f64 v[52:53], -v[40:41], v[82:83], v[52:53]
	ds_read2_b64 v[86:89], v151 offset0:15 offset1:16
	v_fma_f64 v[52:53], -v[42:43], v[76:77], v[52:53]
	ds_read2_b64 v[74:77], v152 offset0:13 offset1:14
	v_mov_b32_e32 v139, s17
	v_fma_f64 v[52:53], -v[44:45], v[108:109], v[52:53]
	ds_read2_b64 v[102:105], v139 offset0:13 offset1:14
	ds_read2_b64 v[106:109], v152 offset0:15 offset1:16
	s_add_i32 s17, s12, s18
	s_waitcnt lgkmcnt(2)
	v_fma_f64 v[52:53], -v[36:37], v[74:75], v[52:53]
	s_add_i32 s18, s9, 0xa28
	v_fma_f64 v[52:53], -v[18:19], v[112:113], v[52:53]
	v_mov_b32_e32 v62, s18
	s_waitcnt lgkmcnt(1)
	v_fma_f64 v[52:53], -v[20:21], v[102:103], v[52:53]
	ds_read2_b64 v[114:117], v62 offset1:1
	v_fma_f64 v[52:53], -v[46:47], v[72:73], v[52:53]
	ds_read_b128 v[70:73], v126 offset:112
	v_fma_f64 v[10:11], -v[54:55], v[122:123], v[10:11]
	v_fma_f64 v[10:11], -v[56:57], v[64:65], v[10:11]
	s_add_i32 s18, s16, 0x138
	v_fma_f64 v[10:11], -v[58:59], v[90:91], v[10:11]
	s_waitcnt lgkmcnt(1)
	v_mul_f64 v[52:53], v[114:115], v[52:53]
	v_add_lshl_u32 v62, s18, v0, 3
	v_fma_f64 v[10:11], -v[38:39], v[68:69], v[10:11]
	ds_write_b64 v62, v[52:53] offset:4608
	ds_read_b128 v[62:65], v126 offset:128
	ds_read_b128 v[66:69], v127 offset:112
	s_waitcnt lgkmcnt(3)
	v_fma_f64 v[10:11], -v[30:31], v[70:71], v[10:11]
	v_fma_f64 v[10:11], -v[32:33], v[96:97], v[10:11]
	ds_read_b128 v[94:97], v128 offset:112
	ds_read_b128 v[110:113], v130 offset:144
	;; [unrolled: 1-line block ×3, first 2 shown]
	ds_read_b64 v[146:147], v139 offset:152
	v_fma_f64 v[10:11], -v[40:41], v[84:85], v[10:11]
	ds_read_b128 v[82:85], v127 offset:128
	ds_read_b128 v[126:129], v130 offset:112
	s_lshl_b32 s17, s17, 3
	s_waitcnt lgkmcnt(6)
	v_fma_f64 v[10:11], -v[42:43], v[66:67], v[10:11]
	s_waitcnt lgkmcnt(5)
	v_fma_f64 v[10:11], -v[44:45], v[94:95], v[10:11]
	v_mov_b32_e32 v122, s17
	v_fma_f64 v[10:11], -v[36:37], v[76:77], v[10:11]
	ds_read_b128 v[74:77], v122 offset:112
	ds_read_b128 v[130:133], v130 offset:128
	;; [unrolled: 1-line block ×3, first 2 shown]
	s_waitcnt lgkmcnt(3)
	v_fma_f64 v[10:11], -v[18:19], v[126:127], v[10:11]
	v_fma_f64 v[10:11], -v[20:21], v[104:105], v[10:11]
	s_waitcnt lgkmcnt(2)
	v_fma_f64 v[10:11], -v[46:47], v[74:75], v[10:11]
	v_fma_f64 v[10:11], -v[52:53], v[116:117], v[10:11]
	ds_read_b128 v[114:117], v1 offset:3200
	s_waitcnt lgkmcnt(1)
	v_mul_f64 v[148:149], v[134:135], v[10:11]
	v_fma_f64 v[10:11], -v[54:55], v[124:125], v[12:13]
	v_fma_f64 v[10:11], -v[56:57], v[14:15], v[10:11]
	ds_read_b128 v[102:105], v122 offset:128
	v_fma_f64 v[14:15], -v[58:59], v[92:93], v[10:11]
	ds_read2_b64 v[10:13], v138 offset0:15 offset1:16
	v_fma_f64 v[14:15], -v[38:39], v[98:99], v[14:15]
	v_fma_f64 v[14:15], -v[30:31], v[72:73], v[14:15]
	;; [unrolled: 1-line block ×3, first 2 shown]
	s_add_i32 s17, s12, s18
	s_waitcnt lgkmcnt(0)
	v_fma_f64 v[10:11], -v[40:41], v[10:11], v[14:15]
	s_add_i32 s18, s16, 0x150
	ds_read2_b64 v[70:73], v138 offset0:17 offset1:18
	v_fma_f64 v[10:11], -v[42:43], v[68:69], v[10:11]
	ds_read2_b64 v[66:69], v139 offset0:15 offset1:16
	s_lshl_b32 s17, s17, 3
	v_add_lshl_u32 v1, s18, v0, 3
	ds_write_b64 v1, v[148:149] offset:4608
	v_fma_f64 v[10:11], -v[44:45], v[96:97], v[10:11]
	v_mov_b32_e32 v1, s17
	v_fma_f64 v[10:11], -v[36:37], v[106:107], v[10:11]
	ds_read2_b64 v[90:93], v1 offset0:15 offset1:16
	ds_read2_b64 v[94:97], v139 offset0:17 offset1:18
	v_fma_f64 v[10:11], -v[18:19], v[128:129], v[10:11]
	s_waitcnt lgkmcnt(3)
	v_fma_f64 v[10:11], -v[20:21], v[66:67], v[10:11]
	v_fma_f64 v[10:11], -v[46:47], v[76:77], v[10:11]
	s_add_i32 s17, s12, s18
	s_add_i32 s18, s9, 0xbb8
	s_waitcnt lgkmcnt(1)
	v_fma_f64 v[10:11], -v[52:53], v[90:91], v[10:11]
	v_mov_b32_e32 v14, s18
	ds_read_b128 v[74:77], v122 offset:144
	v_fma_f64 v[10:11], -v[148:149], v[136:137], v[10:11]
	ds_read_b128 v[134:137], v142 offset:128
	ds_read2_b64 v[122:125], v14 offset1:1
	s_lshl_b32 s17, s17, 3
	s_add_i32 s18, s16, 0x168
	v_mov_b32_e32 v86, s17
	ds_read_b128 v[126:129], v86 offset:128
	s_waitcnt lgkmcnt(1)
	v_mul_f64 v[98:99], v[122:123], v[10:11]
	v_add_lshl_u32 v10, s18, v0, 3
	ds_write_b64 v10, v[98:99] offset:4608
	ds_read_b128 v[138:141], v61 offset:128
	ds_read_b128 v[142:145], v142 offset:144
	v_fma_f64 v[6:7], -v[54:55], v[134:135], v[6:7]
	v_fma_f64 v[6:7], -v[56:57], v[16:17], v[6:7]
	s_add_i32 s17, s12, s18
	s_waitcnt lgkmcnt(1)
	v_fma_f64 v[6:7], -v[58:59], v[138:139], v[6:7]
	v_fma_f64 v[6:7], -v[38:39], v[100:101], v[6:7]
	;; [unrolled: 1-line block ×14, first 2 shown]
	s_add_i32 s18, s16, 0x180
	ds_read_b128 v[14:17], v61 offset:144
	ds_read2_b64 v[10:13], v60 offset0:17 offset1:18
	v_mul_f64 v[100:101], v[114:115], v[6:7]
	v_add_lshl_u32 v6, s18, v0, 3
	ds_write_b64 v6, v[100:101] offset:4608
	v_fma_f64 v[62:63], -v[54:55], v[136:137], v[8:9]
	ds_read_b64 v[102:103], v60 offset:152
	ds_read2_b64 v[6:9], v150 offset0:17 offset1:18
	s_waitcnt lgkmcnt(3)
	v_fma_f64 v[10:11], -v[56:57], v[10:11], v[62:63]
	ds_read2_b64 v[60:63], v151 offset0:17 offset1:18
	ds_read_b64 v[106:107], v150 offset:152
	v_fma_f64 v[10:11], -v[58:59], v[140:141], v[10:11]
	v_fma_f64 v[2:3], -v[54:55], v[142:143], v[2:3]
	s_waitcnt lgkmcnt(2)
	v_fma_f64 v[6:7], -v[38:39], v[6:7], v[10:11]
	v_fma_f64 v[6:7], -v[30:31], v[64:65], v[6:7]
	ds_read2_b64 v[64:67], v152 offset0:17 offset1:18
	s_waitcnt lgkmcnt(2)
	v_fma_f64 v[6:7], -v[32:33], v[60:61], v[6:7]
	ds_read_b64 v[60:61], v152 offset:152
	v_fma_f64 v[6:7], -v[40:41], v[70:71], v[6:7]
	v_fma_f64 v[6:7], -v[42:43], v[84:85], v[6:7]
	;; [unrolled: 1-line block ×3, first 2 shown]
	ds_read_b64 v[10:11], v151 offset:152
	ds_read2_b64 v[68:71], v1 offset0:17 offset1:18
	s_waitcnt lgkmcnt(3)
	v_fma_f64 v[6:7], -v[36:37], v[64:65], v[6:7]
	s_lshl_b32 s17, s17, 3
	v_fma_f64 v[6:7], -v[18:19], v[132:133], v[6:7]
	v_fma_f64 v[2:3], -v[56:57], v[12:13], v[2:3]
	v_fma_f64 v[6:7], -v[20:21], v[94:95], v[6:7]
	v_mov_b32_e32 v94, s17
	s_addk_i32 s9, 0xd48
	v_fma_f64 v[2:3], -v[58:59], v[14:15], v[2:3]
	ds_read2_b64 v[82:85], v94 offset0:17 offset1:18
	ds_read_b64 v[64:65], v1 offset:152
	v_mov_b32_e32 v1, s9
	v_fma_f64 v[2:3], -v[38:39], v[8:9], v[2:3]
	v_fma_f64 v[6:7], -v[46:47], v[104:105], v[6:7]
	ds_read_b128 v[86:89], v86 offset:144
	ds_read2_b64 v[90:93], v1 offset1:1
	v_fma_f64 v[2:3], -v[30:31], v[26:27], v[2:3]
	s_waitcnt lgkmcnt(4)
	v_fma_f64 v[6:7], -v[52:53], v[68:69], v[6:7]
	v_fma_f64 v[2:3], -v[32:33], v[62:63], v[2:3]
	;; [unrolled: 1-line block ×5, first 2 shown]
	s_waitcnt lgkmcnt(3)
	v_fma_f64 v[6:7], -v[98:99], v[82:83], v[6:7]
	s_add_i32 s17, s12, s18
	v_fma_f64 v[2:3], -v[42:43], v[22:23], v[2:3]
	v_fma_f64 v[4:5], -v[56:57], v[102:103], v[4:5]
	s_lshl_b32 s9, s17, 3
	v_fma_f64 v[6:7], -v[100:101], v[116:117], v[6:7]
	s_add_i32 s17, s16, 0x198
	v_fma_f64 v[2:3], -v[44:45], v[78:79], v[2:3]
	v_fma_f64 v[4:5], -v[58:59], v[16:17], v[4:5]
	s_waitcnt lgkmcnt(0)
	v_mul_f64 v[82:83], v[90:91], v[6:7]
	v_add_lshl_u32 v1, s17, v0, 3
	v_fma_f64 v[2:3], -v[36:37], v[66:67], v[2:3]
	v_fma_f64 v[4:5], -v[38:39], v[106:107], v[4:5]
	ds_write_b64 v1, v[82:83] offset:4608
	v_fma_f64 v[2:3], -v[18:19], v[110:111], v[2:3]
	v_mov_b32_e32 v1, s9
	v_fma_f64 v[4:5], -v[30:31], v[28:29], v[4:5]
	v_fma_f64 v[2:3], -v[20:21], v[96:97], v[2:3]
	ds_read_b128 v[6:9], v1 offset:144
	v_fma_f64 v[4:5], -v[32:33], v[10:11], v[4:5]
	v_fma_f64 v[2:3], -v[46:47], v[74:75], v[2:3]
	;; [unrolled: 1-line block ×8, first 2 shown]
	s_add_i32 s9, s12, s17
	v_fma_f64 v[4:5], -v[36:37], v[60:61], v[4:5]
	ds_read_b64 v[68:69], v94 offset:152
	s_lshl_b32 s9, s9, 3
	s_waitcnt lgkmcnt(1)
	v_fma_f64 v[2:3], -v[100:101], v[6:7], v[2:3]
	v_fma_f64 v[4:5], -v[18:19], v[112:113], v[4:5]
	v_mov_b32_e32 v1, s9
	v_fma_f64 v[2:3], -v[82:83], v[92:93], v[2:3]
	s_addk_i32 s16, 0x1b0
	v_fma_f64 v[4:5], -v[20:21], v[146:147], v[4:5]
	ds_read_b64 v[12:13], v1 offset:152
	v_mul_f64 v[2:3], v[48:49], v[2:3]
	v_add_lshl_u32 v1, s16, v0, 3
	v_fma_f64 v[4:5], -v[46:47], v[76:77], v[4:5]
	s_mul_i32 s9, s13, 0xc8
	ds_write_b64 v1, v[2:3] offset:4608
	v_fma_f64 v[4:5], -v[52:53], v[64:65], v[4:5]
	v_mov_b32_e32 v1, s9
	ds_read_b64 v[6:7], v1
	v_fma_f64 v[4:5], -v[148:149], v[88:89], v[4:5]
	s_waitcnt lgkmcnt(3)
	v_fma_f64 v[4:5], -v[98:99], v[68:69], v[4:5]
	v_fma_f64 v[4:5], -v[100:101], v[8:9], v[4:5]
	s_waitcnt lgkmcnt(2)
	v_fma_f64 v[4:5], -v[82:83], v[12:13], v[4:5]
	s_add_i32 s8, s12, 20
	v_fma_f64 v[2:3], -v[2:3], v[50:51], v[4:5]
	s_mul_i32 s13, s13, 24
	s_waitcnt lgkmcnt(0)
	v_mul_f64 v[2:3], v[6:7], v[2:3]
	v_add_lshl_u32 v1, s13, v0, 3
	s_mov_b32 s12, s8
	ds_write_b64 v1, v[2:3] offset:4608
.LBB94_49:
	s_cmp_ge_i32 s12, s30
	s_cbranch_scc1 .LBB94_60
; %bb.50:
	v_mov_b32_e32 v1, 0x1200
	s_add_i32 s8, s12, -1
	s_lshl_b32 s9, s12, 3
	v_lshl_or_b32 v1, v0, 3, v1
	s_mov_b32 s13, 0
	s_mov_b32 s16, s12
	s_branch .LBB94_52
.LBB94_51:                              ;   in Loop: Header=BB94_52 Depth=1
	s_mul_i32 s17, s12, 0xc8
	v_mov_b32_e32 v5, s17
	ds_read_b64 v[6:7], v5
	s_add_i32 s12, s12, 1
	s_add_i32 s13, s13, 1
	;; [unrolled: 1-line block ×3, first 2 shown]
	v_add_u16_e64 v5, s16, 1
	v_add_u32_e32 v4, 0x1200, v4
	s_waitcnt lgkmcnt(0)
	v_mul_f64 v[2:3], v[6:7], v[2:3]
	s_cmp_ge_i32 s12, s30
	v_readfirstlane_b32 s16, v5
	ds_write_b64 v4, v[2:3]
	s_cbranch_scc1 .LBB94_60
.LBB94_52:                              ; =>This Loop Header: Depth=1
                                        ;     Child Loop BB94_55 Depth 2
                                        ;     Child Loop BB94_59 Depth 2
	s_mul_i32 s17, s12, 24
	v_add_lshl_u32 v4, s17, v0, 3
	ds_read_b64 v[2:3], v4 offset:4608
	s_cmp_eq_u32 s12, 0
	s_cbranch_scc1 .LBB94_51
; %bb.53:                               ;   in Loop: Header=BB94_52 Depth=1
	s_add_i32 s17, s8, s13
	s_cmp_lt_u32 s17, 7
	s_cbranch_scc1 .LBB94_57
; %bb.54:                               ;   in Loop: Header=BB94_52 Depth=1
	s_and_b32 s17, s12, -8
	s_mov_b32 s18, 0
	v_mov_b32_e32 v5, v1
	s_mov_b32 s19, s9
.LBB94_55:                              ;   Parent Loop BB94_52 Depth=1
                                        ; =>  This Inner Loop Header: Depth=2
	ds_read2_b64 v[6:9], v5 offset1:24
	v_mov_b32_e32 v34, s19
	ds_read2_b64 v[10:13], v5 offset0:48 offset1:72
	ds_read2_b64 v[14:17], v5 offset0:96 offset1:120
	;; [unrolled: 1-line block ×3, first 2 shown]
	ds_read2_b64 v[22:25], v34 offset1:24
	ds_read2_b64 v[26:29], v34 offset0:48 offset1:72
	ds_read2_b64 v[30:33], v34 offset0:96 offset1:120
	;; [unrolled: 1-line block ×3, first 2 shown]
	s_add_i32 s18, s18, 8
	s_waitcnt lgkmcnt(3)
	v_fma_f64 v[2:3], -v[6:7], v[22:23], v[2:3]
	v_fma_f64 v[2:3], -v[8:9], v[24:25], v[2:3]
	s_waitcnt lgkmcnt(2)
	v_fma_f64 v[2:3], -v[10:11], v[26:27], v[2:3]
	v_fma_f64 v[2:3], -v[12:13], v[28:29], v[2:3]
	;; [unrolled: 3-line block ×3, first 2 shown]
	s_addk_i32 s19, 0x600
	s_waitcnt lgkmcnt(0)
	v_fma_f64 v[2:3], -v[18:19], v[34:35], v[2:3]
	v_add_u32_e32 v5, 0x600, v5
	s_cmp_lg_u32 s17, s18
	v_fma_f64 v[2:3], -v[20:21], v[36:37], v[2:3]
	s_cbranch_scc1 .LBB94_55
; %bb.56:                               ;   in Loop: Header=BB94_52 Depth=1
	s_and_b32 s18, s12, 7
	s_cmp_eq_u32 s18, 0
	s_cbranch_scc0 .LBB94_58
	s_branch .LBB94_51
.LBB94_57:                              ;   in Loop: Header=BB94_52 Depth=1
	s_mov_b32 s17, 0
	s_and_b32 s18, s12, 7
	s_cmp_eq_u32 s18, 0
	s_cbranch_scc1 .LBB94_51
.LBB94_58:                              ;   in Loop: Header=BB94_52 Depth=1
	s_and_b32 s18, s16, 7
	s_mulk_i32 s17, 0xc0
.LBB94_59:                              ;   Parent Loop BB94_52 Depth=1
                                        ; =>  This Inner Loop Header: Depth=2
	v_add_u32_e32 v5, s17, v1
	s_add_i32 s19, s9, s17
	ds_read_b64 v[6:7], v5
	v_mov_b32_e32 v5, s19
	ds_read_b64 v[8:9], v5
	s_addk_i32 s17, 0xc0
	s_add_i32 s18, s18, -1
	s_cmp_lg_u32 s18, 0
	s_waitcnt lgkmcnt(0)
	v_fma_f64 v[2:3], -v[6:7], v[8:9], v[2:3]
	s_cbranch_scc1 .LBB94_59
	s_branch .LBB94_51
.LBB94_60:
	s_waitcnt lgkmcnt(0)
	; wave barrier
	s_waitcnt lgkmcnt(0)
	s_and_saveexec_b64 s[8:9], s[14:15]
	s_cbranch_execz .LBB94_67
; %bb.61:
	s_cmp_lt_i32 s10, 8
	s_mov_b32 s8, 0
	s_cbranch_scc1 .LBB94_64
; %bb.62:
	v_mad_i64_i32 v[2:3], s[8:9], s22, v0, 0
	v_lshlrev_b64 v[2:3], 3, v[2:3]
	v_mov_b32_e32 v4, s24
	v_add_co_u32_e32 v1, vcc, s11, v2
	v_addc_co_u32_e32 v2, vcc, v4, v3, vcc
	v_mov_b32_e32 v3, 0x1200
	s_lshl_b32 s8, s30, 3
	v_lshl_or_b32 v3, v0, 3, v3
	s_and_b32 s9, s8, 0xc0
	s_mov_b32 s8, 0
	s_mov_b64 s[10:11], 0
.LBB94_63:                              ; =>This Inner Loop Header: Depth=1
	ds_read2_b64 v[4:7], v3 offset1:24
	ds_read2_b64 v[8:11], v3 offset0:48 offset1:72
	ds_read2_b64 v[12:15], v3 offset0:96 offset1:120
	;; [unrolled: 1-line block ×3, first 2 shown]
	s_add_i32 s8, s8, 8
	v_add_co_u32_e32 v20, vcc, s10, v1
	s_add_u32 s10, s10, 64
	v_mov_b32_e32 v21, s11
	s_addc_u32 s11, s11, 0
	v_add_u32_e32 v3, 0x600, v3
	v_addc_co_u32_e32 v21, vcc, v2, v21, vcc
	s_cmp_lg_u32 s9, s10
	s_waitcnt lgkmcnt(3)
	global_store_dwordx4 v[20:21], v[4:7], off
	s_waitcnt lgkmcnt(2)
	global_store_dwordx4 v[20:21], v[8:11], off offset:16
	s_waitcnt lgkmcnt(1)
	global_store_dwordx4 v[20:21], v[12:15], off offset:32
	;; [unrolled: 2-line block ×3, first 2 shown]
	s_cbranch_scc1 .LBB94_63
.LBB94_64:
	s_and_b32 s10, s30, 7
	s_cmp_eq_u32 s10, 0
	s_mov_b32 s9, 0
	s_cbranch_scc1 .LBB94_67
; %bb.65:
	s_lshl_b64 s[6:7], s[6:7], 3
	v_lshlrev_b32_e32 v1, 3, v0
	v_mov_b32_e32 v2, s7
	v_add_co_u32_e32 v1, vcc, s6, v1
	s_lshl_b64 s[6:7], s[8:9], 3
	s_add_u32 s2, s2, s6
	s_addc_u32 s3, s3, s7
	s_add_u32 s2, s2, s4
	s_addc_u32 s3, s3, s5
	;; [unrolled: 2-line block ×3, first 2 shown]
	v_addc_co_u32_e32 v4, vcc, 0, v2, vcc
	v_pk_mov_b32 v[2:3], s[0:1], s[0:1] op_sel:[0,1]
	v_mad_u64_u32 v[2:3], s[0:1], v1, s22, v[2:3]
	s_mul_i32 s0, s8, 0xc0
	v_mul_lo_u32 v1, v1, s23
	v_mul_lo_u32 v4, v4, s22
	v_lshl_add_u32 v0, v0, 3, s0
	v_add3_u32 v3, v4, v3, v1
	v_add_u32_e32 v0, 0x1200, v0
.LBB94_66:                              ; =>This Inner Loop Header: Depth=1
	ds_read_b64 v[4:5], v0
	s_add_i32 s10, s10, -1
	v_add_u32_e32 v0, 0xc0, v0
	s_cmp_lg_u32 s10, 0
	s_waitcnt lgkmcnt(0)
	global_store_dwordx2 v[2:3], v[4:5], off
	v_add_co_u32_e32 v2, vcc, 8, v2
	v_addc_co_u32_e32 v3, vcc, 0, v3, vcc
	s_cbranch_scc1 .LBB94_66
.LBB94_67:
	s_endpgm
	.section	.rodata,"a",@progbits
	.p2align	6, 0x0
	.amdhsa_kernel _ZL38rocblas_trsm_small_left_device_sharedBILi24ELi24ELb1EddPKdPdEv13rocblas_fill_18rocblas_operation_17rocblas_diagonal_iiT3_T4_lilT5_lili
		.amdhsa_group_segment_fixed_size 9216
		.amdhsa_private_segment_fixed_size 0
		.amdhsa_kernarg_size 360
		.amdhsa_user_sgpr_count 6
		.amdhsa_user_sgpr_private_segment_buffer 1
		.amdhsa_user_sgpr_dispatch_ptr 0
		.amdhsa_user_sgpr_queue_ptr 0
		.amdhsa_user_sgpr_kernarg_segment_ptr 1
		.amdhsa_user_sgpr_dispatch_id 0
		.amdhsa_user_sgpr_flat_scratch_init 0
		.amdhsa_user_sgpr_kernarg_preload_length 0
		.amdhsa_user_sgpr_kernarg_preload_offset 0
		.amdhsa_user_sgpr_private_segment_size 0
		.amdhsa_uses_dynamic_stack 0
		.amdhsa_system_sgpr_private_segment_wavefront_offset 0
		.amdhsa_system_sgpr_workgroup_id_x 1
		.amdhsa_system_sgpr_workgroup_id_y 0
		.amdhsa_system_sgpr_workgroup_id_z 1
		.amdhsa_system_sgpr_workgroup_info 0
		.amdhsa_system_vgpr_workitem_id 0
		.amdhsa_next_free_vgpr 168
		.amdhsa_next_free_sgpr 43
		.amdhsa_accum_offset 168
		.amdhsa_reserve_vcc 1
		.amdhsa_reserve_flat_scratch 0
		.amdhsa_float_round_mode_32 0
		.amdhsa_float_round_mode_16_64 0
		.amdhsa_float_denorm_mode_32 3
		.amdhsa_float_denorm_mode_16_64 3
		.amdhsa_dx10_clamp 1
		.amdhsa_ieee_mode 1
		.amdhsa_fp16_overflow 0
		.amdhsa_tg_split 0
		.amdhsa_exception_fp_ieee_invalid_op 0
		.amdhsa_exception_fp_denorm_src 0
		.amdhsa_exception_fp_ieee_div_zero 0
		.amdhsa_exception_fp_ieee_overflow 0
		.amdhsa_exception_fp_ieee_underflow 0
		.amdhsa_exception_fp_ieee_inexact 0
		.amdhsa_exception_int_div_zero 0
	.end_amdhsa_kernel
	.section	.text._ZL38rocblas_trsm_small_left_device_sharedBILi24ELi24ELb1EddPKdPdEv13rocblas_fill_18rocblas_operation_17rocblas_diagonal_iiT3_T4_lilT5_lili,"axG",@progbits,_ZL38rocblas_trsm_small_left_device_sharedBILi24ELi24ELb1EddPKdPdEv13rocblas_fill_18rocblas_operation_17rocblas_diagonal_iiT3_T4_lilT5_lili,comdat
.Lfunc_end94:
	.size	_ZL38rocblas_trsm_small_left_device_sharedBILi24ELi24ELb1EddPKdPdEv13rocblas_fill_18rocblas_operation_17rocblas_diagonal_iiT3_T4_lilT5_lili, .Lfunc_end94-_ZL38rocblas_trsm_small_left_device_sharedBILi24ELi24ELb1EddPKdPdEv13rocblas_fill_18rocblas_operation_17rocblas_diagonal_iiT3_T4_lilT5_lili
                                        ; -- End function
	.section	.AMDGPU.csdata,"",@progbits
; Kernel info:
; codeLenInByte = 23140
; NumSgprs: 47
; NumVgprs: 168
; NumAgprs: 0
; TotalNumVgprs: 168
; ScratchSize: 0
; MemoryBound: 0
; FloatMode: 240
; IeeeMode: 1
; LDSByteSize: 9216 bytes/workgroup (compile time only)
; SGPRBlocks: 5
; VGPRBlocks: 20
; NumSGPRsForWavesPerEU: 47
; NumVGPRsForWavesPerEU: 168
; AccumOffset: 168
; Occupancy: 2
; WaveLimiterHint : 0
; COMPUTE_PGM_RSRC2:SCRATCH_EN: 0
; COMPUTE_PGM_RSRC2:USER_SGPR: 6
; COMPUTE_PGM_RSRC2:TRAP_HANDLER: 0
; COMPUTE_PGM_RSRC2:TGID_X_EN: 1
; COMPUTE_PGM_RSRC2:TGID_Y_EN: 0
; COMPUTE_PGM_RSRC2:TGID_Z_EN: 1
; COMPUTE_PGM_RSRC2:TIDIG_COMP_CNT: 0
; COMPUTE_PGM_RSRC3_GFX90A:ACCUM_OFFSET: 41
; COMPUTE_PGM_RSRC3_GFX90A:TG_SPLIT: 0
	.section	.text._ZL30rocblas_trsm_small_left_deviceILi24ELi24ELb1EddPKdPdEv13rocblas_fill_18rocblas_operation_17rocblas_diagonal_iiT3_T4_lilT5_lili,"axG",@progbits,_ZL30rocblas_trsm_small_left_deviceILi24ELi24ELb1EddPKdPdEv13rocblas_fill_18rocblas_operation_17rocblas_diagonal_iiT3_T4_lilT5_lili,comdat
	.globl	_ZL30rocblas_trsm_small_left_deviceILi24ELi24ELb1EddPKdPdEv13rocblas_fill_18rocblas_operation_17rocblas_diagonal_iiT3_T4_lilT5_lili ; -- Begin function _ZL30rocblas_trsm_small_left_deviceILi24ELi24ELb1EddPKdPdEv13rocblas_fill_18rocblas_operation_17rocblas_diagonal_iiT3_T4_lilT5_lili
	.p2align	8
	.type	_ZL30rocblas_trsm_small_left_deviceILi24ELi24ELb1EddPKdPdEv13rocblas_fill_18rocblas_operation_17rocblas_diagonal_iiT3_T4_lilT5_lili,@function
_ZL30rocblas_trsm_small_left_deviceILi24ELi24ELb1EddPKdPdEv13rocblas_fill_18rocblas_operation_17rocblas_diagonal_iiT3_T4_lilT5_lili: ; @_ZL30rocblas_trsm_small_left_deviceILi24ELi24ELb1EddPKdPdEv13rocblas_fill_18rocblas_operation_17rocblas_diagonal_iiT3_T4_lilT5_lili
; %bb.0:
	s_load_dwordx4 s[12:15], s[4:5], 0x4
	s_load_dwordx4 s[0:3], s[4:5], 0x18
	s_load_dwordx2 s[24:25], s[4:5], 0x28
	s_load_dwordx4 s[8:11], s[4:5], 0x38
	s_load_dwordx2 s[20:21], s[4:5], 0x48
	s_waitcnt lgkmcnt(0)
	s_min_i32 s16, s14, 24
	s_mov_b32 s17, 0
	s_add_i32 s18, s16, -1
	v_cmp_gt_i32_e32 vcc, s16, v0
	s_and_saveexec_b64 s[22:23], vcc
	s_cbranch_execz .LBB95_10
; %bb.1:
	s_load_dword s26, s[4:5], 0x30
	s_mul_i32 s9, s7, s9
	s_mul_hi_u32 s19, s7, s8
	s_add_i32 s9, s19, s9
	s_mul_i32 s8, s7, s8
	s_waitcnt lgkmcnt(0)
	s_ashr_i32 s27, s26, 31
	s_cmp_lt_u32 s18, 3
	v_lshlrev_b32_e32 v1, 3, v0
	s_cbranch_scc1 .LBB95_4
; %bb.2:
	s_lshl_b64 s[28:29], s[8:9], 3
	s_add_u32 s17, s2, s28
	s_addc_u32 s19, s3, s29
	s_lshl_b64 s[28:29], s[24:25], 3
	s_add_u32 s17, s17, s28
	s_addc_u32 s19, s19, s29
	v_mov_b32_e32 v3, s19
	v_add_co_u32_e32 v2, vcc, s17, v1
	s_mul_hi_i32 s36, s26, 24
	s_lshl_b64 s[28:29], s[26:27], 5
	s_lshl_b64 s[30:31], s[26:27], 4
	;; [unrolled: 1-line block ×3, first 2 shown]
	v_addc_co_u32_e32 v3, vcc, 0, v3, vcc
	s_and_b32 s17, s16, -4
	s_mul_i32 s19, s26, 24
	s_mov_b32 s33, 0
	v_mov_b32_e32 v4, s35
	v_mov_b32_e32 v5, s31
	;; [unrolled: 1-line block ×5, first 2 shown]
.LBB95_3:                               ; =>This Inner Loop Header: Depth=1
	v_add_co_u32_e32 v12, vcc, s34, v2
	v_addc_co_u32_e32 v13, vcc, v3, v4, vcc
	v_add_co_u32_e32 v14, vcc, s30, v2
	v_addc_co_u32_e32 v15, vcc, v3, v5, vcc
	v_add_co_u32_e32 v16, vcc, s19, v2
	global_load_dwordx2 v[10:11], v[2:3], off
	v_addc_co_u32_e32 v17, vcc, v3, v6, vcc
	global_load_dwordx2 v[18:19], v[12:13], off
	global_load_dwordx2 v[20:21], v[14:15], off
	;; [unrolled: 1-line block ×3, first 2 shown]
	s_add_i32 s33, s33, 4
	v_add_co_u32_e32 v2, vcc, s28, v2
	v_addc_co_u32_e32 v3, vcc, v3, v7, vcc
	s_cmp_eq_u32 s17, s33
	s_waitcnt vmcnt(2)
	ds_write2_b64 v8, v[10:11], v[18:19] offset1:24
	s_waitcnt vmcnt(0)
	ds_write2_b64 v8, v[20:21], v[22:23] offset0:48 offset1:72
	v_add_u32_e32 v8, 0x300, v8
	s_cbranch_scc0 .LBB95_3
.LBB95_4:
	s_and_b32 s19, s16, 3
	s_cmp_eq_u32 s19, 0
	s_cbranch_scc1 .LBB95_7
; %bb.5:
	s_mul_i32 s28, s17, 0xc0
	v_lshl_add_u32 v4, v0, 3, s28
	s_mul_i32 s28, s27, s17
	s_mul_hi_u32 s29, s26, s17
	s_add_i32 s29, s29, s28
	s_mul_i32 s28, s26, s17
	s_lshl_b64 s[8:9], s[8:9], 3
	s_lshl_b64 s[28:29], s[28:29], 3
	s_add_u32 s17, s8, s28
	s_addc_u32 s28, s9, s29
	s_lshl_b64 s[8:9], s[24:25], 3
	s_add_u32 s8, s17, s8
	s_addc_u32 s9, s28, s9
	s_add_u32 s2, s2, s8
	s_addc_u32 s3, s3, s9
	v_mov_b32_e32 v3, s3
	v_add_co_u32_e32 v2, vcc, s2, v1
	s_lshl_b64 s[2:3], s[26:27], 3
	v_addc_co_u32_e32 v3, vcc, 0, v3, vcc
	v_mov_b32_e32 v1, s3
.LBB95_6:                               ; =>This Inner Loop Header: Depth=1
	global_load_dwordx2 v[6:7], v[2:3], off
	v_add_co_u32_e32 v2, vcc, s2, v2
	s_add_i32 s19, s19, -1
	v_addc_co_u32_e32 v3, vcc, v3, v1, vcc
	s_cmp_lg_u32 s19, 0
	s_waitcnt vmcnt(0)
	ds_write_b64 v4, v[6:7]
	v_add_u32_e32 v4, 0xc0, v4
	s_cbranch_scc1 .LBB95_6
.LBB95_7:
	v_mul_u32_u24_e32 v1, 25, v0
	v_mov_b32_e32 v2, 0
	s_cmpk_lg_i32 s13, 0x84
	v_lshlrev_b32_e32 v1, 3, v1
	v_mov_b32_e32 v3, 0x3ff00000
	s_cbranch_scc0 .LBB95_9
; %bb.8:
	ds_read_b64 v[2:3], v1
	s_waitcnt lgkmcnt(0)
	v_div_scale_f64 v[4:5], s[2:3], v[2:3], v[2:3], 1.0
	v_rcp_f64_e32 v[6:7], v[4:5]
	v_div_scale_f64 v[8:9], vcc, 1.0, v[2:3], 1.0
	v_fma_f64 v[10:11], -v[4:5], v[6:7], 1.0
	v_fmac_f64_e32 v[6:7], v[6:7], v[10:11]
	v_fma_f64 v[10:11], -v[4:5], v[6:7], 1.0
	v_fmac_f64_e32 v[6:7], v[6:7], v[10:11]
	v_mul_f64 v[10:11], v[8:9], v[6:7]
	v_fma_f64 v[4:5], -v[4:5], v[10:11], v[8:9]
	v_div_fmas_f64 v[4:5], v[4:5], v[6:7], v[10:11]
	v_div_fixup_f64 v[2:3], v[4:5], v[2:3], 1.0
.LBB95_9:
	ds_write_b64 v1, v[2:3]
.LBB95_10:
	s_or_b64 exec, exec, s[22:23]
	s_load_dword s2, s[4:5], 0x68
	s_mul_i32 s3, s6, 0xffffffe8
	s_add_i32 s3, s3, s15
	s_waitcnt lgkmcnt(0)
	; wave barrier
	s_waitcnt lgkmcnt(0)
	s_add_i32 s2, s2, -1
	s_cmp_ge_u32 s6, s2
	s_cselect_b32 s2, s3, 24
	v_cmp_gt_i32_e32 vcc, s2, v0
	s_and_saveexec_b64 s[2:3], vcc
	s_cbranch_execz .LBB95_54
; %bb.11:
	s_load_dwordx2 s[2:3], s[4:5], 0x58
	s_load_dword s8, s[4:5], 0x50
	s_waitcnt lgkmcnt(0)
	s_mul_i32 s3, s7, s3
	s_mul_hi_u32 s4, s7, s2
	s_mul_i32 s2, s7, s2
	s_add_i32 s3, s4, s3
	s_lshl_b64 s[2:3], s[2:3], 3
	s_add_u32 s7, s10, s2
	s_addc_u32 s9, s11, s3
	s_lshl_b64 s[4:5], s[20:21], 3
	s_add_u32 s13, s7, s4
	v_mad_u64_u32 v[0:1], s[6:7], s6, 24, v[0:1]
	v_mad_i64_i32 v[0:1], s[6:7], s8, v0, 0
	s_addc_u32 s9, s9, s5
	v_lshlrev_b64 v[88:89], 3, v[0:1]
	v_mov_b32_e32 v0, s9
	v_add_co_u32_e32 v86, vcc, s13, v88
	v_addc_co_u32_e32 v87, vcc, v0, v89, vcc
	s_cmpk_eq_i32 s12, 0x6f
	s_mov_b64 s[6:7], -1
	s_cbranch_scc1 .LBB95_34
; %bb.12:
	s_cmp_gt_i32 s14, 23
	s_mov_b32 s6, s18
	s_cbranch_scc0 .LBB95_14
; %bb.13:
	s_ashr_i32 s19, s18, 31
	s_lshl_b64 s[6:7], s[18:19], 3
	v_mov_b32_e32 v0, s7
	v_add_co_u32_e32 v12, vcc, s6, v86
	v_addc_co_u32_e32 v13, vcc, v87, v0, vcc
	global_load_dwordx2 v[14:15], v[12:13], off
	s_mov_b32 s17, 0
	s_lshl_b64 s[6:7], s[16:17], 3
	v_mov_b32_e32 v0, s7
	v_add_co_u32_e32 v44, vcc, s6, v86
	v_addc_co_u32_e32 v45, vcc, v87, v0, vcc
	global_load_dwordx2 v[48:49], v[44:45], off offset:-16
	global_load_dwordx4 v[8:11], v[44:45], off offset:-32
	global_load_dwordx4 v[0:3], v[44:45], off offset:-48
	global_load_dwordx4 v[50:53], v[44:45], off offset:-64
	s_mul_i32 s7, s18, 0xc8
	s_add_i32 s8, s7, 0xffffff38
	v_mov_b32_e32 v4, s7
	v_mov_b32_e32 v5, s8
	ds_read_b64 v[46:47], v4
	ds_read2_b64 v[54:57], v5 offset1:1
	global_load_dwordx4 v[16:19], v[44:45], off offset:-80
	global_load_dwordx4 v[20:23], v[44:45], off offset:-96
	;; [unrolled: 1-line block ×8, first 2 shown]
	s_mul_i32 s6, s16, 24
	s_ashr_i32 s17, s16, 31
	s_add_i32 s6, s6, s18
	s_add_i32 s12, s7, 0xfffffe70
	;; [unrolled: 1-line block ×4, first 2 shown]
	s_lshl_b64 s[8:9], s[16:17], 3
	s_lshl_b32 s6, s6, 3
	v_mov_b32_e32 v58, s12
	v_mov_b32_e32 v66, s13
	;; [unrolled: 1-line block ×4, first 2 shown]
	s_add_i32 s9, s6, 0xfffffdc0
	s_add_i32 s12, s6, 0xfffffcf8
	s_add_i32 s13, s6, 0xfffffc40
	s_add_i32 s15, s6, 0xfffffc30
	s_add_i32 s17, s6, 0xfffffb78
	v_add_co_u32_e32 v44, vcc, s8, v86
	v_addc_co_u32_e32 v45, vcc, v87, v59, vcc
	v_mov_b32_e32 v59, s9
	v_mov_b32_e32 v62, s12
	;; [unrolled: 1-line block ×5, first 2 shown]
	ds_read_b64 v[82:83], v59
	ds_read2_b64 v[58:61], v58 offset1:1
	ds_read2_b64 v[62:65], v62 offset1:1
	;; [unrolled: 1-line block ×3, first 2 shown]
	ds_read_b64 v[84:85], v70
	ds_read2_b64 v[70:73], v71 offset1:1
	ds_read2_b64 v[74:77], v74 offset1:1
	;; [unrolled: 1-line block ×3, first 2 shown]
	s_add_i32 s20, s6, 0xfffffb68
	v_mov_b32_e32 v90, s20
	s_add_i32 s19, s7, 0xfffffc18
	s_add_i32 s8, s6, 0xfffffac0
	s_waitcnt vmcnt(12)
	v_mul_f64 v[14:15], v[14:15], s[0:1]
	s_waitcnt lgkmcnt(9)
	v_mul_f64 v[46:47], v[46:47], v[14:15]
	global_store_dwordx2 v[12:13], v[46:47], off
	s_waitcnt lgkmcnt(8)
	v_mul_f64 v[12:13], v[46:47], v[56:57]
	s_waitcnt lgkmcnt(7)
	v_mul_f64 v[14:15], v[46:47], v[82:83]
	;; [unrolled: 2-line block ×3, first 2 shown]
	s_waitcnt vmcnt(12)
	v_fma_f64 v[12:13], v[48:49], s[0:1], -v[12:13]
	s_waitcnt vmcnt(11)
	v_fma_f64 v[10:11], v[10:11], s[0:1], -v[14:15]
	v_mul_f64 v[48:49], v[54:55], v[12:13]
	ds_read2_b64 v[12:15], v90 offset1:1
	s_waitcnt lgkmcnt(4)
	v_mul_f64 v[64:65], v[46:47], v[84:85]
	v_fma_f64 v[8:9], v[8:9], s[0:1], -v[56:57]
	v_fma_f64 v[10:11], -v[48:49], v[60:61], v[10:11]
	v_mov_b32_e32 v54, s19
	ds_read2_b64 v[54:57], v54 offset1:1
	s_waitcnt lgkmcnt(2)
	v_mul_f64 v[80:81], v[46:47], v[80:81]
	s_waitcnt vmcnt(10)
	v_fma_f64 v[2:3], v[2:3], s[0:1], -v[64:65]
	v_fma_f64 v[8:9], -v[48:49], v[62:63], v[8:9]
	v_mul_f64 v[10:11], v[58:59], v[10:11]
	v_fma_f64 v[2:3], -v[48:49], v[72:73], v[2:3]
	v_fma_f64 v[8:9], -v[10:11], v[68:69], v[8:9]
	v_fma_f64 v[0:1], v[0:1], s[0:1], -v[80:81]
	v_fma_f64 v[2:3], -v[10:11], v[70:71], v[2:3]
	v_mul_f64 v[8:9], v[66:67], v[8:9]
	v_fma_f64 v[0:1], -v[48:49], v[78:79], v[0:1]
	v_fma_f64 v[2:3], -v[8:9], v[76:77], v[2:3]
	s_waitcnt lgkmcnt(1)
	v_fma_f64 v[0:1], -v[10:11], v[14:15], v[0:1]
	v_mul_f64 v[2:3], v[74:75], v[2:3]
	v_fma_f64 v[0:1], -v[8:9], v[12:13], v[0:1]
	s_waitcnt lgkmcnt(0)
	v_fma_f64 v[0:1], -v[2:3], v[56:57], v[0:1]
	v_mov_b32_e32 v12, s8
	v_mul_f64 v[0:1], v[54:55], v[0:1]
	ds_read_b64 v[54:55], v12
	s_add_i32 s8, s6, 0xfffffab8
	v_mov_b32_e32 v12, s8
	s_add_i32 s8, s6, 0xfffffaa8
	global_store_dwordx2 v[44:45], v[48:49], off offset:-16
	global_store_dwordx4 v[44:45], v[8:11], off offset:-32
	v_mov_b32_e32 v13, s8
	ds_read_b64 v[56:57], v12
	ds_read2_b64 v[12:15], v13 offset1:1
	s_waitcnt lgkmcnt(2)
	v_mul_f64 v[54:55], v[46:47], v[54:55]
	s_waitcnt vmcnt(11)
	v_fma_f64 v[52:53], v[52:53], s[0:1], -v[54:55]
	s_add_i32 s8, s6, 0xfffffa98
	s_waitcnt lgkmcnt(1)
	v_fma_f64 v[52:53], -v[48:49], v[56:57], v[52:53]
	s_waitcnt lgkmcnt(0)
	v_fma_f64 v[14:15], -v[10:11], v[14:15], v[52:53]
	v_mov_b32_e32 v52, s8
	ds_read2_b64 v[52:55], v52 offset1:1
	s_add_i32 s8, s7, 0xfffffb50
	v_mov_b32_e32 v56, s8
	s_add_i32 s8, s6, 0xfffffa00
	v_mov_b32_e32 v58, s8
	ds_read_b64 v[56:57], v56
	ds_read_b64 v[58:59], v58
	v_fma_f64 v[12:13], -v[8:9], v[12:13], v[14:15]
	s_waitcnt lgkmcnt(2)
	v_fma_f64 v[12:13], -v[2:3], v[54:55], v[12:13]
	s_add_i32 s8, s6, 0xfffff9f0
	v_fma_f64 v[12:13], -v[0:1], v[52:53], v[12:13]
	v_mov_b32_e32 v52, s8
	ds_read2_b64 v[52:55], v52 offset1:1
	s_waitcnt lgkmcnt(2)
	v_mul_f64 v[14:15], v[56:57], v[12:13]
	s_waitcnt lgkmcnt(1)
	v_mul_f64 v[12:13], v[46:47], v[58:59]
	s_add_i32 s8, s6, 0xfffff9e0
	v_fma_f64 v[12:13], v[50:51], s[0:1], -v[12:13]
	v_mov_b32_e32 v50, s8
	ds_read2_b64 v[56:59], v50 offset1:1
	s_add_i32 s8, s6, 0xfffff9d0
	s_waitcnt lgkmcnt(1)
	v_fma_f64 v[12:13], -v[48:49], v[54:55], v[12:13]
	v_mov_b32_e32 v50, s8
	v_fma_f64 v[12:13], -v[10:11], v[52:53], v[12:13]
	ds_read2_b64 v[50:53], v50 offset1:1
	s_add_i32 s8, s7, 0xfffffa88
	v_mov_b32_e32 v54, s8
	ds_read_b64 v[54:55], v54
	s_waitcnt lgkmcnt(2)
	v_fma_f64 v[12:13], -v[8:9], v[58:59], v[12:13]
	v_fma_f64 v[12:13], -v[2:3], v[56:57], v[12:13]
	s_waitcnt lgkmcnt(1)
	v_fma_f64 v[12:13], -v[0:1], v[52:53], v[12:13]
	s_add_i32 s8, s6, 0xfffff940
	v_fma_f64 v[12:13], -v[14:15], v[50:51], v[12:13]
	v_mov_b32_e32 v50, s8
	s_waitcnt lgkmcnt(0)
	v_mul_f64 v[12:13], v[54:55], v[12:13]
	ds_read_b64 v[54:55], v50
	s_add_i32 s8, s6, 0xfffff938
	v_mov_b32_e32 v50, s8
	s_add_i32 s8, s6, 0xfffff928
	global_store_dwordx4 v[44:45], v[0:3], off offset:-48
	v_mov_b32_e32 v51, s8
	ds_read_b64 v[56:57], v50
	ds_read2_b64 v[50:53], v51 offset1:1
	s_waitcnt lgkmcnt(2)
	v_mul_f64 v[54:55], v[46:47], v[54:55]
	s_waitcnt vmcnt(11)
	v_fma_f64 v[18:19], v[18:19], s[0:1], -v[54:55]
	s_add_i32 s8, s6, 0xfffff918
	s_waitcnt lgkmcnt(1)
	v_fma_f64 v[18:19], -v[48:49], v[56:57], v[18:19]
	s_waitcnt lgkmcnt(0)
	v_fma_f64 v[18:19], -v[10:11], v[52:53], v[18:19]
	v_fma_f64 v[18:19], -v[8:9], v[50:51], v[18:19]
	v_mov_b32_e32 v50, s8
	s_add_i32 s8, s6, 0xfffff908
	global_store_dwordx4 v[44:45], v[12:15], off offset:-64
	v_mov_b32_e32 v54, s8
	ds_read2_b64 v[50:53], v50 offset1:1
	ds_read2_b64 v[54:57], v54 offset1:1
	s_add_i32 s8, s7, 0xfffff9c0
	v_mov_b32_e32 v58, s8
	ds_read_b64 v[58:59], v58
	s_waitcnt lgkmcnt(2)
	v_fma_f64 v[18:19], -v[2:3], v[52:53], v[18:19]
	v_fma_f64 v[18:19], -v[0:1], v[50:51], v[18:19]
	s_waitcnt lgkmcnt(1)
	v_fma_f64 v[18:19], -v[14:15], v[56:57], v[18:19]
	s_add_i32 s8, s6, 0xfffff880
	v_fma_f64 v[18:19], -v[12:13], v[54:55], v[18:19]
	v_mov_b32_e32 v50, s8
	s_waitcnt lgkmcnt(0)
	v_mul_f64 v[18:19], v[58:59], v[18:19]
	ds_read_b64 v[58:59], v50
	s_add_i32 s8, s6, 0xfffff870
	v_mov_b32_e32 v50, s8
	ds_read2_b64 v[50:53], v50 offset1:1
	s_add_i32 s8, s6, 0xfffff860
	s_waitcnt lgkmcnt(1)
	v_mul_f64 v[58:59], v[46:47], v[58:59]
	v_mov_b32_e32 v54, s8
	ds_read2_b64 v[54:57], v54 offset1:1
	v_fma_f64 v[16:17], v[16:17], s[0:1], -v[58:59]
	s_waitcnt lgkmcnt(1)
	v_fma_f64 v[16:17], -v[48:49], v[52:53], v[16:17]
	s_add_i32 s8, s6, 0xfffff850
	v_fma_f64 v[16:17], -v[10:11], v[50:51], v[16:17]
	v_mov_b32_e32 v50, s8
	ds_read2_b64 v[50:53], v50 offset1:1
	s_waitcnt lgkmcnt(1)
	v_fma_f64 v[16:17], -v[8:9], v[56:57], v[16:17]
	s_add_i32 s8, s6, 0xfffff840
	v_fma_f64 v[16:17], -v[2:3], v[54:55], v[16:17]
	v_mov_b32_e32 v54, s8
	ds_read2_b64 v[54:57], v54 offset1:1
	s_waitcnt lgkmcnt(1)
	v_fma_f64 v[16:17], -v[0:1], v[52:53], v[16:17]
	s_addk_i32 s7, 0xf8f8
	v_fma_f64 v[16:17], -v[14:15], v[50:51], v[16:17]
	v_mov_b32_e32 v50, s7
	s_add_i32 s7, s6, 0xfffff7c0
	v_mov_b32_e32 v52, s7
	ds_read_b64 v[50:51], v50
	ds_read_b64 v[52:53], v52
	s_waitcnt lgkmcnt(2)
	v_fma_f64 v[16:17], -v[12:13], v[56:57], v[16:17]
	v_fma_f64 v[16:17], -v[18:19], v[54:55], v[16:17]
	s_add_i32 s7, s6, 0xfffff7b8
	s_waitcnt lgkmcnt(1)
	v_mul_f64 v[16:17], v[50:51], v[16:17]
	s_waitcnt lgkmcnt(0)
	v_mul_f64 v[50:51], v[46:47], v[52:53]
	v_mov_b32_e32 v52, s7
	ds_read_b64 v[54:55], v52
	s_add_i32 s7, s6, 0xfffff7a8
	s_waitcnt vmcnt(11)
	v_fma_f64 v[22:23], v[22:23], s[0:1], -v[50:51]
	v_mov_b32_e32 v50, s7
	ds_read2_b64 v[50:53], v50 offset1:1
	s_add_i32 s7, s6, 0xfffff798
	s_waitcnt lgkmcnt(1)
	v_fma_f64 v[22:23], -v[48:49], v[54:55], v[22:23]
	v_mov_b32_e32 v54, s7
	ds_read2_b64 v[54:57], v54 offset1:1
	s_add_i32 s7, s6, 0xfffff788
	v_mov_b32_e32 v58, s7
	ds_read2_b64 v[58:61], v58 offset1:1
	s_waitcnt lgkmcnt(2)
	v_fma_f64 v[22:23], -v[10:11], v[52:53], v[22:23]
	s_add_i32 s7, s6, 0xfffff778
	v_fma_f64 v[22:23], -v[8:9], v[50:51], v[22:23]
	v_mov_b32_e32 v50, s7
	ds_read2_b64 v[50:53], v50 offset1:1
	s_mul_i32 s7, s16, 0xc8
	s_waitcnt lgkmcnt(2)
	v_fma_f64 v[22:23], -v[2:3], v[56:57], v[22:23]
	s_add_i32 s8, s7, 0xfffff768
	v_fma_f64 v[22:23], -v[0:1], v[54:55], v[22:23]
	v_mov_b32_e32 v54, s8
	s_add_i32 s8, s6, 0xfffff6f8
	global_store_dwordx4 v[44:45], v[16:19], off offset:-80
	v_mov_b32_e32 v55, s8
	s_waitcnt lgkmcnt(1)
	v_fma_f64 v[22:23], -v[14:15], v[60:61], v[22:23]
	ds_read_b64 v[60:61], v54
	ds_read2_b64 v[54:57], v55 offset1:1
	v_fma_f64 v[22:23], -v[12:13], v[58:59], v[22:23]
	s_waitcnt lgkmcnt(2)
	v_fma_f64 v[22:23], -v[18:19], v[52:53], v[22:23]
	v_fma_f64 v[22:23], -v[16:17], v[50:51], v[22:23]
	s_add_i32 s8, s6, 0xfffff6e8
	s_waitcnt lgkmcnt(0)
	v_mul_f64 v[50:51], v[46:47], v[56:57]
	v_fma_f64 v[20:21], v[20:21], s[0:1], -v[50:51]
	v_mov_b32_e32 v50, s8
	ds_read2_b64 v[50:53], v50 offset1:1
	s_add_i32 s8, s6, 0xfffff6d8
	v_fma_f64 v[20:21], -v[48:49], v[54:55], v[20:21]
	v_mov_b32_e32 v54, s8
	ds_read2_b64 v[54:57], v54 offset1:1
	s_waitcnt lgkmcnt(1)
	v_fma_f64 v[20:21], -v[10:11], v[52:53], v[20:21]
	s_add_i32 s8, s6, 0xfffff6c8
	v_fma_f64 v[20:21], -v[8:9], v[50:51], v[20:21]
	v_mov_b32_e32 v50, s8
	ds_read2_b64 v[50:53], v50 offset1:1
	s_add_i32 s8, s6, 0xfffff6b8
	s_waitcnt lgkmcnt(1)
	v_fma_f64 v[20:21], -v[2:3], v[56:57], v[20:21]
	v_mov_b32_e32 v58, s8
	v_fma_f64 v[20:21], -v[0:1], v[54:55], v[20:21]
	v_mul_f64 v[22:23], v[60:61], v[22:23]
	ds_read2_b64 v[58:61], v58 offset1:1
	s_waitcnt lgkmcnt(1)
	v_fma_f64 v[20:21], -v[14:15], v[52:53], v[20:21]
	s_add_i32 s8, s7, 0xfffff6a0
	v_fma_f64 v[20:21], -v[12:13], v[50:51], v[20:21]
	v_mov_b32_e32 v50, s8
	ds_read2_b64 v[50:53], v50 offset1:1
	s_waitcnt lgkmcnt(1)
	v_fma_f64 v[20:21], -v[18:19], v[60:61], v[20:21]
	s_add_i32 s8, s6, 0xfffff640
	v_fma_f64 v[20:21], -v[16:17], v[58:59], v[20:21]
	v_mov_b32_e32 v54, s8
	ds_read_b64 v[58:59], v54
	s_waitcnt lgkmcnt(1)
	v_fma_f64 v[20:21], -v[22:23], v[52:53], v[20:21]
	s_add_i32 s8, s6, 0xfffff630
	v_mul_f64 v[20:21], v[50:51], v[20:21]
	v_mov_b32_e32 v50, s8
	ds_read2_b64 v[50:53], v50 offset1:1
	s_add_i32 s8, s6, 0xfffff620
	s_waitcnt lgkmcnt(1)
	v_mul_f64 v[58:59], v[46:47], v[58:59]
	v_mov_b32_e32 v54, s8
	ds_read2_b64 v[54:57], v54 offset1:1
	s_waitcnt vmcnt(11)
	v_fma_f64 v[30:31], v[30:31], s[0:1], -v[58:59]
	s_waitcnt lgkmcnt(1)
	v_fma_f64 v[30:31], -v[48:49], v[52:53], v[30:31]
	s_add_i32 s8, s6, 0xfffff610
	v_fma_f64 v[30:31], -v[10:11], v[50:51], v[30:31]
	v_mov_b32_e32 v50, s8
	ds_read2_b64 v[50:53], v50 offset1:1
	s_waitcnt lgkmcnt(1)
	v_fma_f64 v[30:31], -v[8:9], v[56:57], v[30:31]
	s_add_i32 s8, s6, 0xfffff600
	v_fma_f64 v[30:31], -v[2:3], v[54:55], v[30:31]
	v_mov_b32_e32 v54, s8
	ds_read2_b64 v[54:57], v54 offset1:1
	;; [unrolled: 6-line block ×3, first 2 shown]
	s_add_i32 s8, s7, 0xfffff5d8
	s_waitcnt lgkmcnt(1)
	v_fma_f64 v[30:31], -v[12:13], v[56:57], v[30:31]
	v_mov_b32_e32 v58, s8
	ds_read2_b64 v[58:61], v58 offset1:1
	v_fma_f64 v[30:31], -v[18:19], v[54:55], v[30:31]
	s_waitcnt lgkmcnt(1)
	v_fma_f64 v[30:31], -v[16:17], v[52:53], v[30:31]
	s_add_i32 s8, s6, 0xfffff578
	v_fma_f64 v[30:31], -v[22:23], v[50:51], v[30:31]
	v_mov_b32_e32 v50, s8
	ds_read2_b64 v[50:53], v50 offset1:1
	s_add_i32 s8, s6, 0xfffff568
	v_mov_b32_e32 v54, s8
	ds_read2_b64 v[54:57], v54 offset1:1
	s_add_i32 s8, s6, 0xfffff558
	s_waitcnt lgkmcnt(1)
	v_mul_f64 v[52:53], v[46:47], v[52:53]
	v_fma_f64 v[28:29], v[28:29], s[0:1], -v[52:53]
	v_fma_f64 v[28:29], -v[48:49], v[50:51], v[28:29]
	v_mov_b32_e32 v50, s8
	ds_read2_b64 v[50:53], v50 offset1:1
	s_waitcnt lgkmcnt(1)
	v_fma_f64 v[28:29], -v[10:11], v[56:57], v[28:29]
	s_add_i32 s8, s6, 0xfffff548
	v_fma_f64 v[28:29], -v[8:9], v[54:55], v[28:29]
	v_mov_b32_e32 v54, s8
	ds_read2_b64 v[54:57], v54 offset1:1
	s_waitcnt lgkmcnt(1)
	v_fma_f64 v[28:29], -v[2:3], v[52:53], v[28:29]
	s_add_i32 s8, s6, 0xfffff538
	v_fma_f64 v[28:29], -v[0:1], v[50:51], v[28:29]
	v_mov_b32_e32 v50, s8
	ds_read2_b64 v[50:53], v50 offset1:1
	v_fma_f64 v[30:31], -v[20:21], v[60:61], v[30:31]
	s_add_i32 s8, s6, 0xfffff528
	s_waitcnt lgkmcnt(1)
	v_fma_f64 v[28:29], -v[14:15], v[56:57], v[28:29]
	v_mul_f64 v[30:31], v[58:59], v[30:31]
	v_mov_b32_e32 v58, s8
	ds_read2_b64 v[58:61], v58 offset1:1
	v_fma_f64 v[28:29], -v[12:13], v[54:55], v[28:29]
	s_waitcnt lgkmcnt(1)
	v_fma_f64 v[28:29], -v[18:19], v[52:53], v[28:29]
	s_add_i32 s8, s7, 0xfffff510
	v_fma_f64 v[28:29], -v[16:17], v[50:51], v[28:29]
	v_mov_b32_e32 v50, s8
	ds_read2_b64 v[50:53], v50 offset1:1
	s_waitcnt lgkmcnt(1)
	v_fma_f64 v[28:29], -v[22:23], v[60:61], v[28:29]
	s_add_i32 s8, s6, 0xfffff4c0
	v_mov_b32_e32 v54, s8
	ds_read_b64 v[54:55], v54
	v_fma_f64 v[28:29], -v[20:21], v[58:59], v[28:29]
	s_waitcnt lgkmcnt(1)
	v_fma_f64 v[28:29], -v[30:31], v[52:53], v[28:29]
	s_add_i32 s8, s6, 0xfffff4b0
	v_mul_f64 v[28:29], v[50:51], v[28:29]
	v_mov_b32_e32 v50, s8
	ds_read2_b64 v[50:53], v50 offset1:1
	s_waitcnt lgkmcnt(1)
	v_mul_f64 v[54:55], v[46:47], v[54:55]
	s_add_i32 s8, s6, 0xfffff4a0
	s_waitcnt vmcnt(10)
	v_fma_f64 v[38:39], v[38:39], s[0:1], -v[54:55]
	v_mov_b32_e32 v54, s8
	ds_read2_b64 v[54:57], v54 offset1:1
	s_waitcnt lgkmcnt(1)
	v_fma_f64 v[38:39], -v[48:49], v[52:53], v[38:39]
	s_add_i32 s8, s6, 0xfffff490
	v_fma_f64 v[38:39], -v[10:11], v[50:51], v[38:39]
	v_mov_b32_e32 v50, s8
	ds_read2_b64 v[50:53], v50 offset1:1
	s_add_i32 s8, s6, 0xfffff480
	s_waitcnt lgkmcnt(1)
	v_fma_f64 v[38:39], -v[8:9], v[56:57], v[38:39]
	v_mov_b32_e32 v58, s8
	ds_read2_b64 v[58:61], v58 offset1:1
	v_fma_f64 v[38:39], -v[2:3], v[54:55], v[38:39]
	s_waitcnt lgkmcnt(1)
	v_fma_f64 v[38:39], -v[0:1], v[52:53], v[38:39]
	s_add_i32 s8, s6, 0xfffff470
	v_fma_f64 v[38:39], -v[14:15], v[50:51], v[38:39]
	v_mov_b32_e32 v50, s8
	ds_read2_b64 v[50:53], v50 offset1:1
	s_waitcnt lgkmcnt(1)
	v_fma_f64 v[38:39], -v[12:13], v[60:61], v[38:39]
	s_add_i32 s8, s6, 0xfffff460
	v_fma_f64 v[38:39], -v[18:19], v[58:59], v[38:39]
	v_mov_b32_e32 v54, s8
	ds_read2_b64 v[54:57], v54 offset1:1
	s_waitcnt lgkmcnt(1)
	v_fma_f64 v[38:39], -v[16:17], v[52:53], v[38:39]
	s_add_i32 s8, s7, 0xfffff448
	v_fma_f64 v[38:39], -v[22:23], v[50:51], v[38:39]
	v_mov_b32_e32 v50, s8
	ds_read2_b64 v[50:53], v50 offset1:1
	s_add_i32 s8, s6, 0xfffff3f8
	v_mov_b32_e32 v58, s8
	ds_read2_b64 v[58:61], v58 offset1:1
	s_waitcnt lgkmcnt(2)
	v_fma_f64 v[38:39], -v[20:21], v[56:57], v[38:39]
	v_fma_f64 v[38:39], -v[30:31], v[54:55], v[38:39]
	s_waitcnt lgkmcnt(1)
	v_fma_f64 v[38:39], -v[28:29], v[52:53], v[38:39]
	s_add_i32 s8, s6, 0xfffff3e8
	v_mul_f64 v[38:39], v[50:51], v[38:39]
	v_mov_b32_e32 v50, s8
	ds_read2_b64 v[50:53], v50 offset1:1
	s_waitcnt lgkmcnt(1)
	v_mul_f64 v[60:61], v[46:47], v[60:61]
	s_add_i32 s8, s6, 0xfffff3d8
	v_fma_f64 v[36:37], v[36:37], s[0:1], -v[60:61]
	v_mov_b32_e32 v54, s8
	ds_read2_b64 v[54:57], v54 offset1:1
	v_fma_f64 v[36:37], -v[48:49], v[58:59], v[36:37]
	s_waitcnt lgkmcnt(1)
	v_fma_f64 v[36:37], -v[10:11], v[52:53], v[36:37]
	s_add_i32 s8, s6, 0xfffff3c8
	v_fma_f64 v[36:37], -v[8:9], v[50:51], v[36:37]
	v_mov_b32_e32 v50, s8
	ds_read2_b64 v[50:53], v50 offset1:1
	s_waitcnt lgkmcnt(1)
	v_fma_f64 v[36:37], -v[2:3], v[56:57], v[36:37]
	s_add_i32 s8, s6, 0xfffff3b8
	v_fma_f64 v[36:37], -v[0:1], v[54:55], v[36:37]
	v_mov_b32_e32 v54, s8
	ds_read2_b64 v[54:57], v54 offset1:1
	;; [unrolled: 6-line block ×3, first 2 shown]
	s_add_i32 s8, s6, 0xfffff398
	s_waitcnt lgkmcnt(1)
	v_fma_f64 v[36:37], -v[18:19], v[56:57], v[36:37]
	v_mov_b32_e32 v58, s8
	ds_read2_b64 v[58:61], v58 offset1:1
	v_fma_f64 v[36:37], -v[16:17], v[54:55], v[36:37]
	s_waitcnt lgkmcnt(1)
	v_fma_f64 v[36:37], -v[22:23], v[52:53], v[36:37]
	s_add_i32 s8, s7, 0xfffff380
	v_fma_f64 v[36:37], -v[20:21], v[50:51], v[36:37]
	v_mov_b32_e32 v50, s8
	ds_read2_b64 v[50:53], v50 offset1:1
	s_waitcnt lgkmcnt(1)
	v_fma_f64 v[36:37], -v[30:31], v[60:61], v[36:37]
	s_add_i32 s8, s6, 0xfffff340
	v_mov_b32_e32 v54, s8
	ds_read_b64 v[54:55], v54
	v_fma_f64 v[36:37], -v[28:29], v[58:59], v[36:37]
	s_waitcnt lgkmcnt(1)
	v_fma_f64 v[36:37], -v[38:39], v[52:53], v[36:37]
	s_add_i32 s8, s6, 0xfffff330
	v_mul_f64 v[36:37], v[50:51], v[36:37]
	v_mov_b32_e32 v50, s8
	ds_read2_b64 v[50:53], v50 offset1:1
	s_waitcnt lgkmcnt(1)
	v_mul_f64 v[54:55], v[46:47], v[54:55]
	s_add_i32 s8, s6, 0xfffff320
	s_waitcnt vmcnt(9)
	v_fma_f64 v[42:43], v[42:43], s[0:1], -v[54:55]
	v_mov_b32_e32 v54, s8
	ds_read2_b64 v[54:57], v54 offset1:1
	s_waitcnt lgkmcnt(1)
	v_fma_f64 v[42:43], -v[48:49], v[52:53], v[42:43]
	s_add_i32 s8, s6, 0xfffff310
	v_fma_f64 v[42:43], -v[10:11], v[50:51], v[42:43]
	v_mov_b32_e32 v50, s8
	ds_read2_b64 v[50:53], v50 offset1:1
	s_add_i32 s8, s6, 0xfffff300
	s_waitcnt lgkmcnt(1)
	v_fma_f64 v[42:43], -v[8:9], v[56:57], v[42:43]
	v_mov_b32_e32 v58, s8
	ds_read2_b64 v[58:61], v58 offset1:1
	v_fma_f64 v[42:43], -v[2:3], v[54:55], v[42:43]
	s_waitcnt lgkmcnt(1)
	v_fma_f64 v[42:43], -v[0:1], v[52:53], v[42:43]
	s_add_i32 s8, s6, 0xfffff2f0
	v_fma_f64 v[42:43], -v[14:15], v[50:51], v[42:43]
	v_mov_b32_e32 v50, s8
	ds_read2_b64 v[50:53], v50 offset1:1
	s_waitcnt lgkmcnt(1)
	v_fma_f64 v[42:43], -v[12:13], v[60:61], v[42:43]
	s_add_i32 s8, s6, 0xfffff2e0
	v_fma_f64 v[42:43], -v[18:19], v[58:59], v[42:43]
	v_mov_b32_e32 v54, s8
	ds_read2_b64 v[54:57], v54 offset1:1
	;; [unrolled: 6-line block ×3, first 2 shown]
	s_add_i32 s8, s7, 0xfffff2b8
	s_waitcnt lgkmcnt(1)
	v_fma_f64 v[42:43], -v[20:21], v[56:57], v[42:43]
	v_mov_b32_e32 v58, s8
	ds_read2_b64 v[58:61], v58 offset1:1
	v_fma_f64 v[42:43], -v[30:31], v[54:55], v[42:43]
	s_waitcnt lgkmcnt(1)
	v_fma_f64 v[42:43], -v[28:29], v[52:53], v[42:43]
	s_add_i32 s8, s6, 0xfffff278
	v_fma_f64 v[42:43], -v[38:39], v[50:51], v[42:43]
	v_mov_b32_e32 v50, s8
	ds_read2_b64 v[50:53], v50 offset1:1
	s_add_i32 s8, s6, 0xfffff268
	v_mov_b32_e32 v54, s8
	ds_read2_b64 v[54:57], v54 offset1:1
	s_add_i32 s8, s6, 0xfffff258
	s_waitcnt lgkmcnt(1)
	v_mul_f64 v[52:53], v[46:47], v[52:53]
	v_fma_f64 v[40:41], v[40:41], s[0:1], -v[52:53]
	v_fma_f64 v[40:41], -v[48:49], v[50:51], v[40:41]
	v_mov_b32_e32 v50, s8
	ds_read2_b64 v[50:53], v50 offset1:1
	v_fma_f64 v[42:43], -v[36:37], v[60:61], v[42:43]
	s_add_i32 s8, s6, 0xfffff248
	s_waitcnt lgkmcnt(1)
	v_fma_f64 v[40:41], -v[10:11], v[56:57], v[40:41]
	v_mul_f64 v[42:43], v[58:59], v[42:43]
	v_mov_b32_e32 v58, s8
	ds_read2_b64 v[58:61], v58 offset1:1
	v_fma_f64 v[40:41], -v[8:9], v[54:55], v[40:41]
	s_waitcnt lgkmcnt(1)
	v_fma_f64 v[40:41], -v[2:3], v[52:53], v[40:41]
	s_add_i32 s8, s6, 0xfffff238
	v_fma_f64 v[40:41], -v[0:1], v[50:51], v[40:41]
	v_mov_b32_e32 v50, s8
	ds_read2_b64 v[50:53], v50 offset1:1
	s_waitcnt lgkmcnt(1)
	v_fma_f64 v[40:41], -v[14:15], v[60:61], v[40:41]
	s_add_i32 s8, s6, 0xfffff228
	v_fma_f64 v[40:41], -v[12:13], v[58:59], v[40:41]
	v_mov_b32_e32 v54, s8
	ds_read2_b64 v[54:57], v54 offset1:1
	;; [unrolled: 6-line block ×3, first 2 shown]
	s_add_i32 s8, s6, 0xfffff208
	s_waitcnt lgkmcnt(1)
	v_fma_f64 v[40:41], -v[22:23], v[56:57], v[40:41]
	v_mov_b32_e32 v58, s8
	ds_read2_b64 v[58:61], v58 offset1:1
	v_fma_f64 v[40:41], -v[20:21], v[54:55], v[40:41]
	s_waitcnt lgkmcnt(1)
	v_fma_f64 v[40:41], -v[30:31], v[52:53], v[40:41]
	s_add_i32 s8, s7, 0xfffff1f0
	v_fma_f64 v[40:41], -v[28:29], v[50:51], v[40:41]
	v_mov_b32_e32 v50, s8
	ds_read2_b64 v[50:53], v50 offset1:1
	s_waitcnt lgkmcnt(1)
	v_fma_f64 v[40:41], -v[38:39], v[60:61], v[40:41]
	s_add_i32 s8, s6, 0xfffff1c0
	v_fma_f64 v[40:41], -v[36:37], v[58:59], v[40:41]
	v_mov_b32_e32 v54, s8
	ds_read_b64 v[58:59], v54
	s_waitcnt lgkmcnt(1)
	v_fma_f64 v[40:41], -v[42:43], v[52:53], v[40:41]
	s_add_i32 s8, s6, 0xfffff1b0
	v_mul_f64 v[40:41], v[50:51], v[40:41]
	v_mov_b32_e32 v50, s8
	ds_read2_b64 v[50:53], v50 offset1:1
	s_add_i32 s8, s6, 0xfffff1a0
	s_waitcnt lgkmcnt(1)
	v_mul_f64 v[58:59], v[46:47], v[58:59]
	v_mov_b32_e32 v54, s8
	ds_read2_b64 v[54:57], v54 offset1:1
	s_waitcnt vmcnt(8)
	v_fma_f64 v[34:35], v[34:35], s[0:1], -v[58:59]
	s_waitcnt lgkmcnt(1)
	v_fma_f64 v[34:35], -v[48:49], v[52:53], v[34:35]
	s_add_i32 s8, s6, 0xfffff190
	v_fma_f64 v[34:35], -v[10:11], v[50:51], v[34:35]
	v_mov_b32_e32 v50, s8
	ds_read2_b64 v[50:53], v50 offset1:1
	s_waitcnt lgkmcnt(1)
	v_fma_f64 v[34:35], -v[8:9], v[56:57], v[34:35]
	s_add_i32 s8, s6, 0xfffff180
	v_fma_f64 v[34:35], -v[2:3], v[54:55], v[34:35]
	v_mov_b32_e32 v54, s8
	ds_read2_b64 v[54:57], v54 offset1:1
	;; [unrolled: 6-line block ×3, first 2 shown]
	s_add_i32 s8, s6, 0xfffff160
	s_waitcnt lgkmcnt(1)
	v_fma_f64 v[34:35], -v[12:13], v[56:57], v[34:35]
	v_mov_b32_e32 v58, s8
	ds_read2_b64 v[58:61], v58 offset1:1
	v_fma_f64 v[34:35], -v[18:19], v[54:55], v[34:35]
	s_waitcnt lgkmcnt(1)
	v_fma_f64 v[34:35], -v[16:17], v[52:53], v[34:35]
	s_add_i32 s8, s6, 0xfffff150
	v_fma_f64 v[34:35], -v[22:23], v[50:51], v[34:35]
	v_mov_b32_e32 v50, s8
	ds_read2_b64 v[50:53], v50 offset1:1
	s_waitcnt lgkmcnt(1)
	v_fma_f64 v[34:35], -v[20:21], v[60:61], v[34:35]
	s_add_i32 s8, s6, 0xfffff140
	v_fma_f64 v[34:35], -v[30:31], v[58:59], v[34:35]
	v_mov_b32_e32 v54, s8
	ds_read2_b64 v[54:57], v54 offset1:1
	s_waitcnt lgkmcnt(1)
	v_fma_f64 v[34:35], -v[28:29], v[52:53], v[34:35]
	s_add_i32 s8, s7, 0xfffff128
	v_fma_f64 v[34:35], -v[38:39], v[50:51], v[34:35]
	v_mov_b32_e32 v50, s8
	s_add_i32 s8, s6, 0xfffff0f8
	ds_read2_b64 v[50:53], v50 offset1:1
	v_mov_b32_e32 v58, s8
	ds_read2_b64 v[58:61], v58 offset1:1
	s_waitcnt lgkmcnt(2)
	v_fma_f64 v[34:35], -v[36:37], v[56:57], v[34:35]
	v_fma_f64 v[34:35], -v[42:43], v[54:55], v[34:35]
	s_waitcnt lgkmcnt(1)
	v_fma_f64 v[34:35], -v[40:41], v[52:53], v[34:35]
	v_mul_f64 v[34:35], v[50:51], v[34:35]
	s_waitcnt lgkmcnt(0)
	v_mul_f64 v[50:51], v[46:47], v[60:61]
	s_add_i32 s8, s6, 0xfffff0e8
	v_fma_f64 v[32:33], v[32:33], s[0:1], -v[50:51]
	v_mov_b32_e32 v50, s8
	ds_read2_b64 v[50:53], v50 offset1:1
	s_add_i32 s8, s6, 0xfffff0d8
	v_fma_f64 v[32:33], -v[48:49], v[58:59], v[32:33]
	v_mov_b32_e32 v54, s8
	ds_read2_b64 v[54:57], v54 offset1:1
	s_waitcnt lgkmcnt(1)
	v_fma_f64 v[32:33], -v[10:11], v[52:53], v[32:33]
	s_add_i32 s8, s6, 0xfffff0c8
	v_fma_f64 v[32:33], -v[8:9], v[50:51], v[32:33]
	v_mov_b32_e32 v50, s8
	ds_read2_b64 v[50:53], v50 offset1:1
	s_add_i32 s8, s6, 0xfffff0b8
	s_waitcnt lgkmcnt(1)
	v_fma_f64 v[32:33], -v[2:3], v[56:57], v[32:33]
	v_mov_b32_e32 v58, s8
	ds_read2_b64 v[58:61], v58 offset1:1
	v_fma_f64 v[32:33], -v[0:1], v[54:55], v[32:33]
	s_waitcnt lgkmcnt(1)
	v_fma_f64 v[32:33], -v[14:15], v[52:53], v[32:33]
	s_add_i32 s8, s6, 0xfffff0a8
	v_fma_f64 v[32:33], -v[12:13], v[50:51], v[32:33]
	v_mov_b32_e32 v50, s8
	ds_read2_b64 v[50:53], v50 offset1:1
	s_waitcnt lgkmcnt(1)
	v_fma_f64 v[32:33], -v[18:19], v[60:61], v[32:33]
	s_add_i32 s8, s6, 0xfffff098
	v_fma_f64 v[32:33], -v[16:17], v[58:59], v[32:33]
	v_mov_b32_e32 v54, s8
	ds_read2_b64 v[54:57], v54 offset1:1
	;; [unrolled: 6-line block ×3, first 2 shown]
	s_add_i32 s8, s6, 0xfffff078
	s_waitcnt lgkmcnt(1)
	v_fma_f64 v[32:33], -v[30:31], v[56:57], v[32:33]
	v_mov_b32_e32 v58, s8
	ds_read2_b64 v[58:61], v58 offset1:1
	v_fma_f64 v[32:33], -v[28:29], v[54:55], v[32:33]
	s_waitcnt lgkmcnt(1)
	v_fma_f64 v[32:33], -v[38:39], v[52:53], v[32:33]
	s_add_i32 s8, s7, 0xfffff060
	v_fma_f64 v[32:33], -v[36:37], v[50:51], v[32:33]
	v_mov_b32_e32 v50, s8
	ds_read2_b64 v[50:53], v50 offset1:1
	s_waitcnt lgkmcnt(1)
	v_fma_f64 v[32:33], -v[42:43], v[60:61], v[32:33]
	s_add_i32 s8, s6, 0xfffff040
	v_fma_f64 v[32:33], -v[40:41], v[58:59], v[32:33]
	v_mov_b32_e32 v54, s8
	ds_read_b64 v[58:59], v54
	s_waitcnt lgkmcnt(1)
	v_fma_f64 v[32:33], -v[34:35], v[52:53], v[32:33]
	s_add_i32 s8, s6, 0xfffff030
	v_mul_f64 v[32:33], v[50:51], v[32:33]
	v_mov_b32_e32 v50, s8
	ds_read2_b64 v[50:53], v50 offset1:1
	s_add_i32 s8, s6, 0xfffff020
	s_waitcnt lgkmcnt(1)
	v_mul_f64 v[58:59], v[46:47], v[58:59]
	v_mov_b32_e32 v54, s8
	ds_read2_b64 v[54:57], v54 offset1:1
	s_waitcnt vmcnt(7)
	v_fma_f64 v[26:27], v[26:27], s[0:1], -v[58:59]
	s_waitcnt lgkmcnt(1)
	v_fma_f64 v[26:27], -v[48:49], v[52:53], v[26:27]
	s_add_i32 s8, s6, 0xfffff010
	v_fma_f64 v[26:27], -v[10:11], v[50:51], v[26:27]
	v_mov_b32_e32 v50, s8
	ds_read2_b64 v[50:53], v50 offset1:1
	s_waitcnt lgkmcnt(1)
	v_fma_f64 v[26:27], -v[8:9], v[56:57], v[26:27]
	s_add_i32 s8, s6, 0xfffff000
	v_fma_f64 v[26:27], -v[2:3], v[54:55], v[26:27]
	v_mov_b32_e32 v54, s8
	ds_read2_b64 v[54:57], v54 offset1:1
	;; [unrolled: 6-line block ×3, first 2 shown]
	s_add_i32 s8, s6, 0xffffefe0
	s_waitcnt lgkmcnt(1)
	v_fma_f64 v[26:27], -v[12:13], v[56:57], v[26:27]
	v_mov_b32_e32 v58, s8
	ds_read2_b64 v[58:61], v58 offset1:1
	v_fma_f64 v[26:27], -v[18:19], v[54:55], v[26:27]
	s_waitcnt lgkmcnt(1)
	v_fma_f64 v[26:27], -v[16:17], v[52:53], v[26:27]
	s_add_i32 s8, s6, 0xffffefd0
	v_fma_f64 v[26:27], -v[22:23], v[50:51], v[26:27]
	v_mov_b32_e32 v50, s8
	ds_read2_b64 v[50:53], v50 offset1:1
	s_waitcnt lgkmcnt(1)
	v_fma_f64 v[26:27], -v[20:21], v[60:61], v[26:27]
	s_add_i32 s8, s6, 0xffffefc0
	v_fma_f64 v[26:27], -v[30:31], v[58:59], v[26:27]
	v_mov_b32_e32 v54, s8
	ds_read2_b64 v[54:57], v54 offset1:1
	;; [unrolled: 6-line block ×3, first 2 shown]
	s_add_i32 s8, s7, 0xffffef98
	s_waitcnt lgkmcnt(1)
	v_fma_f64 v[26:27], -v[36:37], v[56:57], v[26:27]
	v_mov_b32_e32 v58, s8
	ds_read2_b64 v[58:61], v58 offset1:1
	v_fma_f64 v[26:27], -v[42:43], v[54:55], v[26:27]
	s_waitcnt lgkmcnt(1)
	v_fma_f64 v[26:27], -v[40:41], v[52:53], v[26:27]
	s_add_i32 s8, s6, 0xffffef78
	v_fma_f64 v[26:27], -v[34:35], v[50:51], v[26:27]
	v_mov_b32_e32 v50, s8
	ds_read2_b64 v[50:53], v50 offset1:1
	s_add_i32 s8, s6, 0xffffef68
	v_mov_b32_e32 v54, s8
	ds_read2_b64 v[54:57], v54 offset1:1
	s_add_i32 s8, s6, 0xffffef58
	s_waitcnt lgkmcnt(1)
	v_mul_f64 v[52:53], v[46:47], v[52:53]
	v_fma_f64 v[24:25], v[24:25], s[0:1], -v[52:53]
	v_fma_f64 v[24:25], -v[48:49], v[50:51], v[24:25]
	v_mov_b32_e32 v50, s8
	ds_read2_b64 v[50:53], v50 offset1:1
	s_waitcnt lgkmcnt(1)
	v_fma_f64 v[24:25], -v[10:11], v[56:57], v[24:25]
	s_add_i32 s8, s6, 0xffffef48
	v_fma_f64 v[24:25], -v[8:9], v[54:55], v[24:25]
	v_mov_b32_e32 v54, s8
	ds_read2_b64 v[54:57], v54 offset1:1
	s_waitcnt lgkmcnt(1)
	v_fma_f64 v[24:25], -v[2:3], v[52:53], v[24:25]
	s_add_i32 s8, s6, 0xffffef38
	v_fma_f64 v[24:25], -v[0:1], v[50:51], v[24:25]
	v_mov_b32_e32 v50, s8
	ds_read2_b64 v[50:53], v50 offset1:1
	v_fma_f64 v[26:27], -v[32:33], v[60:61], v[26:27]
	s_add_i32 s8, s6, 0xffffef28
	s_waitcnt lgkmcnt(1)
	v_fma_f64 v[24:25], -v[14:15], v[56:57], v[24:25]
	v_mul_f64 v[26:27], v[58:59], v[26:27]
	v_mov_b32_e32 v58, s8
	ds_read2_b64 v[58:61], v58 offset1:1
	v_fma_f64 v[24:25], -v[12:13], v[54:55], v[24:25]
	s_waitcnt lgkmcnt(1)
	v_fma_f64 v[24:25], -v[18:19], v[52:53], v[24:25]
	s_add_i32 s8, s6, 0xffffef18
	v_fma_f64 v[24:25], -v[16:17], v[50:51], v[24:25]
	v_mov_b32_e32 v50, s8
	ds_read2_b64 v[50:53], v50 offset1:1
	s_waitcnt lgkmcnt(1)
	v_fma_f64 v[24:25], -v[22:23], v[60:61], v[24:25]
	s_add_i32 s8, s6, 0xffffef08
	v_fma_f64 v[24:25], -v[20:21], v[58:59], v[24:25]
	v_mov_b32_e32 v54, s8
	ds_read2_b64 v[54:57], v54 offset1:1
	;; [unrolled: 6-line block ×3, first 2 shown]
	s_add_i32 s8, s6, 0xffffeee8
	s_waitcnt lgkmcnt(1)
	v_fma_f64 v[24:25], -v[38:39], v[56:57], v[24:25]
	v_mov_b32_e32 v58, s8
	ds_read2_b64 v[58:61], v58 offset1:1
	v_fma_f64 v[24:25], -v[36:37], v[54:55], v[24:25]
	s_waitcnt lgkmcnt(1)
	v_fma_f64 v[24:25], -v[42:43], v[52:53], v[24:25]
	s_add_i32 s8, s7, 0xffffeed0
	v_fma_f64 v[24:25], -v[40:41], v[50:51], v[24:25]
	v_mov_b32_e32 v50, s8
	ds_read2_b64 v[50:53], v50 offset1:1
	s_waitcnt lgkmcnt(1)
	v_fma_f64 v[24:25], -v[34:35], v[60:61], v[24:25]
	s_add_i32 s8, s6, 0xffffeec0
	v_mov_b32_e32 v54, s8
	ds_read_b64 v[54:55], v54
	v_fma_f64 v[24:25], -v[32:33], v[58:59], v[24:25]
	s_waitcnt lgkmcnt(1)
	v_fma_f64 v[24:25], -v[26:27], v[52:53], v[24:25]
	s_add_i32 s8, s6, 0xffffeeb0
	v_mul_f64 v[24:25], v[50:51], v[24:25]
	v_mov_b32_e32 v50, s8
	ds_read2_b64 v[50:53], v50 offset1:1
	s_waitcnt lgkmcnt(1)
	v_mul_f64 v[54:55], v[46:47], v[54:55]
	s_add_i32 s8, s6, 0xffffeea0
	s_waitcnt vmcnt(6)
	v_fma_f64 v[6:7], v[6:7], s[0:1], -v[54:55]
	v_mov_b32_e32 v54, s8
	ds_read2_b64 v[54:57], v54 offset1:1
	s_waitcnt lgkmcnt(1)
	v_fma_f64 v[6:7], -v[48:49], v[52:53], v[6:7]
	s_add_i32 s8, s6, 0xffffee90
	v_fma_f64 v[6:7], -v[10:11], v[50:51], v[6:7]
	v_mov_b32_e32 v50, s8
	ds_read2_b64 v[50:53], v50 offset1:1
	s_add_i32 s8, s6, 0xffffee80
	s_waitcnt lgkmcnt(1)
	v_fma_f64 v[6:7], -v[8:9], v[56:57], v[6:7]
	v_mov_b32_e32 v58, s8
	ds_read2_b64 v[58:61], v58 offset1:1
	v_fma_f64 v[6:7], -v[2:3], v[54:55], v[6:7]
	s_waitcnt lgkmcnt(1)
	v_fma_f64 v[6:7], -v[0:1], v[52:53], v[6:7]
	s_add_i32 s8, s6, 0xffffee70
	v_fma_f64 v[6:7], -v[14:15], v[50:51], v[6:7]
	v_mov_b32_e32 v50, s8
	ds_read2_b64 v[50:53], v50 offset1:1
	s_waitcnt lgkmcnt(1)
	v_fma_f64 v[6:7], -v[12:13], v[60:61], v[6:7]
	s_add_i32 s8, s6, 0xffffee60
	v_fma_f64 v[6:7], -v[18:19], v[58:59], v[6:7]
	v_mov_b32_e32 v54, s8
	ds_read2_b64 v[54:57], v54 offset1:1
	;; [unrolled: 6-line block ×3, first 2 shown]
	s_add_i32 s8, s6, 0xffffee40
	s_waitcnt lgkmcnt(1)
	v_fma_f64 v[6:7], -v[20:21], v[56:57], v[6:7]
	v_mov_b32_e32 v58, s8
	ds_read2_b64 v[58:61], v58 offset1:1
	v_fma_f64 v[6:7], -v[30:31], v[54:55], v[6:7]
	s_waitcnt lgkmcnt(1)
	v_fma_f64 v[6:7], -v[28:29], v[52:53], v[6:7]
	s_add_i32 s8, s6, 0xffffee30
	v_fma_f64 v[6:7], -v[38:39], v[50:51], v[6:7]
	v_mov_b32_e32 v50, s8
	ds_read2_b64 v[50:53], v50 offset1:1
	s_waitcnt lgkmcnt(1)
	v_fma_f64 v[6:7], -v[36:37], v[60:61], v[6:7]
	s_add_i32 s8, s6, 0xffffee20
	v_fma_f64 v[6:7], -v[42:43], v[58:59], v[6:7]
	v_mov_b32_e32 v54, s8
	ds_read2_b64 v[54:57], v54 offset1:1
	s_waitcnt lgkmcnt(1)
	v_fma_f64 v[6:7], -v[40:41], v[52:53], v[6:7]
	s_add_i32 s8, s7, 0xffffee08
	v_fma_f64 v[6:7], -v[34:35], v[50:51], v[6:7]
	v_mov_b32_e32 v50, s8
	s_add_i32 s8, s6, 0xffffedf8
	v_mov_b32_e32 v58, s8
	ds_read2_b64 v[50:53], v50 offset1:1
	ds_read2_b64 v[58:61], v58 offset1:1
	s_waitcnt lgkmcnt(2)
	v_fma_f64 v[6:7], -v[32:33], v[56:57], v[6:7]
	v_fma_f64 v[6:7], -v[26:27], v[54:55], v[6:7]
	s_add_i32 s8, s6, 0xffffede8
	s_waitcnt lgkmcnt(1)
	v_fma_f64 v[6:7], -v[24:25], v[52:53], v[6:7]
	s_waitcnt lgkmcnt(0)
	v_mul_f64 v[46:47], v[46:47], v[60:61]
	v_fma_f64 v[4:5], v[4:5], s[0:1], -v[46:47]
	v_mov_b32_e32 v46, s8
	v_mul_f64 v[6:7], v[50:51], v[6:7]
	ds_read2_b64 v[50:53], v46 offset1:1
	s_add_i32 s8, s6, 0xffffedd8
	v_fma_f64 v[4:5], -v[48:49], v[58:59], v[4:5]
	v_mov_b32_e32 v46, s8
	ds_read2_b64 v[46:49], v46 offset1:1
	s_waitcnt lgkmcnt(1)
	v_fma_f64 v[4:5], -v[10:11], v[52:53], v[4:5]
	s_add_i32 s8, s6, 0xffffedc8
	v_fma_f64 v[4:5], -v[8:9], v[50:51], v[4:5]
	v_mov_b32_e32 v8, s8
	ds_read2_b64 v[8:11], v8 offset1:1
	s_add_i32 s8, s6, 0xffffedb8
	v_mov_b32_e32 v50, s8
	ds_read2_b64 v[50:53], v50 offset1:1
	s_waitcnt lgkmcnt(2)
	v_fma_f64 v[2:3], -v[2:3], v[48:49], v[4:5]
	v_fma_f64 v[0:1], -v[0:1], v[46:47], v[2:3]
	s_waitcnt lgkmcnt(1)
	v_fma_f64 v[0:1], -v[14:15], v[10:11], v[0:1]
	v_fma_f64 v[0:1], -v[12:13], v[8:9], v[0:1]
	s_add_i32 s8, s6, 0xffffeda8
	s_waitcnt lgkmcnt(0)
	v_fma_f64 v[4:5], -v[18:19], v[52:53], v[0:1]
	v_mov_b32_e32 v0, s8
	ds_read2_b64 v[0:3], v0 offset1:1
	s_add_i32 s8, s6, 0xffffed98
	v_fma_f64 v[4:5], -v[16:17], v[50:51], v[4:5]
	v_mov_b32_e32 v8, s8
	ds_read2_b64 v[8:11], v8 offset1:1
	s_waitcnt lgkmcnt(1)
	v_fma_f64 v[2:3], -v[22:23], v[2:3], v[4:5]
	s_add_i32 s8, s6, 0xffffed88
	v_fma_f64 v[4:5], -v[20:21], v[0:1], v[2:3]
	v_mov_b32_e32 v0, s8
	s_add_i32 s8, s6, 0xffffed78
	ds_read2_b64 v[0:3], v0 offset1:1
	v_mov_b32_e32 v12, s8
	ds_read2_b64 v[12:15], v12 offset1:1
	s_waitcnt lgkmcnt(2)
	v_fma_f64 v[4:5], -v[30:31], v[10:11], v[4:5]
	v_fma_f64 v[4:5], -v[28:29], v[8:9], v[4:5]
	s_waitcnt lgkmcnt(1)
	v_fma_f64 v[2:3], -v[38:39], v[2:3], v[4:5]
	v_fma_f64 v[0:1], -v[36:37], v[0:1], v[2:3]
	s_waitcnt lgkmcnt(0)
	v_fma_f64 v[0:1], -v[42:43], v[14:15], v[0:1]
	s_add_i32 s8, s6, 0xffffed68
	s_addk_i32 s6, 0xed58
	global_store_dwordx4 v[44:45], v[20:23], off offset:-96
	global_store_dwordx4 v[44:45], v[28:31], off offset:-112
	;; [unrolled: 1-line block ×6, first 2 shown]
	v_fma_f64 v[4:5], -v[40:41], v[12:13], v[0:1]
	v_mov_b32_e32 v0, s8
	v_mov_b32_e32 v8, s6
	ds_read2_b64 v[0:3], v0 offset1:1
	ds_read2_b64 v[8:11], v8 offset1:1
	s_add_i32 s6, s7, 0xffffed40
	v_mov_b32_e32 v12, s6
	ds_read2_b64 v[12:15], v12 offset1:1
	s_waitcnt lgkmcnt(2)
	v_fma_f64 v[2:3], -v[34:35], v[2:3], v[4:5]
	v_fma_f64 v[0:1], -v[32:33], v[0:1], v[2:3]
	s_waitcnt lgkmcnt(1)
	v_fma_f64 v[0:1], -v[26:27], v[10:11], v[0:1]
	v_fma_f64 v[0:1], -v[24:25], v[8:9], v[0:1]
	s_waitcnt lgkmcnt(0)
	v_fma_f64 v[0:1], -v[6:7], v[14:15], v[0:1]
	v_mul_f64 v[4:5], v[12:13], v[0:1]
	s_sub_i32 s6, s16, 25
	global_store_dwordx4 v[44:45], v[4:7], off offset:-192
.LBB95_14:
	s_cmp_gt_i32 s6, -1
	s_cbranch_scc0 .LBB95_33
; %bb.15:
	s_cmp_lt_u32 s6, 19
	s_cbranch_scc1 .LBB95_20
; %bb.16:
	s_mov_b32 s7, 0
	s_lshl_b64 s[8:9], s[6:7], 3
	v_mov_b32_e32 v1, s9
	v_add_co_u32_e32 v0, vcc, s8, v86
	v_addc_co_u32_e32 v1, vcc, v87, v1, vcc
	global_load_dwordx4 v[2:5], v[0:1], off offset:-8
	global_load_dwordx4 v[6:9], v[0:1], off offset:-24
	;; [unrolled: 1-line block ×10, first 2 shown]
	s_cmp_le_i32 s18, s6
	s_waitcnt vmcnt(9)
	v_mul_f64 v[38:39], v[4:5], s[0:1]
	v_mul_f64 v[34:35], v[2:3], s[0:1]
	s_waitcnt vmcnt(8)
	v_mul_f64 v[2:3], v[8:9], s[0:1]
	v_mul_f64 v[42:43], v[6:7], s[0:1]
	;; [unrolled: 3-line block ×10, first 2 shown]
	s_cbranch_scc1 .LBB95_19
; %bb.17:
	s_mul_i32 s7, s6, 0xc0
	s_lshl_b32 s8, s16, 3
	s_add_i32 s7, s7, s8
	s_ashr_i32 s19, s18, 31
	s_addk_i32 s7, 0xf1b8
	s_lshl_b64 s[8:9], s[18:19], 3
	s_add_u32 s8, s10, s8
	s_addc_u32 s9, s11, s9
	s_add_u32 s8, s8, s4
	s_addc_u32 s9, s9, s5
	;; [unrolled: 2-line block ×3, first 2 shown]
	v_mov_b32_e32 v41, s9
	v_add_co_u32_e32 v40, vcc, s8, v88
	v_addc_co_u32_e32 v41, vcc, v41, v89, vcc
	s_mov_b32 s8, s18
.LBB95_18:                              ; =>This Inner Loop Header: Depth=1
	global_load_dwordx2 v[84:85], v[40:41], off
	v_mov_b32_e32 v60, s7
	v_add_u32_e32 v76, 0x800, v60
	v_add_u32_e32 v80, 0x400, v60
	ds_read2_b64 v[44:47], v60 offset0:192 offset1:216
	ds_read2_b64 v[48:51], v60 offset0:144 offset1:168
	;; [unrolled: 1-line block ×4, first 2 shown]
	ds_read2_b64 v[60:63], v60 offset1:24
	ds_read2_b64 v[64:67], v76 offset0:176 offset1:200
	ds_read2_b64 v[68:71], v76 offset0:128 offset1:152
	;; [unrolled: 1-line block ×5, first 2 shown]
	s_add_i32 s8, s8, -1
	s_add_i32 s7, s7, -8
	v_add_co_u32_e32 v40, vcc, -8, v40
	v_addc_co_u32_e32 v41, vcc, -1, v41, vcc
	s_cmp_gt_i32 s8, s6
	s_waitcnt vmcnt(0) lgkmcnt(4)
	v_fma_f64 v[38:39], -v[84:85], v[66:67], v[38:39]
	v_fma_f64 v[34:35], -v[84:85], v[64:65], v[34:35]
	s_waitcnt lgkmcnt(3)
	v_fma_f64 v[2:3], -v[84:85], v[70:71], v[2:3]
	v_fma_f64 v[42:43], -v[84:85], v[68:69], v[42:43]
	s_waitcnt lgkmcnt(2)
	;; [unrolled: 3-line block ×4, first 2 shown]
	v_fma_f64 v[14:15], -v[84:85], v[82:83], v[14:15]
	v_fma_f64 v[12:13], -v[84:85], v[80:81], v[12:13]
	v_fma_f64 v[18:19], -v[84:85], v[46:47], v[18:19]
	v_fma_f64 v[16:17], -v[84:85], v[44:45], v[16:17]
	v_fma_f64 v[22:23], -v[84:85], v[50:51], v[22:23]
	v_fma_f64 v[20:21], -v[84:85], v[48:49], v[20:21]
	v_fma_f64 v[26:27], -v[84:85], v[54:55], v[26:27]
	v_fma_f64 v[24:25], -v[84:85], v[52:53], v[24:25]
	v_fma_f64 v[30:31], -v[84:85], v[58:59], v[30:31]
	v_fma_f64 v[28:29], -v[84:85], v[56:57], v[28:29]
	v_fma_f64 v[36:37], -v[84:85], v[62:63], v[36:37]
	v_fma_f64 v[32:33], -v[84:85], v[60:61], v[32:33]
	s_cbranch_scc1 .LBB95_18
.LBB95_19:
	s_mul_i32 s8, s6, 0xc8
	v_mov_b32_e32 v40, s8
	s_add_i32 s7, s8, 0xffffff38
	ds_read_b64 v[40:41], v40
	v_mov_b32_e32 v44, s7
	ds_read2_b64 v[44:47], v44 offset1:1
	s_ashr_i32 s7, s6, 31
	s_lshl_b64 s[12:13], s[6:7], 3
	s_waitcnt lgkmcnt(1)
	v_mul_f64 v[38:39], v[40:41], v[38:39]
	global_store_dwordx2 v[0:1], v[38:39], off
	s_waitcnt lgkmcnt(0)
	v_fma_f64 v[0:1], -v[38:39], v[46:47], v[34:35]
	s_add_i32 s7, s8, 0xfffffe80
	v_mul_f64 v[40:41], v[44:45], v[0:1]
	v_mov_b32_e32 v0, s7
	s_add_i32 s7, s8, 0xfffffe70
	v_mov_b32_e32 v34, s7
	ds_read_b64 v[0:1], v0
	ds_read2_b64 v[44:47], v34 offset1:1
	s_add_i32 s7, s8, 0xfffffdb8
	v_mov_b32_e32 v35, s13
	v_add_co_u32_e32 v34, vcc, s12, v86
	s_waitcnt lgkmcnt(1)
	v_fma_f64 v[0:1], -v[38:39], v[0:1], v[2:3]
	v_mov_b32_e32 v2, s7
	s_waitcnt lgkmcnt(0)
	v_fma_f64 v[0:1], -v[40:41], v[46:47], v[0:1]
	ds_read2_b64 v[46:49], v2 offset1:1
	s_add_i32 s7, s8, 0xfffffda8
	v_mul_f64 v[2:3], v[44:45], v[0:1]
	v_mov_b32_e32 v0, s7
	s_add_i32 s7, s8, 0xfffffd00
	v_addc_co_u32_e32 v35, vcc, v87, v35, vcc
	ds_read2_b64 v[50:53], v0 offset1:1
	s_waitcnt lgkmcnt(1)
	v_fma_f64 v[0:1], -v[38:39], v[48:49], v[42:43]
	v_mov_b32_e32 v42, s7
	s_add_i32 s7, s8, 0xfffffcf0
	global_store_dwordx2 v[34:35], v[40:41], off offset:-8
	v_mov_b32_e32 v43, s7
	v_fma_f64 v[0:1], -v[40:41], v[46:47], v[0:1]
	ds_read_b64 v[46:47], v42
	ds_read2_b64 v[42:45], v43 offset1:1
	s_add_i32 s7, s8, 0xfffffce0
	s_waitcnt lgkmcnt(2)
	v_fma_f64 v[0:1], -v[2:3], v[52:53], v[0:1]
	v_mul_f64 v[0:1], v[50:51], v[0:1]
	s_waitcnt lgkmcnt(1)
	v_fma_f64 v[6:7], -v[38:39], v[46:47], v[6:7]
	s_waitcnt lgkmcnt(0)
	v_fma_f64 v[6:7], -v[40:41], v[44:45], v[6:7]
	v_mov_b32_e32 v44, s7
	ds_read2_b64 v[44:47], v44 offset1:1
	s_add_i32 s7, s8, 0xfffffc38
	v_fma_f64 v[6:7], -v[2:3], v[42:43], v[6:7]
	v_mov_b32_e32 v42, s7
	ds_read2_b64 v[48:51], v42 offset1:1
	s_add_i32 s7, s8, 0xfffffc28
	s_waitcnt lgkmcnt(1)
	v_fma_f64 v[6:7], -v[0:1], v[46:47], v[6:7]
	v_mov_b32_e32 v42, s7
	v_mul_f64 v[6:7], v[44:45], v[6:7]
	s_add_i32 s7, s8, 0xfffffc18
	ds_read2_b64 v[42:45], v42 offset1:1
	v_mov_b32_e32 v46, s7
	ds_read2_b64 v[52:55], v46 offset1:1
	s_waitcnt lgkmcnt(2)
	v_fma_f64 v[4:5], -v[38:39], v[50:51], v[4:5]
	v_fma_f64 v[4:5], -v[40:41], v[48:49], v[4:5]
	s_waitcnt lgkmcnt(1)
	v_fma_f64 v[4:5], -v[2:3], v[44:45], v[4:5]
	v_fma_f64 v[4:5], -v[0:1], v[42:43], v[4:5]
	s_add_i32 s7, s8, 0xfffffb80
	s_waitcnt lgkmcnt(0)
	v_fma_f64 v[4:5], -v[6:7], v[54:55], v[4:5]
	v_mov_b32_e32 v42, s7
	s_add_i32 s7, s8, 0xfffffb78
	v_mul_f64 v[4:5], v[52:53], v[4:5]
	ds_read_b64 v[50:51], v42
	v_mov_b32_e32 v42, s7
	s_add_i32 s7, s8, 0xfffffb68
	global_store_dwordx4 v[34:35], v[0:3], off offset:-24
	global_store_dwordx4 v[34:35], v[4:7], off offset:-40
	v_mov_b32_e32 v43, s7
	ds_read_b64 v[52:53], v42
	ds_read2_b64 v[42:45], v43 offset1:1
	s_add_i32 s7, s8, 0xfffffb58
	s_waitcnt lgkmcnt(2)
	v_fma_f64 v[10:11], -v[38:39], v[50:51], v[10:11]
	v_mov_b32_e32 v46, s7
	s_waitcnt lgkmcnt(1)
	v_fma_f64 v[10:11], -v[40:41], v[52:53], v[10:11]
	ds_read2_b64 v[46:49], v46 offset1:1
	s_waitcnt lgkmcnt(1)
	v_fma_f64 v[10:11], -v[2:3], v[44:45], v[10:11]
	s_add_i32 s7, s8, 0xfffffb50
	v_fma_f64 v[10:11], -v[0:1], v[42:43], v[10:11]
	v_mov_b32_e32 v42, s7
	ds_read_b64 v[42:43], v42
	s_waitcnt lgkmcnt(1)
	v_fma_f64 v[10:11], -v[6:7], v[48:49], v[10:11]
	s_add_i32 s7, s8, 0xfffffac0
	v_fma_f64 v[10:11], -v[4:5], v[46:47], v[10:11]
	v_mov_b32_e32 v44, s7
	s_add_i32 s7, s8, 0xfffffab0
	ds_read_b64 v[46:47], v44
	s_waitcnt lgkmcnt(1)
	v_mul_f64 v[10:11], v[42:43], v[10:11]
	v_mov_b32_e32 v42, s7
	ds_read2_b64 v[42:45], v42 offset1:1
	s_add_i32 s7, s8, 0xfffffaa0
	s_waitcnt lgkmcnt(1)
	v_fma_f64 v[8:9], -v[38:39], v[46:47], v[8:9]
	v_mov_b32_e32 v46, s7
	ds_read2_b64 v[46:49], v46 offset1:1
	s_waitcnt lgkmcnt(1)
	v_fma_f64 v[8:9], -v[40:41], v[44:45], v[8:9]
	s_add_i32 s7, s8, 0xfffffa90
	v_fma_f64 v[8:9], -v[2:3], v[42:43], v[8:9]
	v_mov_b32_e32 v42, s7
	ds_read2_b64 v[42:45], v42 offset1:1
	s_waitcnt lgkmcnt(1)
	v_fma_f64 v[8:9], -v[0:1], v[48:49], v[8:9]
	s_add_i32 s7, s8, 0xfffffa88
	v_fma_f64 v[8:9], -v[6:7], v[46:47], v[8:9]
	v_mov_b32_e32 v50, s7
	s_waitcnt lgkmcnt(0)
	v_fma_f64 v[8:9], -v[4:5], v[44:45], v[8:9]
	s_add_i32 s7, s8, 0xfffffa00
	v_fma_f64 v[8:9], -v[10:11], v[42:43], v[8:9]
	v_mov_b32_e32 v42, s7
	ds_read_b64 v[42:43], v42
	s_add_i32 s7, s8, 0xfffff9f8
	v_mov_b32_e32 v44, s7
	ds_read_b64 v[46:47], v44
	ds_read_b64 v[50:51], v50
	s_add_i32 s7, s8, 0xfffff9e8
	s_waitcnt lgkmcnt(2)
	v_fma_f64 v[14:15], -v[38:39], v[42:43], v[14:15]
	v_mov_b32_e32 v42, s7
	ds_read2_b64 v[42:45], v42 offset1:1
	s_add_i32 s7, s8, 0xfffff9d8
	s_waitcnt lgkmcnt(2)
	v_fma_f64 v[14:15], -v[40:41], v[46:47], v[14:15]
	v_mov_b32_e32 v46, s7
	ds_read2_b64 v[46:49], v46 offset1:1
	s_add_i32 s7, s8, 0xfffff9c8
	s_waitcnt lgkmcnt(2)
	v_mul_f64 v[8:9], v[50:51], v[8:9]
	v_mov_b32_e32 v50, s7
	ds_read2_b64 v[50:53], v50 offset1:1
	s_waitcnt lgkmcnt(2)
	v_fma_f64 v[14:15], -v[2:3], v[44:45], v[14:15]
	v_fma_f64 v[14:15], -v[0:1], v[42:43], v[14:15]
	s_waitcnt lgkmcnt(1)
	v_fma_f64 v[14:15], -v[6:7], v[48:49], v[14:15]
	v_fma_f64 v[14:15], -v[4:5], v[46:47], v[14:15]
	s_add_i32 s7, s8, 0xfffff9c0
	s_waitcnt lgkmcnt(0)
	v_fma_f64 v[14:15], -v[10:11], v[52:53], v[14:15]
	v_mov_b32_e32 v42, s7
	s_add_i32 s7, s8, 0xfffff940
	v_fma_f64 v[14:15], -v[8:9], v[50:51], v[14:15]
	ds_read_b64 v[50:51], v42
	v_mov_b32_e32 v42, s7
	s_add_i32 s7, s8, 0xfffff930
	ds_read_b64 v[52:53], v42
	v_mov_b32_e32 v42, s7
	s_add_i32 s7, s8, 0xfffff920
	ds_read2_b64 v[42:45], v42 offset1:1
	v_mov_b32_e32 v46, s7
	ds_read2_b64 v[46:49], v46 offset1:1
	s_waitcnt lgkmcnt(2)
	v_fma_f64 v[12:13], -v[38:39], v[52:53], v[12:13]
	s_add_i32 s7, s8, 0xfffff910
	s_waitcnt lgkmcnt(1)
	v_fma_f64 v[12:13], -v[40:41], v[44:45], v[12:13]
	v_fma_f64 v[12:13], -v[2:3], v[42:43], v[12:13]
	s_waitcnt lgkmcnt(0)
	v_fma_f64 v[12:13], -v[0:1], v[48:49], v[12:13]
	v_mov_b32_e32 v42, s7
	s_add_i32 s7, s8, 0xfffff900
	global_store_dwordx4 v[34:35], v[8:11], off offset:-56
	v_fma_f64 v[12:13], -v[6:7], v[46:47], v[12:13]
	v_mov_b32_e32 v46, s7
	ds_read2_b64 v[42:45], v42 offset1:1
	ds_read2_b64 v[46:49], v46 offset1:1
	s_add_i32 s7, s8, 0xfffff8f8
	v_mul_f64 v[14:15], v[50:51], v[14:15]
	v_mov_b32_e32 v50, s7
	s_waitcnt lgkmcnt(1)
	v_fma_f64 v[12:13], -v[4:5], v[44:45], v[12:13]
	s_add_i32 s7, s8, 0xfffff880
	v_fma_f64 v[12:13], -v[10:11], v[42:43], v[12:13]
	v_mov_b32_e32 v42, s7
	ds_read_b64 v[42:43], v42
	s_add_i32 s7, s8, 0xfffff878
	s_waitcnt lgkmcnt(1)
	v_fma_f64 v[12:13], -v[8:9], v[48:49], v[12:13]
	v_mov_b32_e32 v44, s7
	v_fma_f64 v[12:13], -v[14:15], v[46:47], v[12:13]
	ds_read_b64 v[46:47], v44
	s_add_i32 s7, s8, 0xfffff868
	ds_read_b64 v[50:51], v50
	s_waitcnt lgkmcnt(2)
	v_fma_f64 v[18:19], -v[38:39], v[42:43], v[18:19]
	v_mov_b32_e32 v42, s7
	ds_read2_b64 v[42:45], v42 offset1:1
	s_add_i32 s7, s8, 0xfffff858
	s_waitcnt lgkmcnt(2)
	v_fma_f64 v[18:19], -v[40:41], v[46:47], v[18:19]
	v_mov_b32_e32 v46, s7
	ds_read2_b64 v[46:49], v46 offset1:1
	s_add_i32 s7, s8, 0xfffff848
	s_waitcnt lgkmcnt(2)
	v_mul_f64 v[12:13], v[50:51], v[12:13]
	v_mov_b32_e32 v50, s7
	ds_read2_b64 v[50:53], v50 offset1:1
	s_waitcnt lgkmcnt(2)
	v_fma_f64 v[18:19], -v[2:3], v[44:45], v[18:19]
	s_add_i32 s7, s8, 0xfffff838
	v_fma_f64 v[18:19], -v[0:1], v[42:43], v[18:19]
	v_mov_b32_e32 v42, s7
	ds_read2_b64 v[42:45], v42 offset1:1
	s_waitcnt lgkmcnt(2)
	v_fma_f64 v[18:19], -v[6:7], v[48:49], v[18:19]
	v_fma_f64 v[18:19], -v[4:5], v[46:47], v[18:19]
	s_add_i32 s7, s8, 0xfffff830
	s_waitcnt lgkmcnt(1)
	v_fma_f64 v[18:19], -v[10:11], v[52:53], v[18:19]
	v_mov_b32_e32 v46, s7
	s_add_i32 s7, s8, 0xfffff7b8
	global_store_dwordx4 v[34:35], v[12:15], off offset:-72
	v_mov_b32_e32 v47, s7
	v_fma_f64 v[18:19], -v[8:9], v[50:51], v[18:19]
	ds_read_b64 v[52:53], v46
	ds_read2_b64 v[46:49], v47 offset1:1
	s_waitcnt lgkmcnt(2)
	v_fma_f64 v[18:19], -v[14:15], v[44:45], v[18:19]
	s_add_i32 s7, s8, 0xfffff7a8
	v_fma_f64 v[18:19], -v[12:13], v[42:43], v[18:19]
	v_mov_b32_e32 v42, s7
	ds_read2_b64 v[42:45], v42 offset1:1
	s_waitcnt lgkmcnt(1)
	v_fma_f64 v[16:17], -v[38:39], v[48:49], v[16:17]
	s_add_i32 s7, s8, 0xfffff798
	v_fma_f64 v[16:17], -v[40:41], v[46:47], v[16:17]
	v_mov_b32_e32 v46, s7
	;; [unrolled: 6-line block ×3, first 2 shown]
	ds_read2_b64 v[42:45], v42 offset1:1
	s_add_i32 s7, s8, 0xfffff778
	s_waitcnt lgkmcnt(1)
	v_fma_f64 v[16:17], -v[6:7], v[48:49], v[16:17]
	v_mov_b32_e32 v50, s7
	v_fma_f64 v[16:17], -v[4:5], v[46:47], v[16:17]
	v_mul_f64 v[18:19], v[52:53], v[18:19]
	ds_read2_b64 v[50:53], v50 offset1:1
	s_waitcnt lgkmcnt(1)
	v_fma_f64 v[16:17], -v[10:11], v[44:45], v[16:17]
	s_add_i32 s7, s8, 0xfffff768
	v_fma_f64 v[16:17], -v[8:9], v[42:43], v[16:17]
	v_mov_b32_e32 v42, s7
	ds_read2_b64 v[42:45], v42 offset1:1
	s_waitcnt lgkmcnt(1)
	v_fma_f64 v[16:17], -v[14:15], v[52:53], v[16:17]
	s_add_i32 s7, s8, 0xfffff700
	v_fma_f64 v[16:17], -v[12:13], v[50:51], v[16:17]
	v_mov_b32_e32 v46, s7
	ds_read_b64 v[46:47], v46
	s_waitcnt lgkmcnt(1)
	v_fma_f64 v[16:17], -v[18:19], v[44:45], v[16:17]
	s_add_i32 s7, s8, 0xfffff6f0
	v_mul_f64 v[16:17], v[42:43], v[16:17]
	v_mov_b32_e32 v42, s7
	ds_read2_b64 v[42:45], v42 offset1:1
	s_add_i32 s7, s8, 0xfffff6e0
	s_waitcnt lgkmcnt(1)
	v_fma_f64 v[22:23], -v[38:39], v[46:47], v[22:23]
	v_mov_b32_e32 v46, s7
	ds_read2_b64 v[46:49], v46 offset1:1
	s_waitcnt lgkmcnt(1)
	v_fma_f64 v[22:23], -v[40:41], v[44:45], v[22:23]
	s_add_i32 s7, s8, 0xfffff6d0
	v_fma_f64 v[22:23], -v[2:3], v[42:43], v[22:23]
	v_mov_b32_e32 v42, s7
	ds_read2_b64 v[42:45], v42 offset1:1
	s_add_i32 s7, s8, 0xfffff6c0
	s_waitcnt lgkmcnt(1)
	v_fma_f64 v[22:23], -v[0:1], v[48:49], v[22:23]
	v_mov_b32_e32 v50, s7
	ds_read2_b64 v[50:53], v50 offset1:1
	v_fma_f64 v[22:23], -v[6:7], v[46:47], v[22:23]
	s_waitcnt lgkmcnt(1)
	v_fma_f64 v[22:23], -v[4:5], v[44:45], v[22:23]
	s_add_i32 s7, s8, 0xfffff6b0
	v_fma_f64 v[22:23], -v[10:11], v[42:43], v[22:23]
	v_mov_b32_e32 v42, s7
	ds_read2_b64 v[42:45], v42 offset1:1
	s_waitcnt lgkmcnt(1)
	v_fma_f64 v[22:23], -v[8:9], v[52:53], v[22:23]
	s_add_i32 s7, s8, 0xfffff6a0
	v_fma_f64 v[22:23], -v[14:15], v[50:51], v[22:23]
	v_mov_b32_e32 v46, s7
	ds_read2_b64 v[46:49], v46 offset1:1
	;; [unrolled: 6-line block ×3, first 2 shown]
	s_add_i32 s7, s8, 0xfffff628
	v_mov_b32_e32 v50, s7
	ds_read2_b64 v[50:53], v50 offset1:1
	s_add_i32 s7, s8, 0xfffff618
	s_waitcnt lgkmcnt(1)
	v_fma_f64 v[20:21], -v[38:39], v[44:45], v[20:21]
	v_fma_f64 v[20:21], -v[40:41], v[42:43], v[20:21]
	v_mov_b32_e32 v42, s7
	ds_read2_b64 v[42:45], v42 offset1:1
	v_fma_f64 v[22:23], -v[16:17], v[48:49], v[22:23]
	s_waitcnt lgkmcnt(1)
	v_fma_f64 v[20:21], -v[2:3], v[52:53], v[20:21]
	s_add_i32 s7, s8, 0xfffff608
	v_mul_f64 v[22:23], v[46:47], v[22:23]
	v_fma_f64 v[20:21], -v[0:1], v[50:51], v[20:21]
	v_mov_b32_e32 v46, s7
	ds_read2_b64 v[46:49], v46 offset1:1
	s_waitcnt lgkmcnt(1)
	v_fma_f64 v[20:21], -v[6:7], v[44:45], v[20:21]
	s_add_i32 s7, s8, 0xfffff5f8
	v_fma_f64 v[20:21], -v[4:5], v[42:43], v[20:21]
	v_mov_b32_e32 v42, s7
	ds_read2_b64 v[42:45], v42 offset1:1
	s_add_i32 s7, s8, 0xfffff5e8
	s_waitcnt lgkmcnt(1)
	v_fma_f64 v[20:21], -v[10:11], v[48:49], v[20:21]
	v_mov_b32_e32 v50, s7
	ds_read2_b64 v[50:53], v50 offset1:1
	v_fma_f64 v[20:21], -v[8:9], v[46:47], v[20:21]
	s_waitcnt lgkmcnt(1)
	v_fma_f64 v[20:21], -v[14:15], v[44:45], v[20:21]
	s_add_i32 s7, s8, 0xfffff5d8
	v_fma_f64 v[20:21], -v[12:13], v[42:43], v[20:21]
	v_mov_b32_e32 v42, s7
	ds_read2_b64 v[42:45], v42 offset1:1
	s_waitcnt lgkmcnt(1)
	v_fma_f64 v[20:21], -v[18:19], v[52:53], v[20:21]
	s_add_i32 s7, s8, 0xfffff580
	v_fma_f64 v[20:21], -v[16:17], v[50:51], v[20:21]
	v_mov_b32_e32 v46, s7
	ds_read_b64 v[50:51], v46
	s_waitcnt lgkmcnt(1)
	v_fma_f64 v[20:21], -v[22:23], v[44:45], v[20:21]
	s_add_i32 s7, s8, 0xfffff570
	v_mul_f64 v[20:21], v[42:43], v[20:21]
	v_mov_b32_e32 v42, s7
	ds_read2_b64 v[42:45], v42 offset1:1
	s_add_i32 s7, s8, 0xfffff560
	v_mov_b32_e32 v46, s7
	ds_read2_b64 v[46:49], v46 offset1:1
	s_waitcnt lgkmcnt(2)
	v_fma_f64 v[26:27], -v[38:39], v[50:51], v[26:27]
	s_waitcnt lgkmcnt(1)
	v_fma_f64 v[26:27], -v[40:41], v[44:45], v[26:27]
	s_add_i32 s7, s8, 0xfffff550
	v_fma_f64 v[26:27], -v[2:3], v[42:43], v[26:27]
	v_mov_b32_e32 v42, s7
	ds_read2_b64 v[42:45], v42 offset1:1
	s_waitcnt lgkmcnt(1)
	v_fma_f64 v[26:27], -v[0:1], v[48:49], v[26:27]
	s_add_i32 s7, s8, 0xfffff540
	v_fma_f64 v[26:27], -v[6:7], v[46:47], v[26:27]
	v_mov_b32_e32 v46, s7
	ds_read2_b64 v[46:49], v46 offset1:1
	s_waitcnt lgkmcnt(1)
	v_fma_f64 v[26:27], -v[4:5], v[44:45], v[26:27]
	s_add_i32 s7, s8, 0xfffff530
	v_fma_f64 v[26:27], -v[10:11], v[42:43], v[26:27]
	v_mov_b32_e32 v42, s7
	ds_read2_b64 v[42:45], v42 offset1:1
	s_add_i32 s7, s8, 0xfffff520
	s_waitcnt lgkmcnt(1)
	v_fma_f64 v[26:27], -v[8:9], v[48:49], v[26:27]
	v_mov_b32_e32 v50, s7
	ds_read2_b64 v[50:53], v50 offset1:1
	v_fma_f64 v[26:27], -v[14:15], v[46:47], v[26:27]
	s_waitcnt lgkmcnt(1)
	v_fma_f64 v[26:27], -v[12:13], v[44:45], v[26:27]
	s_add_i32 s7, s8, 0xfffff510
	v_fma_f64 v[26:27], -v[18:19], v[42:43], v[26:27]
	v_mov_b32_e32 v42, s7
	ds_read2_b64 v[42:45], v42 offset1:1
	s_waitcnt lgkmcnt(1)
	v_fma_f64 v[26:27], -v[16:17], v[52:53], v[26:27]
	s_add_i32 s7, s8, 0xfffff4b8
	v_fma_f64 v[26:27], -v[22:23], v[50:51], v[26:27]
	v_mov_b32_e32 v46, s7
	ds_read2_b64 v[46:49], v46 offset1:1
	s_waitcnt lgkmcnt(1)
	v_fma_f64 v[26:27], -v[20:21], v[44:45], v[26:27]
	s_add_i32 s7, s8, 0xfffff4a8
	v_mul_f64 v[26:27], v[42:43], v[26:27]
	v_mov_b32_e32 v42, s7
	ds_read2_b64 v[42:45], v42 offset1:1
	s_add_i32 s7, s8, 0xfffff498
	s_waitcnt lgkmcnt(1)
	v_fma_f64 v[24:25], -v[38:39], v[48:49], v[24:25]
	v_mov_b32_e32 v50, s7
	ds_read2_b64 v[50:53], v50 offset1:1
	v_fma_f64 v[24:25], -v[40:41], v[46:47], v[24:25]
	s_waitcnt lgkmcnt(1)
	v_fma_f64 v[24:25], -v[2:3], v[44:45], v[24:25]
	s_add_i32 s7, s8, 0xfffff488
	v_fma_f64 v[24:25], -v[0:1], v[42:43], v[24:25]
	v_mov_b32_e32 v42, s7
	ds_read2_b64 v[42:45], v42 offset1:1
	s_waitcnt lgkmcnt(1)
	v_fma_f64 v[24:25], -v[6:7], v[52:53], v[24:25]
	s_add_i32 s7, s8, 0xfffff478
	v_fma_f64 v[24:25], -v[4:5], v[50:51], v[24:25]
	v_mov_b32_e32 v46, s7
	ds_read2_b64 v[46:49], v46 offset1:1
	;; [unrolled: 6-line block ×3, first 2 shown]
	s_add_i32 s7, s8, 0xfffff458
	s_waitcnt lgkmcnt(1)
	v_fma_f64 v[24:25], -v[14:15], v[48:49], v[24:25]
	v_mov_b32_e32 v50, s7
	ds_read2_b64 v[50:53], v50 offset1:1
	v_fma_f64 v[24:25], -v[12:13], v[46:47], v[24:25]
	s_waitcnt lgkmcnt(1)
	v_fma_f64 v[24:25], -v[18:19], v[44:45], v[24:25]
	s_add_i32 s7, s8, 0xfffff448
	v_fma_f64 v[24:25], -v[16:17], v[42:43], v[24:25]
	v_mov_b32_e32 v42, s7
	ds_read2_b64 v[42:45], v42 offset1:1
	s_waitcnt lgkmcnt(1)
	v_fma_f64 v[24:25], -v[22:23], v[52:53], v[24:25]
	s_add_i32 s7, s8, 0xfffff400
	v_fma_f64 v[24:25], -v[20:21], v[50:51], v[24:25]
	v_mov_b32_e32 v46, s7
	ds_read_b64 v[46:47], v46
	s_waitcnt lgkmcnt(1)
	v_fma_f64 v[24:25], -v[26:27], v[44:45], v[24:25]
	s_add_i32 s7, s8, 0xfffff3f0
	v_mul_f64 v[24:25], v[42:43], v[24:25]
	v_mov_b32_e32 v42, s7
	ds_read2_b64 v[42:45], v42 offset1:1
	s_add_i32 s7, s8, 0xfffff3e0
	s_waitcnt lgkmcnt(1)
	v_fma_f64 v[30:31], -v[38:39], v[46:47], v[30:31]
	v_mov_b32_e32 v46, s7
	ds_read2_b64 v[46:49], v46 offset1:1
	s_waitcnt lgkmcnt(1)
	v_fma_f64 v[30:31], -v[40:41], v[44:45], v[30:31]
	s_add_i32 s7, s8, 0xfffff3d0
	v_fma_f64 v[30:31], -v[2:3], v[42:43], v[30:31]
	v_mov_b32_e32 v42, s7
	ds_read2_b64 v[42:45], v42 offset1:1
	s_add_i32 s7, s8, 0xfffff3c0
	s_waitcnt lgkmcnt(1)
	v_fma_f64 v[30:31], -v[0:1], v[48:49], v[30:31]
	v_mov_b32_e32 v50, s7
	ds_read2_b64 v[50:53], v50 offset1:1
	v_fma_f64 v[30:31], -v[6:7], v[46:47], v[30:31]
	s_waitcnt lgkmcnt(1)
	v_fma_f64 v[30:31], -v[4:5], v[44:45], v[30:31]
	s_add_i32 s7, s8, 0xfffff3b0
	v_fma_f64 v[30:31], -v[10:11], v[42:43], v[30:31]
	v_mov_b32_e32 v42, s7
	ds_read2_b64 v[42:45], v42 offset1:1
	s_waitcnt lgkmcnt(1)
	v_fma_f64 v[30:31], -v[8:9], v[52:53], v[30:31]
	s_add_i32 s7, s8, 0xfffff3a0
	v_fma_f64 v[30:31], -v[14:15], v[50:51], v[30:31]
	v_mov_b32_e32 v46, s7
	ds_read2_b64 v[46:49], v46 offset1:1
	;; [unrolled: 6-line block ×3, first 2 shown]
	s_add_i32 s7, s8, 0xfffff380
	s_waitcnt lgkmcnt(1)
	v_fma_f64 v[30:31], -v[16:17], v[48:49], v[30:31]
	v_mov_b32_e32 v50, s7
	ds_read2_b64 v[50:53], v50 offset1:1
	v_fma_f64 v[30:31], -v[22:23], v[46:47], v[30:31]
	s_waitcnt lgkmcnt(1)
	v_fma_f64 v[30:31], -v[20:21], v[44:45], v[30:31]
	s_add_i32 s7, s8, 0xfffff338
	v_fma_f64 v[30:31], -v[26:27], v[42:43], v[30:31]
	v_mov_b32_e32 v42, s7
	ds_read2_b64 v[42:45], v42 offset1:1
	s_add_i32 s7, s8, 0xfffff328
	v_mov_b32_e32 v46, s7
	ds_read2_b64 v[46:49], v46 offset1:1
	s_add_i32 s7, s8, 0xfffff318
	s_waitcnt lgkmcnt(1)
	v_fma_f64 v[28:29], -v[38:39], v[44:45], v[28:29]
	v_fma_f64 v[28:29], -v[40:41], v[42:43], v[28:29]
	v_mov_b32_e32 v42, s7
	ds_read2_b64 v[42:45], v42 offset1:1
	v_fma_f64 v[30:31], -v[24:25], v[52:53], v[30:31]
	s_add_i32 s7, s8, 0xfffff308
	s_waitcnt lgkmcnt(1)
	v_fma_f64 v[28:29], -v[2:3], v[48:49], v[28:29]
	v_mul_f64 v[30:31], v[50:51], v[30:31]
	v_mov_b32_e32 v50, s7
	ds_read2_b64 v[50:53], v50 offset1:1
	v_fma_f64 v[28:29], -v[0:1], v[46:47], v[28:29]
	s_waitcnt lgkmcnt(1)
	v_fma_f64 v[28:29], -v[6:7], v[44:45], v[28:29]
	s_add_i32 s7, s8, 0xfffff2f8
	v_fma_f64 v[28:29], -v[4:5], v[42:43], v[28:29]
	v_mov_b32_e32 v42, s7
	ds_read2_b64 v[42:45], v42 offset1:1
	s_waitcnt lgkmcnt(1)
	v_fma_f64 v[28:29], -v[10:11], v[52:53], v[28:29]
	s_add_i32 s7, s8, 0xfffff2e8
	v_fma_f64 v[28:29], -v[8:9], v[50:51], v[28:29]
	v_mov_b32_e32 v46, s7
	ds_read2_b64 v[46:49], v46 offset1:1
	;; [unrolled: 6-line block ×3, first 2 shown]
	s_add_i32 s7, s8, 0xfffff2c8
	s_waitcnt lgkmcnt(1)
	v_fma_f64 v[28:29], -v[18:19], v[48:49], v[28:29]
	v_mov_b32_e32 v50, s7
	ds_read2_b64 v[50:53], v50 offset1:1
	v_fma_f64 v[28:29], -v[16:17], v[46:47], v[28:29]
	s_waitcnt lgkmcnt(1)
	v_fma_f64 v[28:29], -v[22:23], v[44:45], v[28:29]
	s_add_i32 s7, s8, 0xfffff2b8
	v_fma_f64 v[28:29], -v[20:21], v[42:43], v[28:29]
	v_mov_b32_e32 v42, s7
	ds_read2_b64 v[42:45], v42 offset1:1
	s_waitcnt lgkmcnt(1)
	v_fma_f64 v[28:29], -v[26:27], v[52:53], v[28:29]
	s_add_i32 s7, s8, 0xfffff280
	v_fma_f64 v[28:29], -v[24:25], v[50:51], v[28:29]
	v_mov_b32_e32 v46, s7
	ds_read_b64 v[46:47], v46
	s_waitcnt lgkmcnt(1)
	v_fma_f64 v[28:29], -v[30:31], v[44:45], v[28:29]
	s_add_i32 s7, s8, 0xfffff270
	v_mul_f64 v[28:29], v[42:43], v[28:29]
	v_mov_b32_e32 v42, s7
	ds_read2_b64 v[42:45], v42 offset1:1
	s_add_i32 s7, s8, 0xfffff260
	s_waitcnt lgkmcnt(1)
	v_fma_f64 v[36:37], -v[38:39], v[46:47], v[36:37]
	v_mov_b32_e32 v46, s7
	ds_read2_b64 v[46:49], v46 offset1:1
	s_waitcnt lgkmcnt(1)
	v_fma_f64 v[36:37], -v[40:41], v[44:45], v[36:37]
	s_add_i32 s7, s8, 0xfffff250
	v_fma_f64 v[36:37], -v[2:3], v[42:43], v[36:37]
	v_mov_b32_e32 v42, s7
	ds_read2_b64 v[42:45], v42 offset1:1
	s_add_i32 s7, s8, 0xfffff240
	s_waitcnt lgkmcnt(1)
	v_fma_f64 v[36:37], -v[0:1], v[48:49], v[36:37]
	v_mov_b32_e32 v50, s7
	ds_read2_b64 v[50:53], v50 offset1:1
	v_fma_f64 v[36:37], -v[6:7], v[46:47], v[36:37]
	s_waitcnt lgkmcnt(1)
	v_fma_f64 v[36:37], -v[4:5], v[44:45], v[36:37]
	s_add_i32 s7, s8, 0xfffff230
	v_fma_f64 v[36:37], -v[10:11], v[42:43], v[36:37]
	v_mov_b32_e32 v42, s7
	ds_read2_b64 v[42:45], v42 offset1:1
	s_waitcnt lgkmcnt(1)
	v_fma_f64 v[36:37], -v[8:9], v[52:53], v[36:37]
	s_add_i32 s7, s8, 0xfffff220
	v_fma_f64 v[36:37], -v[14:15], v[50:51], v[36:37]
	v_mov_b32_e32 v46, s7
	ds_read2_b64 v[46:49], v46 offset1:1
	;; [unrolled: 6-line block ×3, first 2 shown]
	s_add_i32 s7, s8, 0xfffff200
	s_waitcnt lgkmcnt(1)
	v_fma_f64 v[36:37], -v[16:17], v[48:49], v[36:37]
	v_mov_b32_e32 v50, s7
	ds_read2_b64 v[50:53], v50 offset1:1
	v_fma_f64 v[36:37], -v[22:23], v[46:47], v[36:37]
	s_waitcnt lgkmcnt(1)
	v_fma_f64 v[36:37], -v[20:21], v[44:45], v[36:37]
	s_add_i32 s7, s8, 0xfffff1f0
	v_fma_f64 v[36:37], -v[26:27], v[42:43], v[36:37]
	v_mov_b32_e32 v42, s7
	ds_read2_b64 v[42:45], v42 offset1:1
	s_waitcnt lgkmcnt(1)
	v_fma_f64 v[36:37], -v[24:25], v[52:53], v[36:37]
	s_add_i32 s7, s8, 0xfffff1b8
	v_fma_f64 v[36:37], -v[30:31], v[50:51], v[36:37]
	v_mov_b32_e32 v46, s7
	ds_read2_b64 v[46:49], v46 offset1:1
	s_waitcnt lgkmcnt(1)
	v_fma_f64 v[36:37], -v[28:29], v[44:45], v[36:37]
	s_add_i32 s7, s8, 0xfffff1a8
	v_mul_f64 v[42:43], v[42:43], v[36:37]
	v_mov_b32_e32 v36, s7
	ds_read2_b64 v[50:53], v36 offset1:1
	s_add_i32 s7, s8, 0xfffff198
	v_mov_b32_e32 v36, s7
	ds_read2_b64 v[54:57], v36 offset1:1
	s_waitcnt lgkmcnt(2)
	v_fma_f64 v[32:33], -v[38:39], v[48:49], v[32:33]
	v_fma_f64 v[32:33], -v[40:41], v[46:47], v[32:33]
	s_waitcnt lgkmcnt(1)
	v_fma_f64 v[2:3], -v[2:3], v[52:53], v[32:33]
	v_fma_f64 v[0:1], -v[0:1], v[50:51], v[2:3]
	s_add_i32 s7, s8, 0xfffff188
	s_waitcnt lgkmcnt(0)
	v_fma_f64 v[6:7], -v[6:7], v[56:57], v[0:1]
	v_mov_b32_e32 v0, s7
	ds_read2_b64 v[0:3], v0 offset1:1
	s_add_i32 s7, s8, 0xfffff178
	v_fma_f64 v[32:33], -v[4:5], v[54:55], v[6:7]
	v_mov_b32_e32 v4, s7
	ds_read2_b64 v[4:7], v4 offset1:1
	s_waitcnt lgkmcnt(1)
	v_fma_f64 v[2:3], -v[10:11], v[2:3], v[32:33]
	s_add_i32 s7, s8, 0xfffff168
	v_fma_f64 v[32:33], -v[8:9], v[0:1], v[2:3]
	v_mov_b32_e32 v0, s7
	s_add_i32 s7, s8, 0xfffff158
	ds_read2_b64 v[0:3], v0 offset1:1
	v_mov_b32_e32 v8, s7
	ds_read2_b64 v[8:11], v8 offset1:1
	s_waitcnt lgkmcnt(2)
	v_fma_f64 v[6:7], -v[14:15], v[6:7], v[32:33]
	v_fma_f64 v[4:5], -v[12:13], v[4:5], v[6:7]
	s_waitcnt lgkmcnt(1)
	v_fma_f64 v[2:3], -v[18:19], v[2:3], v[4:5]
	v_fma_f64 v[0:1], -v[16:17], v[0:1], v[2:3]
	s_waitcnt lgkmcnt(0)
	v_fma_f64 v[0:1], -v[22:23], v[10:11], v[0:1]
	s_add_i32 s7, s8, 0xfffff148
	v_fma_f64 v[12:13], -v[20:21], v[8:9], v[0:1]
	v_mov_b32_e32 v0, s7
	s_add_i32 s7, s8, 0xfffff138
	global_store_dwordx4 v[34:35], v[16:19], off offset:-88
	global_store_dwordx4 v[34:35], v[20:23], off offset:-104
	;; [unrolled: 1-line block ×4, first 2 shown]
	v_mov_b32_e32 v4, s7
	ds_read2_b64 v[0:3], v0 offset1:1
	ds_read2_b64 v[4:7], v4 offset1:1
	s_add_i32 s7, s8, 0xfffff128
	v_mov_b32_e32 v8, s7
	ds_read2_b64 v[8:11], v8 offset1:1
	s_waitcnt lgkmcnt(2)
	v_fma_f64 v[2:3], -v[26:27], v[2:3], v[12:13]
	v_fma_f64 v[0:1], -v[24:25], v[0:1], v[2:3]
	s_waitcnt lgkmcnt(1)
	v_fma_f64 v[0:1], -v[30:31], v[6:7], v[0:1]
	v_fma_f64 v[0:1], -v[28:29], v[4:5], v[0:1]
	s_waitcnt lgkmcnt(0)
	v_fma_f64 v[0:1], -v[42:43], v[10:11], v[0:1]
	v_mul_f64 v[40:41], v[8:9], v[0:1]
	s_sub_i32 s6, s6, 20
	global_store_dwordx4 v[34:35], v[40:43], off offset:-152
.LBB95_20:
	s_cmp_lt_i32 s6, 0
	s_cbranch_scc1 .LBB95_33
; %bb.21:
	s_bitcmp1_b32 s6, 0
	s_cselect_b64 s[8:9], -1, 0
	s_and_b64 vcc, exec, s[8:9]
	s_mov_b32 s8, s6
	s_cbranch_vccnz .LBB95_26
; %bb.22:
	s_mov_b32 s7, 0
	s_lshl_b64 s[8:9], s[6:7], 3
	v_mov_b32_e32 v1, s9
	v_add_co_u32_e32 v0, vcc, s8, v86
	v_addc_co_u32_e32 v1, vcc, v87, v1, vcc
	global_load_dwordx2 v[2:3], v[0:1], off
	s_cmp_le_i32 s18, s6
	s_waitcnt vmcnt(0)
	v_mul_f64 v[2:3], v[2:3], s[0:1]
	s_cbranch_scc1 .LBB95_25
; %bb.23:
	s_mul_i32 s7, s6, 0xc0
	s_lshl_b32 s8, s16, 3
	s_add_i32 s7, s7, s8
	s_ashr_i32 s19, s18, 31
	s_add_i32 s7, s7, -8
	s_lshl_b64 s[8:9], s[18:19], 3
	s_add_u32 s8, s10, s8
	s_addc_u32 s9, s11, s9
	s_add_u32 s8, s8, s4
	s_addc_u32 s9, s9, s5
	s_add_u32 s8, s8, s2
	s_addc_u32 s9, s9, s3
	v_mov_b32_e32 v5, s9
	v_add_co_u32_e32 v4, vcc, s8, v88
	v_addc_co_u32_e32 v5, vcc, v5, v89, vcc
	s_mov_b32 s8, s18
.LBB95_24:                              ; =>This Inner Loop Header: Depth=1
	global_load_dwordx2 v[6:7], v[4:5], off
	v_mov_b32_e32 v8, s7
	ds_read_b64 v[8:9], v8
	s_add_i32 s8, s8, -1
	s_add_i32 s7, s7, -8
	v_add_co_u32_e32 v4, vcc, -8, v4
	v_addc_co_u32_e32 v5, vcc, -1, v5, vcc
	s_cmp_gt_i32 s8, s6
	s_waitcnt vmcnt(0) lgkmcnt(0)
	v_fma_f64 v[2:3], -v[6:7], v[8:9], v[2:3]
	s_cbranch_scc1 .LBB95_24
.LBB95_25:
	s_mul_i32 s7, s6, 0xc8
	v_mov_b32_e32 v4, s7
	ds_read_b64 v[4:5], v4
	s_add_i32 s8, s6, -1
	s_waitcnt lgkmcnt(0)
	v_mul_f64 v[2:3], v[4:5], v[2:3]
	global_store_dwordx2 v[0:1], v[2:3], off
.LBB95_26:
	s_cmp_eq_u32 s6, 0
	s_mov_b32 s9, 0
	s_cbranch_scc1 .LBB95_33
; %bb.27:
	s_mul_i32 s6, s8, 0xc0
	s_lshl_b32 s7, s16, 3
	s_add_i32 s7, s6, s7
	s_ashr_i32 s19, s18, 31
	s_add_i32 s6, s7, -8
	s_lshl_b64 s[12:13], s[18:19], 3
	s_add_u32 s12, s10, s12
	s_addc_u32 s13, s11, s13
	s_add_u32 s12, s12, s4
	s_addc_u32 s13, s13, s5
	;; [unrolled: 2-line block ×3, first 2 shown]
	v_mov_b32_e32 v1, s13
	v_add_co_u32_e32 v0, vcc, s12, v88
	v_addc_co_u32_e32 v1, vcc, v1, v89, vcc
	s_addk_i32 s7, 0xff38
	s_branch .LBB95_29
.LBB95_28:                              ;   in Loop: Header=BB95_29 Depth=1
	s_addk_i32 s12, 0xff38
	v_mov_b32_e32 v6, s12
	ds_read_b64 v[6:7], v6
	s_add_i32 s12, s8, -2
	s_addk_i32 s6, 0xfe80
	s_addk_i32 s7, 0xfe80
	s_cmp_lt_i32 s8, 2
	s_waitcnt lgkmcnt(0)
	v_mul_f64 v[2:3], v[6:7], v[2:3]
	s_mov_b32 s8, s12
	global_store_dwordx2 v[4:5], v[2:3], off offset:-8
	s_cbranch_scc1 .LBB95_33
.LBB95_29:                              ; =>This Loop Header: Depth=1
                                        ;     Child Loop BB95_30 Depth 2
                                        ;     Child Loop BB95_32 Depth 2
	s_lshl_b64 s[12:13], s[8:9], 3
	v_mov_b32_e32 v3, s13
	v_add_co_u32_e32 v2, vcc, s12, v86
	v_addc_co_u32_e32 v3, vcc, v87, v3, vcc
	global_load_dwordx2 v[2:3], v[2:3], off
	v_pk_mov_b32 v[4:5], v[0:1], v[0:1] op_sel:[0,1]
	s_mov_b32 s12, s6
	s_cmp_le_i32 s18, s8
	s_mov_b32 s13, s18
	s_waitcnt vmcnt(0)
	v_mul_f64 v[2:3], v[2:3], s[0:1]
	s_cbranch_scc1 .LBB95_31
.LBB95_30:                              ;   Parent Loop BB95_29 Depth=1
                                        ; =>  This Inner Loop Header: Depth=2
	global_load_dwordx2 v[6:7], v[4:5], off
	v_mov_b32_e32 v8, s12
	ds_read_b64 v[8:9], v8
	s_add_i32 s13, s13, -1
	s_add_i32 s12, s12, -8
	v_add_co_u32_e32 v4, vcc, -8, v4
	v_addc_co_u32_e32 v5, vcc, -1, v5, vcc
	s_cmp_gt_i32 s13, s8
	s_waitcnt vmcnt(0) lgkmcnt(0)
	v_fma_f64 v[2:3], -v[6:7], v[8:9], v[2:3]
	s_cbranch_scc1 .LBB95_30
.LBB95_31:                              ;   in Loop: Header=BB95_29 Depth=1
	s_add_i32 s12, s8, -1
	s_mov_b32 s13, s9
	s_lshl_b64 s[12:13], s[12:13], 3
	v_mov_b32_e32 v5, s13
	v_add_co_u32_e32 v4, vcc, s12, v86
	v_addc_co_u32_e32 v5, vcc, v87, v5, vcc
	global_load_dwordx2 v[8:9], v[4:5], off
	s_mul_i32 s12, s8, 0xc8
	v_mov_b32_e32 v4, s12
	ds_read_b64 v[10:11], v4
	s_ashr_i32 s21, s8, 31
	s_mov_b32 s20, s8
	s_lshl_b64 s[20:21], s[20:21], 3
	v_mov_b32_e32 v5, s21
	v_add_co_u32_e32 v4, vcc, s20, v86
	v_addc_co_u32_e32 v5, vcc, v87, v5, vcc
	s_waitcnt lgkmcnt(0)
	v_mul_f64 v[2:3], v[10:11], v[2:3]
	v_pk_mov_b32 v[6:7], v[0:1], v[0:1] op_sel:[0,1]
	s_mov_b32 s13, s7
	s_cmp_lt_i32 s18, s8
	global_store_dwordx2 v[4:5], v[2:3], off
	s_mov_b32 s15, s16
	s_waitcnt vmcnt(1)
	v_mul_f64 v[2:3], v[8:9], s[0:1]
	s_cbranch_scc1 .LBB95_28
.LBB95_32:                              ;   Parent Loop BB95_29 Depth=1
                                        ; =>  This Inner Loop Header: Depth=2
	global_load_dwordx2 v[8:9], v[6:7], off
	v_mov_b32_e32 v10, s13
	ds_read_b64 v[10:11], v10
	s_add_i32 s15, s15, -1
	s_add_i32 s13, s13, -8
	v_add_co_u32_e32 v6, vcc, -8, v6
	v_addc_co_u32_e32 v7, vcc, -1, v7, vcc
	s_cmp_gt_i32 s15, s8
	s_waitcnt vmcnt(0) lgkmcnt(0)
	v_fma_f64 v[2:3], -v[8:9], v[10:11], v[2:3]
	s_cbranch_scc1 .LBB95_32
	s_branch .LBB95_28
.LBB95_33:
	s_mov_b64 s[6:7], 0
.LBB95_34:
	s_and_b64 vcc, exec, s[6:7]
	s_cbranch_vccz .LBB95_54
; %bb.35:
	s_cmp_gt_i32 s14, 23
	s_cselect_b64 s[6:7], -1, 0
	s_mov_b32 s8, 0
	s_and_b64 vcc, exec, s[6:7]
	s_cbranch_vccz .LBB95_37
; %bb.36:
	global_load_dwordx4 v[12:15], v[86:87], off offset:48
	global_load_dwordx4 v[8:11], v[86:87], off offset:32
	;; [unrolled: 1-line block ×3, first 2 shown]
	global_load_dwordx4 v[0:3], v[86:87], off
	v_mov_b32_e32 v90, 0
	global_load_dwordx4 v[32:35], v[86:87], off offset:112
	global_load_dwordx4 v[28:31], v[86:87], off offset:96
	;; [unrolled: 1-line block ×8, first 2 shown]
	ds_read_b128 v[44:47], v90
	ds_read_b128 v[48:51], v90 offset:16
	ds_read_b128 v[52:55], v90 offset:32
	s_movk_i32 s8, 0x400
	s_waitcnt vmcnt(8)
	v_mul_f64 v[0:1], v[0:1], s[0:1]
	s_waitcnt lgkmcnt(2)
	v_mul_f64 v[0:1], v[44:45], v[0:1]
	v_mul_f64 v[44:45], v[0:1], v[46:47]
	v_fma_f64 v[2:3], v[2:3], s[0:1], -v[44:45]
	ds_read2_b64 v[44:47], v90 offset0:25 offset1:26
	s_waitcnt lgkmcnt(0)
	v_mul_f64 v[2:3], v[44:45], v[2:3]
	v_mul_f64 v[44:45], v[0:1], v[48:49]
	v_fma_f64 v[4:5], v[4:5], s[0:1], -v[44:45]
	v_fma_f64 v[4:5], -v[2:3], v[46:47], v[4:5]
	ds_read_b128 v[44:47], v90 offset:400
	global_store_dwordx4 v[86:87], v[0:3], off
	s_waitcnt lgkmcnt(0)
	v_mul_f64 v[4:5], v[44:45], v[4:5]
	v_mul_f64 v[44:45], v[0:1], v[50:51]
	ds_read2_b64 v[48:51], v90 offset0:27 offset1:28
	v_fma_f64 v[6:7], v[6:7], s[0:1], -v[44:45]
	s_waitcnt lgkmcnt(0)
	v_fma_f64 v[6:7], -v[2:3], v[48:49], v[6:7]
	v_fma_f64 v[6:7], -v[4:5], v[46:47], v[6:7]
	ds_read2_b64 v[44:47], v90 offset0:75 offset1:76
	s_waitcnt lgkmcnt(0)
	v_mul_f64 v[6:7], v[44:45], v[6:7]
	v_mul_f64 v[44:45], v[0:1], v[52:53]
	v_fma_f64 v[8:9], v[8:9], s[0:1], -v[44:45]
	v_fma_f64 v[8:9], -v[2:3], v[50:51], v[8:9]
	ds_read_b128 v[48:51], v90 offset:416
	global_store_dwordx4 v[86:87], v[4:7], off offset:16
	s_waitcnt lgkmcnt(0)
	v_fma_f64 v[8:9], -v[4:5], v[48:49], v[8:9]
	v_fma_f64 v[8:9], -v[6:7], v[46:47], v[8:9]
	ds_read_b128 v[44:47], v90 offset:800
	s_waitcnt lgkmcnt(0)
	v_mul_f64 v[8:9], v[44:45], v[8:9]
	v_mul_f64 v[44:45], v[0:1], v[54:55]
	ds_read2_b64 v[52:55], v90 offset0:29 offset1:30
	v_fma_f64 v[10:11], v[10:11], s[0:1], -v[44:45]
	s_waitcnt lgkmcnt(0)
	v_fma_f64 v[10:11], -v[2:3], v[52:53], v[10:11]
	v_fma_f64 v[10:11], -v[4:5], v[50:51], v[10:11]
	ds_read2_b64 v[48:51], v90 offset0:77 offset1:78
	s_waitcnt lgkmcnt(0)
	v_fma_f64 v[10:11], -v[6:7], v[48:49], v[10:11]
	v_fma_f64 v[10:11], -v[8:9], v[46:47], v[10:11]
	ds_read2_b64 v[44:47], v90 offset0:125 offset1:126
	s_waitcnt lgkmcnt(0)
	v_mul_f64 v[10:11], v[44:45], v[10:11]
	global_store_dwordx4 v[86:87], v[8:11], off offset:32
	ds_read_b128 v[56:59], v90 offset:48
	ds_read_b128 v[60:63], v90 offset:64
	;; [unrolled: 1-line block ×5, first 2 shown]
	s_waitcnt lgkmcnt(4)
	v_mul_f64 v[44:45], v[0:1], v[56:57]
	v_fma_f64 v[12:13], v[12:13], s[0:1], -v[44:45]
	v_fma_f64 v[12:13], -v[2:3], v[54:55], v[12:13]
	ds_read_b128 v[52:55], v90 offset:432
	ds_read_b128 v[80:83], v90 offset:128
	;; [unrolled: 1-line block ×4, first 2 shown]
	s_waitcnt lgkmcnt(3)
	v_fma_f64 v[12:13], -v[4:5], v[52:53], v[12:13]
	v_fma_f64 v[12:13], -v[6:7], v[50:51], v[12:13]
	ds_read_b128 v[48:51], v90 offset:816
	s_waitcnt lgkmcnt(0)
	v_fma_f64 v[12:13], -v[8:9], v[48:49], v[12:13]
	v_fma_f64 v[12:13], -v[10:11], v[46:47], v[12:13]
	ds_read_b128 v[44:47], v90 offset:1200
	s_waitcnt lgkmcnt(0)
	v_mul_f64 v[12:13], v[44:45], v[12:13]
	v_mul_f64 v[44:45], v[0:1], v[58:59]
	ds_read2_b64 v[56:59], v90 offset0:31 offset1:32
	v_fma_f64 v[14:15], v[14:15], s[0:1], -v[44:45]
	s_waitcnt lgkmcnt(0)
	v_fma_f64 v[14:15], -v[2:3], v[56:57], v[14:15]
	v_fma_f64 v[14:15], -v[4:5], v[54:55], v[14:15]
	ds_read2_b64 v[52:55], v90 offset0:79 offset1:80
	s_waitcnt lgkmcnt(0)
	v_fma_f64 v[14:15], -v[6:7], v[52:53], v[14:15]
	v_fma_f64 v[14:15], -v[8:9], v[50:51], v[14:15]
	ds_read2_b64 v[48:51], v90 offset0:127 offset1:128
	;; [unrolled: 4-line block ×3, first 2 shown]
	s_waitcnt lgkmcnt(0)
	v_mul_f64 v[14:15], v[44:45], v[14:15]
	v_mul_f64 v[44:45], v[0:1], v[60:61]
	s_waitcnt vmcnt(7)
	v_fma_f64 v[16:17], v[16:17], s[0:1], -v[44:45]
	v_fma_f64 v[16:17], -v[2:3], v[58:59], v[16:17]
	ds_read_b128 v[56:59], v90 offset:448
	global_store_dwordx4 v[86:87], v[12:15], off offset:48
	s_waitcnt lgkmcnt(0)
	v_fma_f64 v[16:17], -v[4:5], v[56:57], v[16:17]
	v_fma_f64 v[16:17], -v[6:7], v[54:55], v[16:17]
	ds_read_b128 v[52:55], v90 offset:832
	s_waitcnt lgkmcnt(0)
	v_fma_f64 v[16:17], -v[8:9], v[52:53], v[16:17]
	v_fma_f64 v[16:17], -v[10:11], v[50:51], v[16:17]
	ds_read_b128 v[48:51], v90 offset:1216
	;; [unrolled: 4-line block ×3, first 2 shown]
	s_waitcnt lgkmcnt(0)
	v_mul_f64 v[16:17], v[44:45], v[16:17]
	v_mul_f64 v[44:45], v[0:1], v[62:63]
	ds_read2_b64 v[60:63], v90 offset0:33 offset1:34
	v_fma_f64 v[18:19], v[18:19], s[0:1], -v[44:45]
	s_waitcnt lgkmcnt(0)
	v_fma_f64 v[18:19], -v[2:3], v[60:61], v[18:19]
	v_fma_f64 v[18:19], -v[4:5], v[58:59], v[18:19]
	ds_read2_b64 v[56:59], v90 offset0:81 offset1:82
	s_waitcnt lgkmcnt(0)
	v_fma_f64 v[18:19], -v[6:7], v[56:57], v[18:19]
	v_fma_f64 v[18:19], -v[8:9], v[54:55], v[18:19]
	ds_read2_b64 v[52:55], v90 offset0:129 offset1:130
	;; [unrolled: 4-line block ×4, first 2 shown]
	s_waitcnt lgkmcnt(0)
	v_mul_f64 v[18:19], v[44:45], v[18:19]
	v_mul_f64 v[44:45], v[0:1], v[64:65]
	v_fma_f64 v[24:25], v[24:25], s[0:1], -v[44:45]
	v_fma_f64 v[24:25], -v[2:3], v[62:63], v[24:25]
	ds_read_b128 v[60:63], v90 offset:464
	global_store_dwordx4 v[86:87], v[16:19], off offset:64
	s_waitcnt lgkmcnt(0)
	v_fma_f64 v[24:25], -v[4:5], v[60:61], v[24:25]
	v_fma_f64 v[24:25], -v[6:7], v[58:59], v[24:25]
	ds_read_b128 v[56:59], v90 offset:848
	s_waitcnt lgkmcnt(0)
	v_fma_f64 v[24:25], -v[8:9], v[56:57], v[24:25]
	v_fma_f64 v[24:25], -v[10:11], v[54:55], v[24:25]
	ds_read_b128 v[52:55], v90 offset:1232
	;; [unrolled: 4-line block ×4, first 2 shown]
	s_waitcnt lgkmcnt(0)
	v_mul_f64 v[24:25], v[44:45], v[24:25]
	v_mul_f64 v[44:45], v[0:1], v[66:67]
	ds_read2_b64 v[64:67], v90 offset0:35 offset1:36
	v_fma_f64 v[26:27], v[26:27], s[0:1], -v[44:45]
	v_mov_b32_e32 v44, 0x898
	s_waitcnt lgkmcnt(0)
	v_fma_f64 v[26:27], -v[2:3], v[64:65], v[26:27]
	v_fma_f64 v[26:27], -v[4:5], v[62:63], v[26:27]
	ds_read2_b64 v[60:63], v90 offset0:83 offset1:84
	s_waitcnt lgkmcnt(0)
	v_fma_f64 v[26:27], -v[6:7], v[60:61], v[26:27]
	v_fma_f64 v[26:27], -v[8:9], v[58:59], v[26:27]
	ds_read2_b64 v[56:59], v90 offset0:131 offset1:132
	;; [unrolled: 4-line block ×4, first 2 shown]
	s_waitcnt lgkmcnt(0)
	v_fma_f64 v[26:27], -v[18:19], v[48:49], v[26:27]
	v_fma_f64 v[26:27], -v[24:25], v[46:47], v[26:27]
	ds_read2_b64 v[44:47], v44 offset1:1
	s_waitcnt lgkmcnt(0)
	v_mul_f64 v[26:27], v[44:45], v[26:27]
	v_mul_f64 v[44:45], v[0:1], v[72:73]
	v_fma_f64 v[28:29], v[28:29], s[0:1], -v[44:45]
	v_fma_f64 v[28:29], -v[2:3], v[66:67], v[28:29]
	ds_read_b128 v[64:67], v90 offset:480
	global_store_dwordx4 v[86:87], v[24:27], off offset:80
	s_waitcnt lgkmcnt(0)
	v_fma_f64 v[28:29], -v[4:5], v[64:65], v[28:29]
	v_fma_f64 v[28:29], -v[6:7], v[62:63], v[28:29]
	ds_read_b128 v[60:63], v90 offset:864
	s_waitcnt lgkmcnt(0)
	v_fma_f64 v[28:29], -v[8:9], v[60:61], v[28:29]
	v_fma_f64 v[28:29], -v[10:11], v[58:59], v[28:29]
	ds_read_b128 v[56:59], v90 offset:1248
	;; [unrolled: 4-line block ×5, first 2 shown]
	s_waitcnt lgkmcnt(0)
	v_mul_f64 v[28:29], v[44:45], v[28:29]
	v_mul_f64 v[44:45], v[0:1], v[74:75]
	ds_read2_b64 v[72:75], v90 offset0:37 offset1:38
	v_fma_f64 v[30:31], v[30:31], s[0:1], -v[44:45]
	v_mov_b32_e32 v44, 0x8a8
	s_waitcnt lgkmcnt(0)
	v_fma_f64 v[30:31], -v[2:3], v[72:73], v[30:31]
	v_fma_f64 v[30:31], -v[4:5], v[66:67], v[30:31]
	ds_read2_b64 v[64:67], v90 offset0:85 offset1:86
	s_waitcnt lgkmcnt(0)
	v_fma_f64 v[30:31], -v[6:7], v[64:65], v[30:31]
	v_fma_f64 v[30:31], -v[8:9], v[62:63], v[30:31]
	ds_read2_b64 v[60:63], v90 offset0:133 offset1:134
	;; [unrolled: 4-line block ×4, first 2 shown]
	s_waitcnt lgkmcnt(0)
	v_fma_f64 v[30:31], -v[18:19], v[52:53], v[30:31]
	v_fma_f64 v[30:31], -v[24:25], v[50:51], v[30:31]
	ds_read2_b64 v[48:51], v44 offset1:1
	v_mov_b32_e32 v44, 0xa28
	s_waitcnt lgkmcnt(0)
	v_fma_f64 v[30:31], -v[26:27], v[48:49], v[30:31]
	v_fma_f64 v[30:31], -v[28:29], v[46:47], v[30:31]
	ds_read2_b64 v[44:47], v44 offset1:1
	s_waitcnt lgkmcnt(0)
	v_mul_f64 v[30:31], v[44:45], v[30:31]
	v_mul_f64 v[44:45], v[0:1], v[76:77]
	v_fma_f64 v[32:33], v[32:33], s[0:1], -v[44:45]
	v_fma_f64 v[32:33], -v[2:3], v[74:75], v[32:33]
	ds_read_b128 v[72:75], v90 offset:496
	global_store_dwordx4 v[86:87], v[28:31], off offset:96
	s_waitcnt lgkmcnt(0)
	v_fma_f64 v[32:33], -v[4:5], v[72:73], v[32:33]
	v_fma_f64 v[32:33], -v[6:7], v[66:67], v[32:33]
	ds_read_b128 v[64:67], v90 offset:880
	s_waitcnt lgkmcnt(0)
	v_fma_f64 v[32:33], -v[8:9], v[64:65], v[32:33]
	v_fma_f64 v[32:33], -v[10:11], v[62:63], v[32:33]
	ds_read_b128 v[60:63], v90 offset:1264
	s_waitcnt lgkmcnt(0)
	v_fma_f64 v[32:33], -v[12:13], v[60:61], v[32:33]
	v_fma_f64 v[32:33], -v[14:15], v[58:59], v[32:33]
	ds_read_b128 v[56:59], v90 offset:1648
	s_waitcnt lgkmcnt(0)
	v_fma_f64 v[32:33], -v[16:17], v[56:57], v[32:33]
	v_fma_f64 v[32:33], -v[18:19], v[54:55], v[32:33]
	ds_read_b128 v[52:55], v90 offset:2032
	s_waitcnt lgkmcnt(0)
	v_fma_f64 v[32:33], -v[24:25], v[52:53], v[32:33]
	v_fma_f64 v[32:33], -v[26:27], v[50:51], v[32:33]
	ds_read_b128 v[48:51], v90 offset:2416
	s_waitcnt lgkmcnt(0)
	v_fma_f64 v[32:33], -v[28:29], v[48:49], v[32:33]
	v_fma_f64 v[32:33], -v[30:31], v[46:47], v[32:33]
	ds_read_b128 v[44:47], v90 offset:2800
	s_waitcnt lgkmcnt(0)
	v_mul_f64 v[32:33], v[44:45], v[32:33]
	v_mul_f64 v[44:45], v[0:1], v[78:79]
	ds_read2_b64 v[76:79], v90 offset0:39 offset1:40
	v_fma_f64 v[34:35], v[34:35], s[0:1], -v[44:45]
	v_mov_b32_e32 v44, 0x8b8
	s_waitcnt lgkmcnt(0)
	v_fma_f64 v[34:35], -v[2:3], v[76:77], v[34:35]
	v_fma_f64 v[34:35], -v[4:5], v[74:75], v[34:35]
	ds_read2_b64 v[72:75], v90 offset0:87 offset1:88
	s_waitcnt lgkmcnt(0)
	v_fma_f64 v[34:35], -v[6:7], v[72:73], v[34:35]
	v_fma_f64 v[34:35], -v[8:9], v[66:67], v[34:35]
	ds_read2_b64 v[64:67], v90 offset0:135 offset1:136
	;; [unrolled: 4-line block ×4, first 2 shown]
	s_waitcnt lgkmcnt(0)
	v_fma_f64 v[34:35], -v[18:19], v[56:57], v[34:35]
	v_fma_f64 v[34:35], -v[24:25], v[54:55], v[34:35]
	ds_read2_b64 v[52:55], v44 offset1:1
	v_mov_b32_e32 v44, 0xa38
	s_waitcnt lgkmcnt(0)
	v_fma_f64 v[34:35], -v[26:27], v[52:53], v[34:35]
	v_fma_f64 v[34:35], -v[28:29], v[50:51], v[34:35]
	ds_read2_b64 v[48:51], v44 offset1:1
	v_mov_b32_e32 v44, 0xbb8
	s_waitcnt lgkmcnt(0)
	v_fma_f64 v[34:35], -v[30:31], v[48:49], v[34:35]
	v_fma_f64 v[34:35], -v[32:33], v[46:47], v[34:35]
	ds_read2_b64 v[44:47], v44 offset1:1
	s_waitcnt lgkmcnt(0)
	v_mul_f64 v[34:35], v[44:45], v[34:35]
	v_mul_f64 v[44:45], v[0:1], v[80:81]
	s_waitcnt vmcnt(7)
	v_fma_f64 v[36:37], v[36:37], s[0:1], -v[44:45]
	v_fma_f64 v[36:37], -v[2:3], v[78:79], v[36:37]
	ds_read_b128 v[76:79], v90 offset:512
	global_store_dwordx4 v[86:87], v[32:35], off offset:112
	s_waitcnt lgkmcnt(0)
	v_fma_f64 v[36:37], -v[4:5], v[76:77], v[36:37]
	v_fma_f64 v[36:37], -v[6:7], v[74:75], v[36:37]
	ds_read_b128 v[72:75], v90 offset:896
	s_waitcnt lgkmcnt(0)
	v_fma_f64 v[36:37], -v[8:9], v[72:73], v[36:37]
	v_fma_f64 v[36:37], -v[10:11], v[66:67], v[36:37]
	ds_read_b128 v[64:67], v90 offset:1280
	;; [unrolled: 4-line block ×7, first 2 shown]
	s_waitcnt lgkmcnt(0)
	v_mul_f64 v[36:37], v[44:45], v[36:37]
	v_mul_f64 v[44:45], v[0:1], v[82:83]
	ds_read2_b64 v[80:83], v90 offset0:41 offset1:42
	v_fma_f64 v[38:39], v[38:39], s[0:1], -v[44:45]
	v_mov_b32_e32 v44, 0x8c8
	s_waitcnt lgkmcnt(0)
	v_fma_f64 v[38:39], -v[2:3], v[80:81], v[38:39]
	v_fma_f64 v[38:39], -v[4:5], v[78:79], v[38:39]
	ds_read2_b64 v[76:79], v90 offset0:89 offset1:90
	s_waitcnt lgkmcnt(0)
	v_fma_f64 v[38:39], -v[6:7], v[76:77], v[38:39]
	v_fma_f64 v[38:39], -v[8:9], v[74:75], v[38:39]
	ds_read2_b64 v[72:75], v90 offset0:137 offset1:138
	;; [unrolled: 4-line block ×4, first 2 shown]
	s_waitcnt lgkmcnt(0)
	v_fma_f64 v[38:39], -v[18:19], v[60:61], v[38:39]
	v_fma_f64 v[38:39], -v[24:25], v[58:59], v[38:39]
	ds_read2_b64 v[56:59], v44 offset1:1
	v_mov_b32_e32 v44, 0xa48
	s_waitcnt lgkmcnt(0)
	v_fma_f64 v[38:39], -v[26:27], v[56:57], v[38:39]
	v_fma_f64 v[38:39], -v[28:29], v[54:55], v[38:39]
	ds_read2_b64 v[52:55], v44 offset1:1
	v_mov_b32_e32 v44, 0xbc8
	;; [unrolled: 5-line block ×3, first 2 shown]
	s_waitcnt lgkmcnt(0)
	v_fma_f64 v[38:39], -v[34:35], v[48:49], v[38:39]
	v_fma_f64 v[38:39], -v[36:37], v[46:47], v[38:39]
	ds_read2_b64 v[44:47], v44 offset1:1
	s_waitcnt lgkmcnt(0)
	v_mul_f64 v[38:39], v[44:45], v[38:39]
	v_mul_f64 v[44:45], v[0:1], v[92:93]
	v_fma_f64 v[40:41], v[40:41], s[0:1], -v[44:45]
	v_fma_f64 v[40:41], -v[2:3], v[82:83], v[40:41]
	ds_read_b128 v[80:83], v90 offset:528
	global_store_dwordx4 v[86:87], v[36:39], off offset:128
	s_waitcnt lgkmcnt(0)
	v_fma_f64 v[40:41], -v[4:5], v[80:81], v[40:41]
	v_fma_f64 v[40:41], -v[6:7], v[78:79], v[40:41]
	ds_read_b128 v[76:79], v90 offset:912
	s_waitcnt lgkmcnt(0)
	v_fma_f64 v[40:41], -v[8:9], v[76:77], v[40:41]
	v_fma_f64 v[40:41], -v[10:11], v[74:75], v[40:41]
	ds_read_b128 v[72:75], v90 offset:1296
	;; [unrolled: 4-line block ×8, first 2 shown]
	s_waitcnt lgkmcnt(0)
	v_mul_f64 v[40:41], v[44:45], v[40:41]
	v_mul_f64 v[44:45], v[0:1], v[94:95]
	v_fma_f64 v[48:49], v[42:43], s[0:1], -v[44:45]
	ds_read2_b64 v[42:45], v90 offset0:43 offset1:44
	ds_read2_b64 v[92:95], v90 offset0:235 offset1:236
	s_waitcnt lgkmcnt(1)
	v_fma_f64 v[42:43], -v[2:3], v[42:43], v[48:49]
	v_fma_f64 v[42:43], -v[4:5], v[82:83], v[42:43]
	ds_read2_b64 v[80:83], v90 offset0:91 offset1:92
	v_mov_b32_e32 v48, 0x8d8
	ds_read2_b64 v[96:99], v48 offset1:1
	v_mov_b32_e32 v48, 0xa58
	ds_read2_b64 v[100:103], v48 offset1:1
	s_waitcnt lgkmcnt(2)
	v_fma_f64 v[42:43], -v[6:7], v[80:81], v[42:43]
	v_fma_f64 v[42:43], -v[8:9], v[78:79], v[42:43]
	ds_read2_b64 v[76:79], v90 offset0:139 offset1:140
	v_mov_b32_e32 v48, 0xbd8
	ds_read2_b64 v[104:107], v48 offset1:1
	s_waitcnt lgkmcnt(1)
	v_fma_f64 v[42:43], -v[10:11], v[76:77], v[42:43]
	v_fma_f64 v[42:43], -v[12:13], v[74:75], v[42:43]
	ds_read2_b64 v[72:75], v90 offset0:187 offset1:188
	s_waitcnt lgkmcnt(0)
	v_fma_f64 v[42:43], -v[14:15], v[72:73], v[42:43]
	v_fma_f64 v[42:43], -v[16:17], v[66:67], v[42:43]
	;; [unrolled: 1-line block ×6, first 2 shown]
	ds_read_b128 v[56:59], v90 offset:1312
	v_mov_b32_e32 v48, 0xd58
	ds_read2_b64 v[108:111], v48 offset1:1
	v_fma_f64 v[42:43], -v[30:31], v[100:101], v[42:43]
	v_fma_f64 v[42:43], -v[32:33], v[54:55], v[42:43]
	;; [unrolled: 1-line block ×4, first 2 shown]
	s_waitcnt lgkmcnt(0)
	v_fma_f64 v[42:43], -v[38:39], v[108:109], v[42:43]
	v_fma_f64 v[42:43], -v[40:41], v[46:47], v[42:43]
	v_mov_b32_e32 v46, 0xed8
	ds_read2_b64 v[112:115], v46 offset1:1
	ds_read_b128 v[62:65], v90 offset:544
	v_mul_f64 v[46:47], v[0:1], v[116:117]
	v_fma_f64 v[46:47], v[68:69], s[0:1], -v[46:47]
	ds_read_b128 v[66:69], v90 offset:928
	v_fma_f64 v[44:45], -v[2:3], v[44:45], v[46:47]
	s_waitcnt lgkmcnt(1)
	v_fma_f64 v[44:45], -v[4:5], v[62:63], v[44:45]
	ds_read_b128 v[60:63], v90 offset:1696
	v_fma_f64 v[44:45], -v[6:7], v[82:83], v[44:45]
	s_waitcnt lgkmcnt(1)
	v_fma_f64 v[44:45], -v[8:9], v[66:67], v[44:45]
	v_fma_f64 v[44:45], -v[10:11], v[78:79], v[44:45]
	;; [unrolled: 1-line block ×3, first 2 shown]
	ds_read_b128 v[54:57], v90 offset:2080
	v_fma_f64 v[44:45], -v[14:15], v[74:75], v[44:45]
	s_waitcnt lgkmcnt(1)
	v_fma_f64 v[44:45], -v[16:17], v[60:61], v[44:45]
	v_fma_f64 v[44:45], -v[18:19], v[94:95], v[44:45]
	v_mul_f64 v[42:43], v[112:113], v[42:43]
	s_waitcnt lgkmcnt(0)
	v_fma_f64 v[44:45], -v[24:25], v[54:55], v[44:45]
	ds_read_b128 v[52:55], v90 offset:2464
	v_fma_f64 v[44:45], -v[26:27], v[98:99], v[44:45]
	ds_read_b128 v[82:85], v90 offset:176
	global_store_dwordx4 v[86:87], v[40:43], off offset:144
	s_waitcnt lgkmcnt(1)
	v_fma_f64 v[44:45], -v[28:29], v[52:53], v[44:45]
	ds_read_b128 v[50:53], v90 offset:2848
	v_fma_f64 v[44:45], -v[30:31], v[102:103], v[44:45]
	s_waitcnt lgkmcnt(0)
	v_fma_f64 v[44:45], -v[32:33], v[50:51], v[44:45]
	ds_read_b128 v[48:51], v90 offset:3232
	v_fma_f64 v[44:45], -v[34:35], v[106:107], v[44:45]
	;; [unrolled: 4-line block ×3, first 2 shown]
	s_waitcnt lgkmcnt(0)
	v_fma_f64 v[44:45], -v[40:41], v[46:47], v[44:45]
	v_fma_f64 v[60:61], -v[42:43], v[114:115], v[44:45]
	ds_read_b128 v[44:47], v90 offset:4000
	s_waitcnt lgkmcnt(0)
	v_mul_f64 v[44:45], v[44:45], v[60:61]
	v_mul_f64 v[60:61], v[0:1], v[118:119]
	v_fma_f64 v[60:61], v[70:71], s[0:1], -v[60:61]
	ds_read2_b64 v[70:73], v90 offset0:45 offset1:46
	s_waitcnt lgkmcnt(0)
	v_fma_f64 v[60:61], -v[2:3], v[70:71], v[60:61]
	v_fma_f64 v[60:61], -v[4:5], v[64:65], v[60:61]
	ds_read2_b64 v[64:67], v90 offset0:93 offset1:94
	s_waitcnt lgkmcnt(0)
	v_fma_f64 v[60:61], -v[6:7], v[64:65], v[60:61]
	v_fma_f64 v[60:61], -v[8:9], v[68:69], v[60:61]
	;; [unrolled: 4-line block ×5, first 2 shown]
	v_mov_b32_e32 v56, 0x8e8
	ds_read2_b64 v[56:59], v56 offset1:1
	s_waitcnt lgkmcnt(0)
	v_fma_f64 v[56:57], -v[26:27], v[56:57], v[62:63]
	v_fma_f64 v[62:63], -v[28:29], v[54:55], v[56:57]
	v_mov_b32_e32 v54, 0xa68
	ds_read2_b64 v[54:57], v54 offset1:1
	s_waitcnt lgkmcnt(0)
	v_fma_f64 v[54:55], -v[30:31], v[54:55], v[62:63]
	v_fma_f64 v[62:63], -v[32:33], v[52:53], v[54:55]
	;; [unrolled: 5-line block ×5, first 2 shown]
	v_mov_b32_e32 v48, 0x1068
	ds_read2_b64 v[92:95], v48 offset1:1
	v_mul_f64 v[48:49], v[0:1], v[82:83]
	v_fma_f64 v[20:21], v[20:21], s[0:1], -v[48:49]
	v_fma_f64 v[20:21], -v[2:3], v[72:73], v[20:21]
	ds_read_b128 v[72:75], v90 offset:560
	ds_read_b128 v[76:79], v90 offset:944
	;; [unrolled: 1-line block ×3, first 2 shown]
	s_waitcnt lgkmcnt(3)
	v_mul_f64 v[46:47], v[92:93], v[46:47]
	v_mul_f64 v[0:1], v[0:1], v[84:85]
	s_waitcnt lgkmcnt(2)
	v_fma_f64 v[20:21], -v[4:5], v[72:73], v[20:21]
	v_fma_f64 v[20:21], -v[6:7], v[66:67], v[20:21]
	ds_read_b128 v[66:69], v90 offset:1328
	s_waitcnt lgkmcnt(2)
	v_fma_f64 v[20:21], -v[8:9], v[76:77], v[20:21]
	v_fma_f64 v[20:21], -v[10:11], v[70:71], v[20:21]
	ds_read_b128 v[70:73], v90 offset:1712
	v_fma_f64 v[0:1], v[22:23], s[0:1], -v[0:1]
	s_waitcnt lgkmcnt(1)
	v_fma_f64 v[20:21], -v[12:13], v[66:67], v[20:21]
	v_fma_f64 v[20:21], -v[14:15], v[60:61], v[20:21]
	ds_read_b128 v[60:63], v90 offset:2096
	s_waitcnt lgkmcnt(1)
	v_fma_f64 v[20:21], -v[16:17], v[70:71], v[20:21]
	v_fma_f64 v[20:21], -v[18:19], v[64:65], v[20:21]
	ds_read_b128 v[64:67], v90 offset:2480
	global_store_dwordx4 v[86:87], v[44:47], off offset:160
	s_waitcnt lgkmcnt(1)
	v_fma_f64 v[20:21], -v[24:25], v[60:61], v[20:21]
	v_fma_f64 v[20:21], -v[26:27], v[58:59], v[20:21]
	ds_read_b128 v[58:61], v90 offset:4016
	s_waitcnt lgkmcnt(1)
	v_fma_f64 v[20:21], -v[28:29], v[64:65], v[20:21]
	v_fma_f64 v[20:21], -v[30:31], v[56:57], v[20:21]
	;; [unrolled: 1-line block ×4, first 2 shown]
	ds_read_b128 v[54:57], v90 offset:3248
	s_waitcnt lgkmcnt(0)
	v_fma_f64 v[20:21], -v[36:37], v[54:55], v[20:21]
	v_fma_f64 v[20:21], -v[38:39], v[52:53], v[20:21]
	ds_read_b128 v[52:55], v90 offset:3632
	s_waitcnt lgkmcnt(0)
	v_fma_f64 v[20:21], -v[40:41], v[52:53], v[20:21]
	v_fma_f64 v[20:21], -v[42:43], v[80:81], v[20:21]
	;; [unrolled: 1-line block ×4, first 2 shown]
	ds_read2_b64 v[92:95], v90 offset0:47 offset1:95
	ds_read_b128 v[80:83], v90 offset:4400
	s_waitcnt lgkmcnt(1)
	v_fma_f64 v[0:1], -v[2:3], v[92:93], v[0:1]
	v_fma_f64 v[0:1], -v[4:5], v[74:75], v[0:1]
	;; [unrolled: 1-line block ×4, first 2 shown]
	ds_read2_b64 v[0:3], v90 offset0:143 offset1:191
	s_waitcnt lgkmcnt(1)
	v_mul_f64 v[20:21], v[80:81], v[20:21]
	s_waitcnt lgkmcnt(0)
	v_fma_f64 v[0:1], -v[10:11], v[0:1], v[4:5]
	v_fma_f64 v[0:1], -v[12:13], v[68:69], v[0:1]
	;; [unrolled: 1-line block ×4, first 2 shown]
	v_add_u32_e64 v0, s8, 0
	ds_read2_b64 v[0:3], v0 offset0:111 offset1:159
	s_movk_i32 s8, 0x800
	v_add_u32_e64 v6, s8, 0
	s_movk_i32 s8, 0x1000
	s_waitcnt lgkmcnt(0)
	v_fma_f64 v[0:1], -v[18:19], v[0:1], v[4:5]
	v_fma_f64 v[0:1], -v[24:25], v[62:63], v[0:1]
	;; [unrolled: 1-line block ×4, first 2 shown]
	ds_read2_b64 v[0:3], v6 offset0:79 offset1:127
	s_waitcnt lgkmcnt(0)
	v_fma_f64 v[0:1], -v[30:31], v[0:1], v[4:5]
	v_fma_f64 v[0:1], -v[32:33], v[50:51], v[0:1]
	;; [unrolled: 1-line block ×4, first 2 shown]
	ds_read2_b64 v[0:3], v6 offset0:175 offset1:223
	s_waitcnt lgkmcnt(0)
	v_fma_f64 v[0:1], -v[38:39], v[0:1], v[4:5]
	v_fma_f64 v[0:1], -v[40:41], v[54:55], v[0:1]
	;; [unrolled: 1-line block ×4, first 2 shown]
	v_add_u32_e64 v0, s8, 0
	ds_read2_b64 v[0:3], v0 offset0:15 offset1:63
	s_mov_b32 s8, 24
	s_waitcnt lgkmcnt(0)
	v_fma_f64 v[0:1], -v[46:47], v[0:1], v[4:5]
	v_fma_f64 v[0:1], -v[20:21], v[82:83], v[0:1]
	v_mul_f64 v[22:23], v[2:3], v[0:1]
	global_store_dwordx4 v[86:87], v[20:23], off offset:176
.LBB95_37:
	s_cmp_lt_i32 s8, s16
	s_cbranch_scc0 .LBB95_54
; %bb.38:
	s_add_i32 s9, s8, 19
	s_cmp_ge_u32 s9, s16
	s_cbranch_scc1 .LBB95_43
; %bb.39:
	s_lshl_b32 s12, s8, 3
	v_add_co_u32_e32 v76, vcc, s12, v86
	v_addc_co_u32_e32 v77, vcc, 0, v87, vcc
	global_load_dwordx4 v[0:3], v[76:77], off
	global_load_dwordx4 v[4:7], v[76:77], off offset:16
	global_load_dwordx4 v[8:11], v[76:77], off offset:32
	;; [unrolled: 1-line block ×9, first 2 shown]
	s_mov_b32 s13, 0
	s_andn2_b64 vcc, exec, s[6:7]
	s_waitcnt vmcnt(9)
	v_mul_f64 v[0:1], v[0:1], s[0:1]
	v_mul_f64 v[2:3], v[2:3], s[0:1]
	s_waitcnt vmcnt(8)
	v_mul_f64 v[4:5], v[4:5], s[0:1]
	v_mul_f64 v[6:7], v[6:7], s[0:1]
	s_waitcnt vmcnt(7)
	v_mul_f64 v[8:9], v[8:9], s[0:1]
	v_mul_f64 v[10:11], v[10:11], s[0:1]
	s_waitcnt vmcnt(6)
	v_mul_f64 v[12:13], v[12:13], s[0:1]
	v_mul_f64 v[14:15], v[14:15], s[0:1]
	s_waitcnt vmcnt(5)
	v_mul_f64 v[16:17], v[16:17], s[0:1]
	v_mul_f64 v[18:19], v[18:19], s[0:1]
	s_waitcnt vmcnt(4)
	v_mul_f64 v[26:27], v[20:21], s[0:1]
	v_mul_f64 v[34:35], v[22:23], s[0:1]
	s_waitcnt vmcnt(3)
	v_mul_f64 v[30:31], v[30:31], s[0:1]
	v_mul_f64 v[32:33], v[32:33], s[0:1]
	s_waitcnt vmcnt(2)
	v_mul_f64 v[38:39], v[38:39], s[0:1]
	v_mul_f64 v[44:45], v[40:41], s[0:1]
	s_waitcnt vmcnt(1)
	v_mul_f64 v[42:43], v[46:47], s[0:1]
	v_mul_f64 v[68:69], v[48:49], s[0:1]
	s_waitcnt vmcnt(0)
	v_mul_f64 v[70:71], v[50:51], s[0:1]
	v_mul_f64 v[78:79], v[52:53], s[0:1]
	s_cbranch_vccnz .LBB95_42
; %bb.40:
	v_pk_mov_b32 v[20:21], v[86:87], v[86:87] op_sel:[0,1]
.LBB95_41:                              ; =>This Inner Loop Header: Depth=1
	global_load_dwordx2 v[28:29], v[20:21], off
	v_mov_b32_e32 v36, s12
	ds_read_b128 v[22:25], v36
	ds_read_b128 v[46:49], v36 offset:16
	ds_read_b128 v[50:53], v36 offset:32
	;; [unrolled: 1-line block ×9, first 2 shown]
	s_add_i32 s13, s13, 1
	s_addk_i32 s12, 0xc0
	v_add_co_u32_e32 v20, vcc, 8, v20
	v_addc_co_u32_e32 v21, vcc, 0, v21, vcc
	s_cmp_lt_u32 s13, s8
	s_waitcnt vmcnt(0) lgkmcnt(9)
	v_fma_f64 v[0:1], -v[28:29], v[22:23], v[0:1]
	v_fma_f64 v[2:3], -v[28:29], v[24:25], v[2:3]
	s_waitcnt lgkmcnt(8)
	v_fma_f64 v[4:5], -v[28:29], v[46:47], v[4:5]
	v_fma_f64 v[6:7], -v[28:29], v[48:49], v[6:7]
	s_waitcnt lgkmcnt(7)
	v_fma_f64 v[8:9], -v[28:29], v[50:51], v[8:9]
	v_fma_f64 v[10:11], -v[28:29], v[52:53], v[10:11]
	s_waitcnt lgkmcnt(6)
	v_fma_f64 v[12:13], -v[28:29], v[54:55], v[12:13]
	v_fma_f64 v[14:15], -v[28:29], v[56:57], v[14:15]
	s_waitcnt lgkmcnt(5)
	v_fma_f64 v[16:17], -v[28:29], v[58:59], v[16:17]
	v_fma_f64 v[18:19], -v[28:29], v[60:61], v[18:19]
	s_waitcnt lgkmcnt(4)
	v_fma_f64 v[26:27], -v[28:29], v[62:63], v[26:27]
	v_fma_f64 v[34:35], -v[28:29], v[64:65], v[34:35]
	s_waitcnt lgkmcnt(3)
	v_fma_f64 v[30:31], -v[28:29], v[72:73], v[30:31]
	v_fma_f64 v[32:33], -v[28:29], v[74:75], v[32:33]
	s_waitcnt lgkmcnt(2)
	v_fma_f64 v[38:39], -v[28:29], v[80:81], v[38:39]
	v_fma_f64 v[44:45], -v[28:29], v[82:83], v[44:45]
	s_waitcnt lgkmcnt(1)
	v_fma_f64 v[42:43], -v[28:29], v[90:91], v[42:43]
	v_fma_f64 v[68:69], -v[28:29], v[92:93], v[68:69]
	s_waitcnt lgkmcnt(0)
	v_fma_f64 v[70:71], -v[28:29], v[94:95], v[70:71]
	v_fma_f64 v[78:79], -v[28:29], v[96:97], v[78:79]
	s_cbranch_scc1 .LBB95_41
.LBB95_42:
	s_mul_i32 s7, s8, 0xc8
	v_mov_b32_e32 v80, s7
	ds_read_b128 v[20:23], v80
	ds_read_b128 v[46:49], v80 offset:16
	ds_read_b128 v[50:53], v80 offset:32
	;; [unrolled: 1-line block ×4, first 2 shown]
	s_waitcnt lgkmcnt(4)
	v_mul_f64 v[0:1], v[20:21], v[0:1]
	v_fma_f64 v[2:3], -v[0:1], v[22:23], v[2:3]
	ds_read2_b64 v[20:23], v80 offset0:25 offset1:26
	s_waitcnt lgkmcnt(4)
	v_fma_f64 v[4:5], -v[0:1], v[46:47], v[4:5]
	v_fma_f64 v[6:7], -v[0:1], v[48:49], v[6:7]
	ds_read2_b64 v[46:49], v80 offset0:27 offset1:28
	s_waitcnt lgkmcnt(4)
	v_fma_f64 v[8:9], -v[0:1], v[50:51], v[8:9]
	s_waitcnt lgkmcnt(1)
	v_mul_f64 v[2:3], v[20:21], v[2:3]
	v_fma_f64 v[4:5], -v[2:3], v[22:23], v[4:5]
	ds_read_b128 v[20:23], v80 offset:400
	s_waitcnt lgkmcnt(1)
	v_fma_f64 v[6:7], -v[2:3], v[46:47], v[6:7]
	v_fma_f64 v[10:11], -v[0:1], v[52:53], v[10:11]
	ds_read2_b64 v[50:53], v80 offset0:29 offset1:30
	v_fma_f64 v[8:9], -v[2:3], v[48:49], v[8:9]
	s_waitcnt lgkmcnt(1)
	v_mul_f64 v[4:5], v[20:21], v[4:5]
	v_fma_f64 v[6:7], -v[4:5], v[22:23], v[6:7]
	ds_read2_b64 v[20:23], v80 offset0:75 offset1:76
	ds_read_b128 v[46:49], v80 offset:416
	s_waitcnt lgkmcnt(2)
	v_fma_f64 v[10:11], -v[2:3], v[50:51], v[10:11]
	v_fma_f64 v[12:13], -v[0:1], v[54:55], v[12:13]
	v_fma_f64 v[12:13], -v[2:3], v[52:53], v[12:13]
	ds_read_b128 v[50:53], v80 offset:432
	s_waitcnt lgkmcnt(1)
	v_fma_f64 v[8:9], -v[4:5], v[46:47], v[8:9]
	v_fma_f64 v[10:11], -v[4:5], v[48:49], v[10:11]
	ds_read2_b64 v[46:49], v80 offset0:77 offset1:78
	v_mul_f64 v[6:7], v[20:21], v[6:7]
	v_fma_f64 v[8:9], -v[6:7], v[22:23], v[8:9]
	ds_read_b128 v[20:23], v80 offset:800
	s_waitcnt lgkmcnt(2)
	v_fma_f64 v[12:13], -v[4:5], v[50:51], v[12:13]
	s_waitcnt lgkmcnt(1)
	v_fma_f64 v[10:11], -v[6:7], v[46:47], v[10:11]
	v_fma_f64 v[12:13], -v[6:7], v[48:49], v[12:13]
	ds_read_b128 v[46:49], v80 offset:816
	s_waitcnt lgkmcnt(1)
	v_mul_f64 v[8:9], v[20:21], v[8:9]
	v_fma_f64 v[10:11], -v[8:9], v[22:23], v[10:11]
	ds_read2_b64 v[20:23], v80 offset0:125 offset1:150
	v_fma_f64 v[14:15], -v[0:1], v[56:57], v[14:15]
	s_waitcnt lgkmcnt(1)
	v_fma_f64 v[12:13], -v[8:9], v[46:47], v[12:13]
	s_add_i32 s6, s8, 20
	s_or_b32 s8, s8, 7
	s_waitcnt lgkmcnt(0)
	v_mul_f64 v[10:11], v[20:21], v[10:11]
	v_fma_f64 v[12:13], -v[10:11], v[58:59], v[12:13]
	v_mul_f64 v[12:13], v[22:23], v[12:13]
	ds_read2_b64 v[20:23], v80 offset0:31 offset1:32
	s_mulk_i32 s8, 0xc8
	global_store_dwordx4 v[76:77], v[0:3], off
	global_store_dwordx4 v[76:77], v[4:7], off offset:16
	global_store_dwordx4 v[76:77], v[8:11], off offset:32
	s_waitcnt lgkmcnt(0)
	v_fma_f64 v[14:15], -v[2:3], v[20:21], v[14:15]
	v_fma_f64 v[14:15], -v[4:5], v[52:53], v[14:15]
	ds_read2_b64 v[50:53], v80 offset0:79 offset1:80
	v_mov_b32_e32 v20, s8
	ds_read_b64 v[20:21], v20
	v_add_u32_e32 v81, 0x800, v80
	s_add_i32 s8, s7, 0x968
	s_waitcnt lgkmcnt(1)
	v_fma_f64 v[14:15], -v[6:7], v[50:51], v[14:15]
	v_fma_f64 v[14:15], -v[8:9], v[48:49], v[14:15]
	ds_read2_b64 v[46:49], v80 offset0:151 offset1:152
	v_fma_f64 v[14:15], -v[10:11], v[60:61], v[14:15]
	s_waitcnt lgkmcnt(0)
	v_fma_f64 v[14:15], -v[12:13], v[46:47], v[14:15]
	v_mul_f64 v[14:15], v[20:21], v[14:15]
	global_store_dwordx4 v[76:77], v[12:15], off offset:48
	ds_read_b128 v[54:57], v80 offset:64
	ds_read_b128 v[58:61], v80 offset:80
	ds_read2_b64 v[72:75], v80 offset0:81 offset1:82
	ds_read_b128 v[62:65], v80 offset:1024
	ds_read2_b64 v[102:105], v81 offset0:119 offset1:144
	s_waitcnt lgkmcnt(4)
	v_fma_f64 v[16:17], -v[0:1], v[54:55], v[16:17]
	v_fma_f64 v[16:17], -v[2:3], v[22:23], v[16:17]
	ds_read_b128 v[22:25], v80 offset:448
	v_fma_f64 v[18:19], -v[0:1], v[56:57], v[18:19]
	ds_read2_b64 v[54:57], v80 offset0:33 offset1:34
	ds_read_b128 v[82:85], v80 offset:1056
	ds_read_b128 v[106:109], v80 offset:128
	s_waitcnt lgkmcnt(3)
	v_fma_f64 v[16:17], -v[4:5], v[22:23], v[16:17]
	v_fma_f64 v[16:17], -v[6:7], v[52:53], v[16:17]
	ds_read_b128 v[50:53], v80 offset:832
	s_waitcnt lgkmcnt(3)
	v_fma_f64 v[18:19], -v[2:3], v[54:55], v[18:19]
	v_fma_f64 v[18:19], -v[4:5], v[24:25], v[18:19]
	;; [unrolled: 1-line block ×3, first 2 shown]
	ds_read2_b64 v[20:23], v80 offset0:163 offset1:200
	s_waitcnt lgkmcnt(1)
	v_fma_f64 v[16:17], -v[8:9], v[50:51], v[16:17]
	v_fma_f64 v[18:19], -v[8:9], v[52:53], v[18:19]
	ds_read2_b64 v[50:53], v80 offset0:153 offset1:154
	v_fma_f64 v[16:17], -v[10:11], v[62:63], v[16:17]
	v_fma_f64 v[16:17], -v[12:13], v[48:49], v[16:17]
	ds_read_b128 v[46:49], v80 offset:1408
	v_fma_f64 v[18:19], -v[10:11], v[64:65], v[18:19]
	s_waitcnt lgkmcnt(1)
	v_fma_f64 v[18:19], -v[12:13], v[50:51], v[18:19]
	ds_read_b128 v[62:65], v80 offset:848
	v_fma_f64 v[42:43], -v[0:1], v[106:107], v[42:43]
	s_waitcnt lgkmcnt(1)
	v_fma_f64 v[16:17], -v[14:15], v[46:47], v[16:17]
	v_fma_f64 v[18:19], -v[14:15], v[48:49], v[18:19]
	ds_read2_b64 v[46:49], v80 offset0:201 offset1:202
	v_mul_f64 v[16:17], v[22:23], v[16:17]
	ds_read2_b64 v[22:25], v80 offset0:211 offset1:225
	ds_read_b128 v[90:93], v80 offset:1072
	s_waitcnt lgkmcnt(2)
	v_fma_f64 v[18:19], -v[16:17], v[46:47], v[18:19]
	s_waitcnt lgkmcnt(1)
	v_mul_f64 v[18:19], v[24:25], v[18:19]
	v_fma_f64 v[24:25], -v[0:1], v[58:59], v[26:27]
	v_fma_f64 v[24:25], -v[2:3], v[56:57], v[24:25]
	ds_read_b128 v[54:57], v80 offset:464
	v_add_u32_e32 v26, 0x400, v80
	ds_read2_b64 v[26:29], v26 offset0:122 offset1:131
	global_store_dwordx4 v[76:77], v[16:19], off offset:64
	s_waitcnt lgkmcnt(1)
	v_fma_f64 v[24:25], -v[4:5], v[54:55], v[24:25]
	v_fma_f64 v[24:25], -v[6:7], v[74:75], v[24:25]
	ds_read_b128 v[72:75], v80 offset:1040
	v_fma_f64 v[24:25], -v[8:9], v[62:63], v[24:25]
	s_waitcnt lgkmcnt(0)
	v_fma_f64 v[24:25], -v[10:11], v[72:73], v[24:25]
	v_fma_f64 v[24:25], -v[12:13], v[52:53], v[24:25]
	ds_read_b128 v[50:53], v80 offset:1424
	s_waitcnt lgkmcnt(0)
	v_fma_f64 v[24:25], -v[14:15], v[50:51], v[24:25]
	v_fma_f64 v[24:25], -v[16:17], v[48:49], v[24:25]
	ds_read_b128 v[46:49], v80 offset:1808
	s_waitcnt lgkmcnt(0)
	v_fma_f64 v[24:25], -v[18:19], v[46:47], v[24:25]
	v_mul_f64 v[24:25], v[26:27], v[24:25]
	v_fma_f64 v[26:27], -v[0:1], v[60:61], v[34:35]
	ds_read2_b64 v[34:37], v80 offset0:35 offset1:36
	ds_read2_b64 v[58:61], v80 offset0:155 offset1:156
	s_waitcnt lgkmcnt(1)
	v_fma_f64 v[26:27], -v[2:3], v[34:35], v[26:27]
	v_fma_f64 v[26:27], -v[4:5], v[56:57], v[26:27]
	ds_read2_b64 v[54:57], v80 offset0:83 offset1:84
	s_waitcnt lgkmcnt(0)
	v_fma_f64 v[26:27], -v[6:7], v[54:55], v[26:27]
	v_fma_f64 v[26:27], -v[8:9], v[64:65], v[26:27]
	;; [unrolled: 1-line block ×3, first 2 shown]
	ds_read_b128 v[72:75], v80 offset:96
	ds_read2_b64 v[62:65], v81 offset0:19 offset1:44
	s_waitcnt lgkmcnt(1)
	v_fma_f64 v[30:31], -v[0:1], v[72:73], v[30:31]
	v_fma_f64 v[30:31], -v[2:3], v[36:37], v[30:31]
	ds_read_b128 v[34:37], v80 offset:480
	v_fma_f64 v[26:27], -v[12:13], v[58:59], v[26:27]
	v_fma_f64 v[26:27], -v[14:15], v[52:53], v[26:27]
	ds_read2_b64 v[50:53], v80 offset0:203 offset1:204
	v_fma_f64 v[32:33], -v[0:1], v[74:75], v[32:33]
	s_waitcnt lgkmcnt(1)
	v_fma_f64 v[30:31], -v[4:5], v[34:35], v[30:31]
	v_fma_f64 v[30:31], -v[6:7], v[56:57], v[30:31]
	ds_read_b128 v[54:57], v80 offset:864
	s_waitcnt lgkmcnt(1)
	v_fma_f64 v[26:27], -v[16:17], v[50:51], v[26:27]
	v_fma_f64 v[26:27], -v[18:19], v[48:49], v[26:27]
	ds_read2_b64 v[46:49], v80 offset0:251 offset1:252
	ds_read2_b64 v[72:75], v80 offset0:85 offset1:86
	s_waitcnt lgkmcnt(2)
	v_fma_f64 v[30:31], -v[8:9], v[54:55], v[30:31]
	v_fma_f64 v[30:31], -v[10:11], v[82:83], v[30:31]
	;; [unrolled: 1-line block ×3, first 2 shown]
	ds_read_b128 v[58:61], v80 offset:1440
	s_waitcnt lgkmcnt(2)
	v_fma_f64 v[26:27], -v[24:25], v[46:47], v[26:27]
	v_mul_f64 v[26:27], v[62:63], v[26:27]
	v_mov_b32_e32 v34, s8
	s_add_i32 s8, s7, 0x7f8
	s_waitcnt lgkmcnt(0)
	v_fma_f64 v[30:31], -v[14:15], v[58:59], v[30:31]
	v_fma_f64 v[30:31], -v[16:17], v[52:53], v[30:31]
	ds_read_b128 v[50:53], v80 offset:1824
	global_store_dwordx4 v[76:77], v[24:27], off offset:80
	s_waitcnt lgkmcnt(0)
	v_fma_f64 v[30:31], -v[18:19], v[50:51], v[30:31]
	v_fma_f64 v[30:31], -v[24:25], v[48:49], v[30:31]
	ds_read_b128 v[46:49], v80 offset:2208
	s_waitcnt lgkmcnt(0)
	v_fma_f64 v[30:31], -v[26:27], v[46:47], v[30:31]
	v_mul_f64 v[30:31], v[64:65], v[30:31]
	ds_read2_b64 v[62:65], v80 offset0:37 offset1:38
	s_waitcnt lgkmcnt(0)
	v_fma_f64 v[32:33], -v[2:3], v[62:63], v[32:33]
	v_fma_f64 v[32:33], -v[4:5], v[36:37], v[32:33]
	;; [unrolled: 1-line block ×4, first 2 shown]
	ds_read2_b64 v[54:57], v80 offset0:157 offset1:158
	v_fma_f64 v[32:33], -v[10:11], v[84:85], v[32:33]
	ds_read_b128 v[82:85], v80 offset:112
	s_waitcnt lgkmcnt(1)
	v_fma_f64 v[32:33], -v[12:13], v[54:55], v[32:33]
	v_fma_f64 v[32:33], -v[14:15], v[60:61], v[32:33]
	ds_read2_b64 v[58:61], v80 offset0:205 offset1:206
	s_waitcnt lgkmcnt(0)
	v_fma_f64 v[32:33], -v[16:17], v[58:59], v[32:33]
	v_fma_f64 v[32:33], -v[18:19], v[52:53], v[32:33]
	ds_read2_b64 v[50:53], v80 offset0:253 offset1:254
	s_waitcnt lgkmcnt(0)
	v_fma_f64 v[32:33], -v[24:25], v[50:51], v[32:33]
	v_fma_f64 v[32:33], -v[26:27], v[48:49], v[32:33]
	ds_read2_b64 v[46:49], v34 offset1:1
	ds_read2_b64 v[34:37], v81 offset0:51 offset1:69
	s_waitcnt lgkmcnt(1)
	v_fma_f64 v[32:33], -v[30:31], v[46:47], v[32:33]
	s_waitcnt lgkmcnt(0)
	v_mul_f64 v[32:33], v[36:37], v[32:33]
	v_fma_f64 v[36:37], -v[0:1], v[82:83], v[38:39]
	v_fma_f64 v[36:37], -v[2:3], v[64:65], v[36:37]
	ds_read_b128 v[62:65], v80 offset:496
	ds_read2_b64 v[38:41], v81 offset0:94 offset1:99
	global_store_dwordx4 v[76:77], v[30:33], off offset:96
	s_waitcnt lgkmcnt(1)
	v_fma_f64 v[36:37], -v[4:5], v[62:63], v[36:37]
	v_fma_f64 v[36:37], -v[6:7], v[74:75], v[36:37]
	ds_read_b128 v[72:75], v80 offset:880
	s_waitcnt lgkmcnt(0)
	v_fma_f64 v[36:37], -v[8:9], v[72:73], v[36:37]
	v_fma_f64 v[36:37], -v[10:11], v[90:91], v[36:37]
	;; [unrolled: 1-line block ×3, first 2 shown]
	ds_read_b128 v[54:57], v80 offset:1456
	s_waitcnt lgkmcnt(0)
	v_fma_f64 v[36:37], -v[14:15], v[54:55], v[36:37]
	v_fma_f64 v[36:37], -v[16:17], v[60:61], v[36:37]
	ds_read_b128 v[58:61], v80 offset:1840
	s_waitcnt lgkmcnt(0)
	v_fma_f64 v[36:37], -v[18:19], v[58:59], v[36:37]
	v_fma_f64 v[36:37], -v[24:25], v[52:53], v[36:37]
	;; [unrolled: 4-line block ×3, first 2 shown]
	ds_read_b128 v[46:49], v80 offset:2608
	s_waitcnt lgkmcnt(0)
	v_fma_f64 v[36:37], -v[32:33], v[46:47], v[36:37]
	v_mul_f64 v[36:37], v[38:39], v[36:37]
	v_fma_f64 v[38:39], -v[0:1], v[84:85], v[44:45]
	ds_read2_b64 v[44:47], v80 offset0:39 offset1:40
	ds_read2_b64 v[82:85], v80 offset0:207 offset1:208
	s_waitcnt lgkmcnt(1)
	v_fma_f64 v[38:39], -v[2:3], v[44:45], v[38:39]
	v_fma_f64 v[38:39], -v[4:5], v[64:65], v[38:39]
	ds_read2_b64 v[62:65], v80 offset0:87 offset1:88
	v_mov_b32_e32 v44, s8
	s_add_i32 s8, s7, 0x978
	v_fma_f64 v[42:43], -v[2:3], v[46:47], v[42:43]
	s_waitcnt lgkmcnt(0)
	v_fma_f64 v[38:39], -v[6:7], v[62:63], v[38:39]
	v_fma_f64 v[38:39], -v[8:9], v[74:75], v[38:39]
	ds_read2_b64 v[72:75], v80 offset0:159 offset1:160
	v_fma_f64 v[38:39], -v[10:11], v[92:93], v[38:39]
	ds_read2_b64 v[90:93], v44 offset1:1
	v_mov_b32_e32 v44, s8
	ds_read2_b64 v[94:97], v44 offset1:1
	s_waitcnt lgkmcnt(2)
	v_fma_f64 v[38:39], -v[12:13], v[72:73], v[38:39]
	v_fma_f64 v[38:39], -v[14:15], v[56:57], v[38:39]
	v_fma_f64 v[38:39], -v[16:17], v[82:83], v[38:39]
	v_fma_f64 v[38:39], -v[18:19], v[60:61], v[38:39]
	s_waitcnt lgkmcnt(1)
	v_fma_f64 v[38:39], -v[24:25], v[90:91], v[38:39]
	v_fma_f64 v[38:39], -v[26:27], v[52:53], v[38:39]
	s_waitcnt lgkmcnt(0)
	v_fma_f64 v[38:39], -v[30:31], v[94:95], v[38:39]
	v_fma_f64 v[38:39], -v[32:33], v[48:49], v[38:39]
	ds_read_b128 v[48:51], v80 offset:512
	ds_read_b128 v[52:55], v80 offset:896
	;; [unrolled: 1-line block ×4, first 2 shown]
	s_add_i32 s8, s7, 0xaf8
	s_waitcnt lgkmcnt(3)
	v_fma_f64 v[42:43], -v[4:5], v[48:49], v[42:43]
	v_fma_f64 v[42:43], -v[6:7], v[64:65], v[42:43]
	s_waitcnt lgkmcnt(2)
	v_fma_f64 v[42:43], -v[8:9], v[52:53], v[42:43]
	ds_read_b128 v[64:67], v80 offset:1856
	ds_read_b128 v[46:49], v80 offset:2240
	s_waitcnt lgkmcnt(3)
	v_fma_f64 v[42:43], -v[10:11], v[56:57], v[42:43]
	v_fma_f64 v[42:43], -v[12:13], v[74:75], v[42:43]
	s_waitcnt lgkmcnt(2)
	v_fma_f64 v[42:43], -v[14:15], v[60:61], v[42:43]
	v_fma_f64 v[42:43], -v[16:17], v[84:85], v[42:43]
	s_waitcnt lgkmcnt(1)
	v_fma_f64 v[42:43], -v[18:19], v[64:65], v[42:43]
	v_mov_b32_e32 v44, s8
	v_fma_f64 v[42:43], -v[24:25], v[92:93], v[42:43]
	ds_read2_b64 v[98:101], v44 offset1:1
	s_waitcnt lgkmcnt(1)
	v_fma_f64 v[42:43], -v[26:27], v[46:47], v[42:43]
	ds_read_b128 v[44:47], v80 offset:2624
	v_fma_f64 v[42:43], -v[30:31], v[96:97], v[42:43]
	ds_read2_b64 v[82:85], v80 offset0:41 offset1:42
	ds_read2_b64 v[90:93], v80 offset0:161 offset1:162
	s_waitcnt lgkmcnt(3)
	v_fma_f64 v[38:39], -v[36:37], v[98:99], v[38:39]
	s_waitcnt lgkmcnt(2)
	v_fma_f64 v[42:43], -v[32:33], v[44:45], v[42:43]
	v_fma_f64 v[52:53], -v[36:37], v[100:101], v[42:43]
	ds_read_b128 v[42:45], v80 offset:3008
	v_mul_f64 v[38:39], v[102:103], v[38:39]
	ds_read2_b64 v[72:75], v80 offset0:209 offset1:210
	s_add_i32 s8, s7, 0x808
	global_store_dwordx4 v[76:77], v[36:39], off offset:112
	s_waitcnt lgkmcnt(1)
	v_fma_f64 v[42:43], -v[38:39], v[42:43], v[52:53]
	v_fma_f64 v[52:53], -v[0:1], v[108:109], v[68:69]
	;; [unrolled: 1-line block ×4, first 2 shown]
	ds_read2_b64 v[50:53], v80 offset0:89 offset1:90
	v_mul_f64 v[42:43], v[104:105], v[42:43]
	s_waitcnt lgkmcnt(0)
	v_fma_f64 v[50:51], -v[6:7], v[50:51], v[56:57]
	v_fma_f64 v[50:51], -v[8:9], v[54:55], v[50:51]
	;; [unrolled: 1-line block ×6, first 2 shown]
	v_mov_b32_e32 v54, s8
	v_fma_f64 v[50:51], -v[18:19], v[66:67], v[50:51]
	ds_read2_b64 v[66:69], v54 offset1:1
	s_add_i32 s8, s7, 0x988
	s_waitcnt lgkmcnt(0)
	v_fma_f64 v[50:51], -v[24:25], v[66:67], v[50:51]
	v_fma_f64 v[48:49], -v[26:27], v[48:49], v[50:51]
	v_mov_b32_e32 v50, s8
	ds_read2_b64 v[60:63], v50 offset1:1
	s_add_i32 s8, s7, 0xb08
	s_addk_i32 s7, 0xc88
	ds_read_b128 v[64:67], v80 offset:1104
	s_waitcnt lgkmcnt(1)
	v_fma_f64 v[48:49], -v[30:31], v[60:61], v[48:49]
	v_fma_f64 v[46:47], -v[32:33], v[46:47], v[48:49]
	v_mov_b32_e32 v48, s8
	ds_read2_b64 v[58:61], v48 offset1:1
	s_mov_b32 s8, s6
	s_waitcnt lgkmcnt(0)
	v_fma_f64 v[46:47], -v[36:37], v[58:59], v[46:47]
	v_fma_f64 v[44:45], -v[38:39], v[44:45], v[46:47]
	v_mov_b32_e32 v46, s7
	ds_read2_b64 v[56:59], v46 offset1:1
	ds_read2_b64 v[46:49], v81 offset0:147 offset1:169
	s_mul_i32 s7, s9, 0xc8
	s_waitcnt lgkmcnt(1)
	v_fma_f64 v[44:45], -v[42:43], v[56:57], v[44:45]
	ds_read_b128 v[54:57], v80 offset:144
	s_waitcnt lgkmcnt(1)
	v_mul_f64 v[44:45], v[48:49], v[44:45]
	global_store_dwordx4 v[76:77], v[42:45], off offset:128
	s_waitcnt lgkmcnt(0)
	v_fma_f64 v[48:49], -v[0:1], v[54:55], v[70:71]
	v_fma_f64 v[54:55], -v[2:3], v[84:85], v[48:49]
	ds_read_b128 v[48:51], v80 offset:528
	ds_read_b128 v[70:73], v80 offset:1488
	;; [unrolled: 1-line block ×3, first 2 shown]
	v_fma_f64 v[0:1], -v[0:1], v[56:57], v[78:79]
	s_waitcnt lgkmcnt(2)
	v_fma_f64 v[48:49], -v[4:5], v[48:49], v[54:55]
	v_fma_f64 v[48:49], -v[6:7], v[52:53], v[48:49]
	ds_read_b128 v[52:55], v80 offset:912
	s_waitcnt lgkmcnt(0)
	v_fma_f64 v[48:49], -v[8:9], v[52:53], v[48:49]
	v_fma_f64 v[48:49], -v[10:11], v[64:65], v[48:49]
	;; [unrolled: 1-line block ×7, first 2 shown]
	ds_read_b128 v[68:71], v80 offset:2256
	ds_read2_b64 v[90:93], v81 offset0:194 offset1:195
	s_waitcnt lgkmcnt(1)
	v_fma_f64 v[48:49], -v[26:27], v[68:69], v[48:49]
	v_fma_f64 v[48:49], -v[30:31], v[62:63], v[48:49]
	ds_read_b128 v[62:65], v80 offset:2640
	s_waitcnt lgkmcnt(0)
	v_fma_f64 v[48:49], -v[32:33], v[62:63], v[48:49]
	v_fma_f64 v[48:49], -v[36:37], v[60:61], v[48:49]
	ds_read_b128 v[60:63], v80 offset:3024
	s_waitcnt lgkmcnt(0)
	v_fma_f64 v[48:49], -v[38:39], v[60:61], v[48:49]
	v_fma_f64 v[48:49], -v[42:43], v[58:59], v[48:49]
	ds_read_b128 v[58:61], v80 offset:3408
	s_waitcnt lgkmcnt(0)
	v_fma_f64 v[48:49], -v[44:45], v[58:59], v[48:49]
	ds_read2_b64 v[56:59], v80 offset0:43 offset1:91
	v_mul_f64 v[48:49], v[90:91], v[48:49]
	s_waitcnt lgkmcnt(0)
	v_fma_f64 v[0:1], -v[2:3], v[56:57], v[0:1]
	v_fma_f64 v[0:1], -v[4:5], v[50:51], v[0:1]
	;; [unrolled: 1-line block ×13, first 2 shown]
	v_mov_b32_e32 v2, s7
	v_fma_f64 v[0:1], -v[36:37], v[40:41], v[0:1]
	ds_read_b64 v[2:3], v2
	v_fma_f64 v[0:1], -v[38:39], v[62:63], v[0:1]
	v_fma_f64 v[0:1], -v[42:43], v[46:47], v[0:1]
	;; [unrolled: 1-line block ×4, first 2 shown]
	s_waitcnt lgkmcnt(0)
	v_mul_f64 v[50:51], v[2:3], v[0:1]
	global_store_dwordx4 v[76:77], v[48:51], off offset:144
.LBB95_43:
	s_cmp_ge_i32 s8, s16
	s_cbranch_scc1 .LBB95_54
; %bb.44:
	s_add_i32 s6, s8, -1
	s_lshl_b32 s7, s8, 3
	s_add_u32 s4, s10, s4
	s_addc_u32 s5, s11, s5
	s_add_u32 s2, s4, s2
	s_addc_u32 s3, s5, s3
	v_mov_b32_e32 v0, s3
	v_add_co_u32_e32 v8, vcc, s2, v88
	v_addc_co_u32_e32 v9, vcc, v0, v89, vcc
	v_add_co_u32_e32 v0, vcc, 56, v8
	v_addc_co_u32_e32 v1, vcc, 0, v9, vcc
	s_mov_b32 s3, 0
	s_mov_b32 s5, s8
	;; [unrolled: 1-line block ×3, first 2 shown]
	s_branch .LBB95_46
.LBB95_45:                              ;   in Loop: Header=BB95_46 Depth=1
	s_mul_i32 s2, s8, 0xc8
	v_mov_b32_e32 v6, s2
	ds_read_b64 v[6:7], v6
	s_add_i32 s8, s8, 1
	s_add_i32 s4, s4, 1
	;; [unrolled: 1-line block ×3, first 2 shown]
	v_add_u16_e64 v10, s5, 1
	s_waitcnt lgkmcnt(0)
	v_mul_f64 v[4:5], v[6:7], v[4:5]
	s_cmp_ge_i32 s8, s16
	v_readfirstlane_b32 s5, v10
	global_store_dwordx2 v[2:3], v[4:5], off
	s_cbranch_scc1 .LBB95_54
.LBB95_46:                              ; =>This Loop Header: Depth=1
                                        ;     Child Loop BB95_49 Depth 2
                                        ;     Child Loop BB95_53 Depth 2
	s_ashr_i32 s9, s8, 31
	s_lshl_b64 s[10:11], s[8:9], 3
	v_mov_b32_e32 v3, s11
	v_add_co_u32_e32 v2, vcc, s10, v86
	v_addc_co_u32_e32 v3, vcc, v87, v3, vcc
	global_load_dwordx2 v[4:5], v[2:3], off
	s_cmp_eq_u32 s8, 0
	s_waitcnt vmcnt(0)
	v_mul_f64 v[4:5], v[4:5], s[0:1]
	s_cbranch_scc1 .LBB95_45
; %bb.47:                               ;   in Loop: Header=BB95_46 Depth=1
	s_add_i32 s2, s6, s4
	s_cmp_lt_u32 s2, 7
	s_cbranch_scc1 .LBB95_51
; %bb.48:                               ;   in Loop: Header=BB95_46 Depth=1
	s_and_b32 s2, s8, -8
	s_mov_b32 s9, 0
	v_pk_mov_b32 v[6:7], v[0:1], v[0:1] op_sel:[0,1]
	s_mov_b32 s10, s7
.LBB95_49:                              ;   Parent Loop BB95_46 Depth=1
                                        ; =>  This Inner Loop Header: Depth=2
	global_load_dwordx4 v[10:13], v[6:7], off offset:-56
	global_load_dwordx4 v[14:17], v[6:7], off offset:-40
	;; [unrolled: 1-line block ×4, first 2 shown]
	v_mov_b32_e32 v38, s10
	ds_read2_b64 v[26:29], v38 offset1:24
	ds_read2_b64 v[30:33], v38 offset0:48 offset1:72
	ds_read2_b64 v[34:37], v38 offset0:96 offset1:120
	;; [unrolled: 1-line block ×3, first 2 shown]
	s_add_i32 s9, s9, 8
	s_addk_i32 s10, 0x600
	v_add_co_u32_e32 v6, vcc, 64, v6
	v_addc_co_u32_e32 v7, vcc, 0, v7, vcc
	s_cmp_lg_u32 s2, s9
	s_waitcnt vmcnt(3) lgkmcnt(3)
	v_fma_f64 v[4:5], -v[10:11], v[26:27], v[4:5]
	v_fma_f64 v[4:5], -v[12:13], v[28:29], v[4:5]
	s_waitcnt vmcnt(2) lgkmcnt(2)
	v_fma_f64 v[4:5], -v[14:15], v[30:31], v[4:5]
	v_fma_f64 v[4:5], -v[16:17], v[32:33], v[4:5]
	;; [unrolled: 3-line block ×4, first 2 shown]
	s_cbranch_scc1 .LBB95_49
; %bb.50:                               ;   in Loop: Header=BB95_46 Depth=1
	s_and_b32 s9, s8, 7
	s_cmp_eq_u32 s9, 0
	s_cbranch_scc0 .LBB95_52
	s_branch .LBB95_45
.LBB95_51:                              ;   in Loop: Header=BB95_46 Depth=1
	s_mov_b32 s2, 0
	s_and_b32 s9, s8, 7
	s_cmp_eq_u32 s9, 0
	s_cbranch_scc1 .LBB95_45
.LBB95_52:                              ;   in Loop: Header=BB95_46 Depth=1
	s_lshl_b64 s[12:13], s[2:3], 3
	v_mov_b32_e32 v7, s13
	v_add_co_u32_e32 v6, vcc, s12, v8
	s_and_b32 s9, s5, 7
	s_mul_i32 s10, s2, 0xc0
	v_addc_co_u32_e32 v7, vcc, v9, v7, vcc
.LBB95_53:                              ;   Parent Loop BB95_46 Depth=1
                                        ; =>  This Inner Loop Header: Depth=2
	global_load_dwordx2 v[10:11], v[6:7], off
	s_add_i32 s2, s7, s10
	v_mov_b32_e32 v12, s2
	ds_read_b64 v[12:13], v12
	s_addk_i32 s10, 0xc0
	v_add_co_u32_e32 v6, vcc, 8, v6
	s_add_i32 s9, s9, -1
	v_addc_co_u32_e32 v7, vcc, 0, v7, vcc
	s_cmp_lg_u32 s9, 0
	s_waitcnt vmcnt(0) lgkmcnt(0)
	v_fma_f64 v[4:5], -v[10:11], v[12:13], v[4:5]
	s_cbranch_scc1 .LBB95_53
	s_branch .LBB95_45
.LBB95_54:
	s_endpgm
	.section	.rodata,"a",@progbits
	.p2align	6, 0x0
	.amdhsa_kernel _ZL30rocblas_trsm_small_left_deviceILi24ELi24ELb1EddPKdPdEv13rocblas_fill_18rocblas_operation_17rocblas_diagonal_iiT3_T4_lilT5_lili
		.amdhsa_group_segment_fixed_size 4608
		.amdhsa_private_segment_fixed_size 0
		.amdhsa_kernarg_size 360
		.amdhsa_user_sgpr_count 6
		.amdhsa_user_sgpr_private_segment_buffer 1
		.amdhsa_user_sgpr_dispatch_ptr 0
		.amdhsa_user_sgpr_queue_ptr 0
		.amdhsa_user_sgpr_kernarg_segment_ptr 1
		.amdhsa_user_sgpr_dispatch_id 0
		.amdhsa_user_sgpr_flat_scratch_init 0
		.amdhsa_user_sgpr_kernarg_preload_length 0
		.amdhsa_user_sgpr_kernarg_preload_offset 0
		.amdhsa_user_sgpr_private_segment_size 0
		.amdhsa_uses_dynamic_stack 0
		.amdhsa_system_sgpr_private_segment_wavefront_offset 0
		.amdhsa_system_sgpr_workgroup_id_x 1
		.amdhsa_system_sgpr_workgroup_id_y 0
		.amdhsa_system_sgpr_workgroup_id_z 1
		.amdhsa_system_sgpr_workgroup_info 0
		.amdhsa_system_vgpr_workitem_id 0
		.amdhsa_next_free_vgpr 120
		.amdhsa_next_free_sgpr 37
		.amdhsa_accum_offset 120
		.amdhsa_reserve_vcc 1
		.amdhsa_reserve_flat_scratch 0
		.amdhsa_float_round_mode_32 0
		.amdhsa_float_round_mode_16_64 0
		.amdhsa_float_denorm_mode_32 3
		.amdhsa_float_denorm_mode_16_64 3
		.amdhsa_dx10_clamp 1
		.amdhsa_ieee_mode 1
		.amdhsa_fp16_overflow 0
		.amdhsa_tg_split 0
		.amdhsa_exception_fp_ieee_invalid_op 0
		.amdhsa_exception_fp_denorm_src 0
		.amdhsa_exception_fp_ieee_div_zero 0
		.amdhsa_exception_fp_ieee_overflow 0
		.amdhsa_exception_fp_ieee_underflow 0
		.amdhsa_exception_fp_ieee_inexact 0
		.amdhsa_exception_int_div_zero 0
	.end_amdhsa_kernel
	.section	.text._ZL30rocblas_trsm_small_left_deviceILi24ELi24ELb1EddPKdPdEv13rocblas_fill_18rocblas_operation_17rocblas_diagonal_iiT3_T4_lilT5_lili,"axG",@progbits,_ZL30rocblas_trsm_small_left_deviceILi24ELi24ELb1EddPKdPdEv13rocblas_fill_18rocblas_operation_17rocblas_diagonal_iiT3_T4_lilT5_lili,comdat
.Lfunc_end95:
	.size	_ZL30rocblas_trsm_small_left_deviceILi24ELi24ELb1EddPKdPdEv13rocblas_fill_18rocblas_operation_17rocblas_diagonal_iiT3_T4_lilT5_lili, .Lfunc_end95-_ZL30rocblas_trsm_small_left_deviceILi24ELi24ELb1EddPKdPdEv13rocblas_fill_18rocblas_operation_17rocblas_diagonal_iiT3_T4_lilT5_lili
                                        ; -- End function
	.section	.AMDGPU.csdata,"",@progbits
; Kernel info:
; codeLenInByte = 22460
; NumSgprs: 41
; NumVgprs: 120
; NumAgprs: 0
; TotalNumVgprs: 120
; ScratchSize: 0
; MemoryBound: 1
; FloatMode: 240
; IeeeMode: 1
; LDSByteSize: 4608 bytes/workgroup (compile time only)
; SGPRBlocks: 5
; VGPRBlocks: 14
; NumSGPRsForWavesPerEU: 41
; NumVGPRsForWavesPerEU: 120
; AccumOffset: 120
; Occupancy: 4
; WaveLimiterHint : 1
; COMPUTE_PGM_RSRC2:SCRATCH_EN: 0
; COMPUTE_PGM_RSRC2:USER_SGPR: 6
; COMPUTE_PGM_RSRC2:TRAP_HANDLER: 0
; COMPUTE_PGM_RSRC2:TGID_X_EN: 1
; COMPUTE_PGM_RSRC2:TGID_Y_EN: 0
; COMPUTE_PGM_RSRC2:TGID_Z_EN: 1
; COMPUTE_PGM_RSRC2:TIDIG_COMP_CNT: 0
; COMPUTE_PGM_RSRC3_GFX90A:ACCUM_OFFSET: 29
; COMPUTE_PGM_RSRC3_GFX90A:TG_SPLIT: 0
	.section	.text._ZL31rocblas_trsm_small_right_deviceIddPKdPdLi24EEv13rocblas_fill_18rocblas_operation_17rocblas_diagonal_iiT0_T1_lilT2_lili,"axG",@progbits,_ZL31rocblas_trsm_small_right_deviceIddPKdPdLi24EEv13rocblas_fill_18rocblas_operation_17rocblas_diagonal_iiT0_T1_lilT2_lili,comdat
	.globl	_ZL31rocblas_trsm_small_right_deviceIddPKdPdLi24EEv13rocblas_fill_18rocblas_operation_17rocblas_diagonal_iiT0_T1_lilT2_lili ; -- Begin function _ZL31rocblas_trsm_small_right_deviceIddPKdPdLi24EEv13rocblas_fill_18rocblas_operation_17rocblas_diagonal_iiT0_T1_lilT2_lili
	.p2align	8
	.type	_ZL31rocblas_trsm_small_right_deviceIddPKdPdLi24EEv13rocblas_fill_18rocblas_operation_17rocblas_diagonal_iiT0_T1_lilT2_lili,@function
_ZL31rocblas_trsm_small_right_deviceIddPKdPdLi24EEv13rocblas_fill_18rocblas_operation_17rocblas_diagonal_iiT0_T1_lilT2_lili: ; @_ZL31rocblas_trsm_small_right_deviceIddPKdPdLi24EEv13rocblas_fill_18rocblas_operation_17rocblas_diagonal_iiT0_T1_lilT2_lili
; %bb.0:
	s_load_dwordx4 s[8:11], s[4:5], 0x0
	s_load_dword s30, s[4:5], 0x10
	s_load_dwordx4 s[12:15], s[4:5], 0x18
	s_load_dwordx2 s[20:21], s[4:5], 0x28
	s_load_dwordx4 s[0:3], s[4:5], 0x38
	s_load_dwordx2 s[16:17], s[4:5], 0x48
	s_waitcnt lgkmcnt(0)
	s_min_i32 s31, s30, 24
	s_mov_b32 s34, 0
	s_add_i32 s33, s31, -1
	v_cmp_gt_i32_e32 vcc, s31, v0
	s_and_saveexec_b64 s[18:19], vcc
	s_cbranch_execz .LBB96_9
; %bb.1:
	s_load_dword s22, s[4:5], 0x30
	s_mul_i32 s1, s7, s1
	s_mul_hi_u32 s24, s7, s0
	s_add_i32 s1, s24, s1
	s_mul_i32 s0, s7, s0
	s_waitcnt lgkmcnt(0)
	s_ashr_i32 s23, s22, 31
	s_cmp_lt_u32 s33, 3
	s_cbranch_scc1 .LBB96_4
; %bb.2:
	s_lshl_b64 s[24:25], s[0:1], 3
	s_add_u32 s26, s14, s24
	s_addc_u32 s27, s15, s25
	s_lshl_b64 s[24:25], s[20:21], 3
	s_add_u32 s24, s26, s24
	s_addc_u32 s25, s27, s25
	v_lshlrev_b32_e32 v1, 3, v0
	v_mov_b32_e32 v3, s25
	v_add_co_u32_e32 v2, vcc, s24, v1
	s_mul_hi_i32 s37, s22, 24
	s_lshl_b64 s[24:25], s[22:23], 5
	s_lshl_b64 s[26:27], s[22:23], 4
	;; [unrolled: 1-line block ×3, first 2 shown]
	v_addc_co_u32_e32 v3, vcc, 0, v3, vcc
	s_and_b32 s34, s31, -4
	s_mul_i32 s35, s22, 24
	s_mov_b32 s36, 0
	v_mov_b32_e32 v4, s29
	v_mov_b32_e32 v5, s27
	;; [unrolled: 1-line block ×4, first 2 shown]
.LBB96_3:                               ; =>This Inner Loop Header: Depth=1
	v_add_co_u32_e32 v10, vcc, s28, v2
	v_addc_co_u32_e32 v11, vcc, v3, v4, vcc
	v_add_co_u32_e32 v12, vcc, s26, v2
	v_addc_co_u32_e32 v13, vcc, v3, v5, vcc
	v_add_co_u32_e32 v14, vcc, s35, v2
	global_load_dwordx2 v[8:9], v[2:3], off
	v_addc_co_u32_e32 v15, vcc, v3, v6, vcc
	global_load_dwordx2 v[16:17], v[10:11], off
	global_load_dwordx2 v[18:19], v[12:13], off
	;; [unrolled: 1-line block ×3, first 2 shown]
	s_add_i32 s36, s36, 4
	v_add_co_u32_e32 v2, vcc, s24, v2
	v_addc_co_u32_e32 v3, vcc, v3, v7, vcc
	s_cmp_eq_u32 s34, s36
	s_waitcnt vmcnt(2)
	ds_write2_b64 v1, v[8:9], v[16:17] offset1:24
	s_waitcnt vmcnt(0)
	ds_write2_b64 v1, v[18:19], v[20:21] offset0:48 offset1:72
	v_add_u32_e32 v1, 0x300, v1
	s_cbranch_scc0 .LBB96_3
.LBB96_4:
	s_and_b32 s24, s31, 3
	s_cmp_eq_u32 s24, 0
	s_cbranch_scc1 .LBB96_7
; %bb.5:
	s_mul_i32 s25, s34, 0xc0
	v_lshl_add_u32 v1, v0, 3, s25
	s_mul_i32 s25, s23, s34
	s_mul_hi_u32 s26, s22, s34
	s_add_i32 s27, s26, s25
	s_mul_i32 s26, s22, s34
	s_lshl_b64 s[0:1], s[0:1], 3
	s_lshl_b64 s[26:27], s[26:27], 3
	s_add_u32 s25, s0, s26
	s_addc_u32 s26, s1, s27
	s_lshl_b64 s[0:1], s[20:21], 3
	s_add_u32 s0, s25, s0
	s_addc_u32 s1, s26, s1
	s_add_u32 s0, s14, s0
	v_lshlrev_b32_e32 v2, 3, v0
	s_addc_u32 s1, s15, s1
	v_mov_b32_e32 v3, s1
	v_add_co_u32_e32 v2, vcc, s0, v2
	s_lshl_b64 s[0:1], s[22:23], 3
	v_addc_co_u32_e32 v3, vcc, 0, v3, vcc
	v_mov_b32_e32 v4, s1
.LBB96_6:                               ; =>This Inner Loop Header: Depth=1
	global_load_dwordx2 v[6:7], v[2:3], off
	v_add_co_u32_e32 v2, vcc, s0, v2
	s_add_i32 s24, s24, -1
	v_addc_co_u32_e32 v3, vcc, v3, v4, vcc
	s_cmp_lg_u32 s24, 0
	s_waitcnt vmcnt(0)
	ds_write_b64 v1, v[6:7]
	v_add_u32_e32 v1, 0xc0, v1
	s_cbranch_scc1 .LBB96_6
.LBB96_7:
	s_cmpk_eq_i32 s10, 0x84
	s_cbranch_scc0 .LBB96_9
; %bb.8:
	v_mul_u32_u24_e32 v1, 25, v0
	v_lshlrev_b32_e32 v1, 3, v1
	v_mov_b32_e32 v2, 0
	v_mov_b32_e32 v3, 0x3ff00000
	ds_write_b64 v1, v[2:3]
.LBB96_9:
	s_or_b64 exec, exec, s[18:19]
	s_load_dword s1, s[4:5], 0x68
	s_load_dwordx2 s[14:15], s[4:5], 0x58
	s_load_dword s0, s[4:5], 0x50
	s_mul_i32 s23, s6, 0xc0
	s_mul_hi_i32 s22, s6, 0xc0
	s_mov_b32 s26, 0
	s_waitcnt lgkmcnt(0)
	s_mul_i32 s5, s7, s15
	s_mul_hi_u32 s10, s7, s14
	s_mul_i32 s4, s7, s14
	s_add_i32 s5, s10, s5
	s_lshl_b64 s[14:15], s[4:5], 3
	s_add_u32 s7, s2, s14
	s_addc_u32 s10, s3, s15
	s_lshl_b64 s[4:5], s[16:17], 3
	s_add_u32 s7, s7, s4
	s_mul_i32 s16, s6, 0xffffffe8
	s_addc_u32 s10, s10, s5
	s_add_i32 s1, s1, -1
	s_add_i32 s16, s16, s11
	s_cmp_ge_u32 s6, s1
	s_cselect_b32 s1, s16, 24
	s_add_u32 s24, s7, s23
	s_addc_u32 s25, s10, s22
	s_cmp_gt_i32 s30, 0
	v_cmp_gt_i32_e32 vcc, s1, v0
	s_cselect_b64 s[6:7], -1, 0
	s_and_b64 s[6:7], vcc, s[6:7]
	s_and_saveexec_b64 s[10:11], s[6:7]
	s_cbranch_execz .LBB96_16
; %bb.10:
	s_ashr_i32 s1, s0, 31
	s_cmp_lt_u32 s30, 4
	s_cbranch_scc1 .LBB96_13
; %bb.11:
	v_lshlrev_b32_e32 v1, 3, v0
	v_mov_b32_e32 v3, s25
	v_add_co_u32_e32 v2, vcc, s24, v1
	s_mul_hi_i32 s29, s0, 24
	s_lshl_b64 s[16:17], s[0:1], 5
	s_lshl_b64 s[18:19], s[0:1], 4
	;; [unrolled: 1-line block ×3, first 2 shown]
	v_mov_b32_e32 v1, 0x1200
	v_addc_co_u32_e32 v3, vcc, 0, v3, vcc
	s_and_b32 s26, s30, 0x7ffffffc
	s_mul_i32 s27, s0, 24
	v_lshl_or_b32 v1, v0, 3, v1
	s_mov_b32 s28, 0
	v_mov_b32_e32 v4, s21
	v_mov_b32_e32 v5, s19
	;; [unrolled: 1-line block ×4, first 2 shown]
.LBB96_12:                              ; =>This Inner Loop Header: Depth=1
	v_add_co_u32_e32 v10, vcc, s20, v2
	v_addc_co_u32_e32 v11, vcc, v3, v4, vcc
	v_add_co_u32_e32 v12, vcc, s18, v2
	v_addc_co_u32_e32 v13, vcc, v3, v5, vcc
	global_load_dwordx2 v[8:9], v[2:3], off
	v_add_co_u32_e32 v14, vcc, s27, v2
	v_addc_co_u32_e32 v15, vcc, v3, v6, vcc
	global_load_dwordx2 v[16:17], v[10:11], off
	global_load_dwordx2 v[18:19], v[12:13], off
	;; [unrolled: 1-line block ×3, first 2 shown]
	s_add_i32 s28, s28, 4
	v_add_co_u32_e32 v2, vcc, s16, v2
	v_addc_co_u32_e32 v3, vcc, v3, v7, vcc
	s_cmp_lg_u32 s26, s28
	s_waitcnt vmcnt(3)
	v_mul_f64 v[8:9], v[8:9], s[12:13]
	s_waitcnt vmcnt(2)
	v_mul_f64 v[10:11], v[16:17], s[12:13]
	;; [unrolled: 2-line block ×4, first 2 shown]
	ds_write2_b64 v1, v[8:9], v[10:11] offset1:24
	ds_write2_b64 v1, v[12:13], v[14:15] offset0:48 offset1:72
	v_add_u32_e32 v1, 0x300, v1
	s_cbranch_scc1 .LBB96_12
.LBB96_13:
	s_and_b32 s18, s30, 3
	s_cmp_eq_u32 s18, 0
	s_cbranch_scc1 .LBB96_16
; %bb.14:
	s_mul_i32 s16, s26, 0xc0
	v_lshl_add_u32 v1, v0, 3, s16
	s_mul_hi_i32 s17, s0, s26
	s_mul_i32 s16, s0, s26
	s_lshl_b64 s[16:17], s[16:17], 3
	s_add_u32 s16, s14, s16
	s_addc_u32 s17, s15, s17
	s_add_u32 s16, s16, s23
	s_addc_u32 s17, s17, s22
	;; [unrolled: 2-line block ×3, first 2 shown]
	s_add_u32 s16, s2, s16
	v_lshlrev_b32_e32 v2, 3, v0
	s_addc_u32 s17, s3, s17
	v_mov_b32_e32 v3, s17
	v_add_co_u32_e32 v2, vcc, s16, v2
	s_lshl_b64 s[16:17], s[0:1], 3
	v_add_u32_e32 v1, 0x1200, v1
	v_addc_co_u32_e32 v3, vcc, 0, v3, vcc
	v_mov_b32_e32 v4, s17
.LBB96_15:                              ; =>This Inner Loop Header: Depth=1
	global_load_dwordx2 v[6:7], v[2:3], off
	v_add_co_u32_e32 v2, vcc, s16, v2
	s_add_i32 s18, s18, -1
	v_addc_co_u32_e32 v3, vcc, v3, v4, vcc
	s_cmp_lg_u32 s18, 0
	s_waitcnt vmcnt(0)
	v_mul_f64 v[6:7], v[6:7], s[12:13]
	ds_write_b64 v1, v[6:7]
	v_add_u32_e32 v1, 0xc0, v1
	s_cbranch_scc1 .LBB96_15
.LBB96_16:
	s_or_b64 exec, exec, s[10:11]
	s_cmpk_eq_i32 s9, 0x6f
	s_cselect_b64 s[12:13], -1, 0
	s_cmpk_eq_i32 s8, 0x79
	s_cselect_b64 s[16:17], -1, 0
	s_cmpk_lg_i32 s8, 0x79
	s_cselect_b64 s[10:11], -1, 0
	s_and_b64 s[16:17], s[16:17], s[12:13]
	s_andn2_b64 vcc, exec, s[16:17]
	s_mov_b64 s[16:17], -1
	s_waitcnt lgkmcnt(0)
	; wave barrier
	s_waitcnt lgkmcnt(0)
	s_cbranch_vccz .LBB96_80
; %bb.17:
	s_cmpk_lg_i32 s8, 0x7a
	s_cselect_b64 s[8:9], -1, 0
	s_xor_b64 s[12:13], s[12:13], -1
	s_or_b64 s[12:13], s[8:9], s[12:13]
	s_cmp_gt_i32 s30, 3
	s_cselect_b64 s[8:9], -1, 0
	s_and_b64 vcc, exec, s[12:13]
	s_cbranch_vccz .LBB96_59
; %bb.18:
	s_andn2_b64 vcc, exec, s[10:11]
	s_mov_b64 s[10:11], -1
	s_cbranch_vccnz .LBB96_38
; %bb.19:
	s_andn2_b64 vcc, exec, s[8:9]
	s_mov_b32 s11, 0
	s_cbranch_vccnz .LBB96_26
; %bb.20:
	v_mov_b32_e32 v1, 0x1200
	v_lshl_or_b32 v1, v0, 3, v1
	s_mov_b32 s1, 0
	s_mov_b32 s10, 0
.LBB96_21:                              ; =>This Loop Header: Depth=1
                                        ;     Child Loop BB96_23 Depth 2
	s_mul_i32 s12, s10, 24
	v_add_lshl_u32 v10, s12, v0, 3
	s_add_i32 s11, s12, 24
	s_add_i32 s12, s12, 48
	v_add_lshl_u32 v12, s12, v0, 3
	v_add_u32_e32 v2, 0x1000, v12
	v_add_lshl_u32 v11, s11, v0, 3
	ds_read_b64 v[8:9], v10 offset:4608
	ds_read_b64 v[6:7], v11 offset:4608
	ds_read2_b64 v[2:5], v2 offset0:64 offset1:88
	s_cmp_eq_u32 s10, 0
	s_cbranch_scc1 .LBB96_24
; %bb.22:                               ;   in Loop: Header=BB96_21 Depth=1
	s_mov_b32 s12, 0
	v_mov_b32_e32 v13, v1
	s_mov_b32 s13, s1
.LBB96_23:                              ;   Parent Loop BB96_21 Depth=1
                                        ; =>  This Inner Loop Header: Depth=2
	ds_read2_b64 v[14:17], v13 offset1:24
	v_mov_b32_e32 v50, s13
	ds_read2_b64 v[18:21], v13 offset0:48 offset1:72
	ds_read_b128 v[22:25], v50
	ds_read_b128 v[26:29], v50 offset:16
	ds_read_b128 v[30:33], v50 offset:192
	;; [unrolled: 1-line block ×7, first 2 shown]
	s_add_i32 s12, s12, 4
	s_waitcnt lgkmcnt(7)
	v_fma_f64 v[8:9], -v[14:15], v[22:23], v[8:9]
	v_fma_f64 v[6:7], -v[14:15], v[24:25], v[6:7]
	s_waitcnt lgkmcnt(6)
	v_fma_f64 v[2:3], -v[14:15], v[26:27], v[2:3]
	v_fma_f64 v[4:5], -v[14:15], v[28:29], v[4:5]
	;; [unrolled: 3-line block ×4, first 2 shown]
	s_addk_i32 s13, 0x300
	s_waitcnt lgkmcnt(3)
	v_fma_f64 v[8:9], -v[18:19], v[38:39], v[8:9]
	v_fma_f64 v[6:7], -v[18:19], v[40:41], v[6:7]
	s_waitcnt lgkmcnt(2)
	v_fma_f64 v[2:3], -v[18:19], v[42:43], v[2:3]
	v_fma_f64 v[4:5], -v[18:19], v[44:45], v[4:5]
	v_add_u32_e32 v13, 0x300, v13
	s_cmp_ge_u32 s12, s10
	s_waitcnt lgkmcnt(1)
	v_fma_f64 v[8:9], -v[20:21], v[46:47], v[8:9]
	v_fma_f64 v[6:7], -v[20:21], v[48:49], v[6:7]
	s_waitcnt lgkmcnt(0)
	v_fma_f64 v[2:3], -v[20:21], v[50:51], v[2:3]
	v_fma_f64 v[4:5], -v[20:21], v[52:53], v[4:5]
	s_cbranch_scc0 .LBB96_23
.LBB96_24:                              ;   in Loop: Header=BB96_21 Depth=1
	s_mul_i32 s12, s10, 0xc8
	v_add_u32_e32 v13, 0x1200, v10
	v_add_u32_e32 v10, 0x1200, v12
	v_mov_b32_e32 v12, s12
	ds_read_b128 v[14:17], v12
	ds_read_b128 v[18:21], v12 offset:16
	ds_read2_b64 v[22:25], v12 offset0:25 offset1:26
	ds_read_b128 v[26:29], v12 offset:400
	s_add_i32 s11, s11, s10
	s_lshl_b32 s11, s11, 3
	s_waitcnt lgkmcnt(3)
	v_div_scale_f64 v[30:31], s[12:13], v[14:15], v[14:15], v[8:9]
	v_rcp_f64_e32 v[32:33], v[30:31]
	v_div_scale_f64 v[34:35], vcc, v[8:9], v[14:15], v[8:9]
	v_add_u32_e32 v11, 0x1200, v11
	v_fma_f64 v[36:37], -v[30:31], v[32:33], 1.0
	v_fmac_f64_e32 v[32:33], v[32:33], v[36:37]
	v_fma_f64 v[36:37], -v[30:31], v[32:33], 1.0
	v_fmac_f64_e32 v[32:33], v[32:33], v[36:37]
	v_mul_f64 v[36:37], v[34:35], v[32:33]
	v_fma_f64 v[30:31], -v[30:31], v[36:37], v[34:35]
	v_div_fmas_f64 v[30:31], v[30:31], v[32:33], v[36:37]
	v_div_fixup_f64 v[8:9], v[30:31], v[14:15], v[8:9]
	v_fma_f64 v[6:7], -v[8:9], v[16:17], v[6:7]
	s_waitcnt lgkmcnt(1)
	v_div_scale_f64 v[14:15], s[12:13], v[22:23], v[22:23], v[6:7]
	v_rcp_f64_e32 v[16:17], v[14:15]
	v_div_scale_f64 v[30:31], vcc, v[6:7], v[22:23], v[6:7]
	v_fma_f64 v[2:3], -v[8:9], v[18:19], v[2:3]
	v_fma_f64 v[32:33], -v[14:15], v[16:17], 1.0
	v_fmac_f64_e32 v[16:17], v[16:17], v[32:33]
	v_fma_f64 v[32:33], -v[14:15], v[16:17], 1.0
	v_fmac_f64_e32 v[16:17], v[16:17], v[32:33]
	v_mul_f64 v[32:33], v[30:31], v[16:17]
	v_fma_f64 v[14:15], -v[14:15], v[32:33], v[30:31]
	v_div_fmas_f64 v[14:15], v[14:15], v[16:17], v[32:33]
	v_div_fixup_f64 v[6:7], v[14:15], v[22:23], v[6:7]
	v_fma_f64 v[2:3], -v[6:7], v[24:25], v[2:3]
	s_waitcnt lgkmcnt(0)
	v_div_scale_f64 v[14:15], s[12:13], v[26:27], v[26:27], v[2:3]
	v_rcp_f64_e32 v[16:17], v[14:15]
	v_fma_f64 v[4:5], -v[8:9], v[20:21], v[4:5]
	s_add_i32 s1, s1, 32
	v_fma_f64 v[18:19], -v[14:15], v[16:17], 1.0
	v_fmac_f64_e32 v[16:17], v[16:17], v[18:19]
	v_fma_f64 v[18:19], -v[14:15], v[16:17], 1.0
	v_fmac_f64_e32 v[16:17], v[16:17], v[18:19]
	v_div_scale_f64 v[18:19], vcc, v[2:3], v[26:27], v[2:3]
	v_mul_f64 v[22:23], v[18:19], v[16:17]
	v_fma_f64 v[14:15], -v[14:15], v[22:23], v[18:19]
	v_mov_b32_e32 v18, s11
	ds_read_b64 v[18:19], v18 offset:24
	v_div_fmas_f64 v[14:15], v[14:15], v[16:17], v[22:23]
	v_div_fixup_f64 v[2:3], v[14:15], v[26:27], v[2:3]
	ds_read_b64 v[14:15], v12 offset:600
	ds_write_b64 v13, v[8:9]
	ds_write_b64 v11, v[6:7]
	s_waitcnt lgkmcnt(3)
	v_fma_f64 v[4:5], -v[6:7], v[18:19], v[4:5]
	v_fma_f64 v[4:5], -v[2:3], v[28:29], v[4:5]
	s_add_i32 s11, s10, 4
	s_waitcnt lgkmcnt(2)
	v_div_scale_f64 v[16:17], s[12:13], v[14:15], v[14:15], v[4:5]
	v_rcp_f64_e32 v[18:19], v[16:17]
	s_add_i32 s10, s10, 7
	s_cmp_ge_i32 s10, s31
	v_fma_f64 v[6:7], -v[16:17], v[18:19], 1.0
	v_fmac_f64_e32 v[18:19], v[18:19], v[6:7]
	v_fma_f64 v[6:7], -v[16:17], v[18:19], 1.0
	v_fmac_f64_e32 v[18:19], v[18:19], v[6:7]
	v_div_scale_f64 v[6:7], vcc, v[4:5], v[14:15], v[4:5]
	v_mul_f64 v[8:9], v[6:7], v[18:19]
	v_fma_f64 v[6:7], -v[16:17], v[8:9], v[6:7]
	s_nop 1
	v_div_fmas_f64 v[6:7], v[6:7], v[18:19], v[8:9]
	v_div_fixup_f64 v[4:5], v[6:7], v[14:15], v[4:5]
	ds_write2_b64 v10, v[2:3], v[4:5] offset1:24
	s_cbranch_scc1 .LBB96_26
; %bb.25:                               ;   in Loop: Header=BB96_21 Depth=1
	s_mov_b32 s10, s11
	s_branch .LBB96_21
.LBB96_26:
	s_cmp_ge_i32 s11, s31
	s_cbranch_scc1 .LBB96_37
; %bb.27:
	v_mov_b32_e32 v1, 0x1200
	s_add_i32 s1, s11, -1
	s_lshl_b32 s10, s11, 3
	v_lshl_or_b32 v1, v0, 3, v1
	s_mov_b32 s12, 0
	s_mov_b32 s13, s11
	s_branch .LBB96_29
.LBB96_28:                              ;   in Loop: Header=BB96_29 Depth=1
	s_mul_i32 s16, s11, 0xc8
	v_mov_b32_e32 v5, s16
	ds_read_b64 v[6:7], v5
	v_add_u32_e32 v4, 0x1200, v4
	s_add_i32 s11, s11, 1
	s_add_i32 s12, s12, 1
	;; [unrolled: 1-line block ×3, first 2 shown]
	s_waitcnt lgkmcnt(0)
	v_div_scale_f64 v[8:9], s[16:17], v[6:7], v[6:7], v[2:3]
	v_rcp_f64_e32 v[10:11], v[8:9]
	v_div_scale_f64 v[12:13], vcc, v[2:3], v[6:7], v[2:3]
	s_cmp_ge_i32 s11, s31
	v_fma_f64 v[14:15], -v[8:9], v[10:11], 1.0
	v_fmac_f64_e32 v[10:11], v[10:11], v[14:15]
	v_fma_f64 v[14:15], -v[8:9], v[10:11], 1.0
	v_fmac_f64_e32 v[10:11], v[10:11], v[14:15]
	v_mul_f64 v[14:15], v[12:13], v[10:11]
	v_fma_f64 v[8:9], -v[8:9], v[14:15], v[12:13]
	v_div_fmas_f64 v[8:9], v[8:9], v[10:11], v[14:15]
	v_div_fixup_f64 v[2:3], v[8:9], v[6:7], v[2:3]
	ds_write_b64 v4, v[2:3]
	v_add_u16_e64 v2, s13, 1
	v_readfirstlane_b32 s13, v2
	s_cbranch_scc1 .LBB96_37
.LBB96_29:                              ; =>This Loop Header: Depth=1
                                        ;     Child Loop BB96_32 Depth 2
                                        ;     Child Loop BB96_36 Depth 2
	s_mul_i32 s16, s11, 24
	v_add_lshl_u32 v4, s16, v0, 3
	ds_read_b64 v[2:3], v4 offset:4608
	s_cmp_eq_u32 s11, 0
	s_cbranch_scc1 .LBB96_28
; %bb.30:                               ;   in Loop: Header=BB96_29 Depth=1
	s_add_i32 s16, s1, s12
	s_cmp_lt_u32 s16, 7
	s_cbranch_scc1 .LBB96_34
; %bb.31:                               ;   in Loop: Header=BB96_29 Depth=1
	s_and_b32 s16, s11, -8
	s_mov_b32 s17, 0
	v_mov_b32_e32 v5, v1
	s_mov_b32 s18, s10
.LBB96_32:                              ;   Parent Loop BB96_29 Depth=1
                                        ; =>  This Inner Loop Header: Depth=2
	ds_read2_b64 v[6:9], v5 offset1:24
	v_mov_b32_e32 v34, s18
	ds_read2_b64 v[10:13], v5 offset0:48 offset1:72
	ds_read2_b64 v[14:17], v5 offset0:96 offset1:120
	;; [unrolled: 1-line block ×3, first 2 shown]
	ds_read2_b64 v[22:25], v34 offset1:24
	ds_read2_b64 v[26:29], v34 offset0:48 offset1:72
	ds_read2_b64 v[30:33], v34 offset0:96 offset1:120
	;; [unrolled: 1-line block ×3, first 2 shown]
	s_add_i32 s17, s17, 8
	s_waitcnt lgkmcnt(3)
	v_fma_f64 v[2:3], -v[6:7], v[22:23], v[2:3]
	v_fma_f64 v[2:3], -v[8:9], v[24:25], v[2:3]
	s_waitcnt lgkmcnt(2)
	v_fma_f64 v[2:3], -v[10:11], v[26:27], v[2:3]
	v_fma_f64 v[2:3], -v[12:13], v[28:29], v[2:3]
	;; [unrolled: 3-line block ×3, first 2 shown]
	s_addk_i32 s18, 0x600
	s_waitcnt lgkmcnt(0)
	v_fma_f64 v[2:3], -v[18:19], v[34:35], v[2:3]
	v_add_u32_e32 v5, 0x600, v5
	s_cmp_eq_u32 s16, s17
	v_fma_f64 v[2:3], -v[20:21], v[36:37], v[2:3]
	s_cbranch_scc0 .LBB96_32
; %bb.33:                               ;   in Loop: Header=BB96_29 Depth=1
	s_and_b32 s17, s11, 7
	s_cmp_eq_u32 s17, 0
	s_cbranch_scc0 .LBB96_35
	s_branch .LBB96_28
.LBB96_34:                              ;   in Loop: Header=BB96_29 Depth=1
	s_mov_b32 s16, 0
	s_and_b32 s17, s11, 7
	s_cmp_eq_u32 s17, 0
	s_cbranch_scc1 .LBB96_28
.LBB96_35:                              ;   in Loop: Header=BB96_29 Depth=1
	s_and_b32 s17, s13, 7
	s_mulk_i32 s16, 0xc0
.LBB96_36:                              ;   Parent Loop BB96_29 Depth=1
                                        ; =>  This Inner Loop Header: Depth=2
	v_add_u32_e32 v5, s16, v1
	s_add_i32 s18, s10, s16
	ds_read_b64 v[6:7], v5
	v_mov_b32_e32 v5, s18
	ds_read_b64 v[8:9], v5
	s_addk_i32 s16, 0xc0
	s_add_i32 s17, s17, -1
	s_cmp_lg_u32 s17, 0
	s_waitcnt lgkmcnt(0)
	v_fma_f64 v[2:3], -v[6:7], v[8:9], v[2:3]
	s_cbranch_scc1 .LBB96_36
	s_branch .LBB96_28
.LBB96_37:
	s_mov_b64 s[10:11], 0
.LBB96_38:
	s_and_b64 vcc, exec, s[10:11]
	s_cbranch_vccz .LBB96_58
; %bb.39:
	s_andn2_b64 vcc, exec, s[8:9]
	s_mov_b32 s11, s33
	s_cbranch_vccnz .LBB96_45
; %bb.40:
	s_mul_i32 s1, s31, 0xc0
	v_lshl_add_u32 v1, v0, 3, s1
	s_mul_i32 s1, s31, 0xc8
	v_add_u32_e32 v1, 0xf00, v1
	s_addk_i32 s1, 0xfce0
	s_mov_b32 s10, s33
.LBB96_41:                              ; =>This Loop Header: Depth=1
                                        ;     Child Loop BB96_42 Depth 2
	s_mul_i32 s13, s10, 24
	s_sub_i32 s11, s13, 48
	v_add_lshl_u32 v12, s11, v0, 3
	v_add_lshl_u32 v10, s13, v0, 3
	s_sub_i32 s12, s13, 24
	v_add_u32_e32 v2, 0x1000, v12
	v_add_lshl_u32 v11, s12, v0, 3
	ds_read_b64 v[8:9], v10 offset:4608
	ds_read_b64 v[6:7], v11 offset:4608
	ds_read2_b64 v[2:5], v2 offset0:40 offset1:64
	s_cmp_le_i32 s33, s10
	s_mov_b32 s16, s1
	v_mov_b32_e32 v13, v1
	s_mov_b32 s17, s33
	s_cbranch_scc1 .LBB96_43
.LBB96_42:                              ;   Parent Loop BB96_41 Depth=1
                                        ; =>  This Inner Loop Header: Depth=2
	ds_read2_b64 v[14:17], v13 offset0:48 offset1:72
	v_mov_b32_e32 v50, s16
	ds_read2_b64 v[18:21], v13 offset1:24
	ds_read2_b64 v[22:25], v50 offset0:74 offset1:75
	ds_read2_b64 v[26:29], v50 offset0:72 offset1:73
	;; [unrolled: 1-line block ×7, first 2 shown]
	ds_read2_b64 v[50:53], v50 offset1:1
	s_add_i32 s17, s17, -4
	s_waitcnt lgkmcnt(7)
	v_fma_f64 v[8:9], -v[16:17], v[24:25], v[8:9]
	v_fma_f64 v[6:7], -v[16:17], v[22:23], v[6:7]
	s_waitcnt lgkmcnt(6)
	v_fma_f64 v[4:5], -v[16:17], v[28:29], v[4:5]
	v_fma_f64 v[2:3], -v[16:17], v[26:27], v[2:3]
	s_waitcnt lgkmcnt(5)
	v_fma_f64 v[8:9], -v[14:15], v[32:33], v[8:9]
	v_fma_f64 v[6:7], -v[14:15], v[30:31], v[6:7]
	s_waitcnt lgkmcnt(4)
	v_fma_f64 v[4:5], -v[14:15], v[36:37], v[4:5]
	v_fma_f64 v[2:3], -v[14:15], v[34:35], v[2:3]
	s_addk_i32 s16, 0xfd00
	s_waitcnt lgkmcnt(3)
	v_fma_f64 v[8:9], -v[20:21], v[40:41], v[8:9]
	v_fma_f64 v[6:7], -v[20:21], v[38:39], v[6:7]
	s_waitcnt lgkmcnt(2)
	v_fma_f64 v[4:5], -v[20:21], v[44:45], v[4:5]
	v_fma_f64 v[2:3], -v[20:21], v[42:43], v[2:3]
	v_add_u32_e32 v13, 0xfffffd00, v13
	s_cmp_le_i32 s17, s10
	s_waitcnt lgkmcnt(1)
	v_fma_f64 v[8:9], -v[18:19], v[48:49], v[8:9]
	v_fma_f64 v[6:7], -v[18:19], v[46:47], v[6:7]
	s_waitcnt lgkmcnt(0)
	v_fma_f64 v[4:5], -v[18:19], v[52:53], v[4:5]
	v_fma_f64 v[2:3], -v[18:19], v[50:51], v[2:3]
	s_cbranch_scc0 .LBB96_42
.LBB96_43:                              ;   in Loop: Header=BB96_41 Depth=1
	s_add_i32 s16, s10, s13
	s_lshl_b32 s16, s16, 3
	s_add_i32 s16, s16, -8
	v_add_u32_e32 v13, 0x1200, v10
	v_add_u32_e32 v14, 0x1200, v12
	;; [unrolled: 1-line block ×3, first 2 shown]
	v_mov_b32_e32 v12, s16
	ds_read2_b64 v[16:19], v12 offset1:1
	s_mul_i32 s18, s10, 0xc8
	s_add_i32 s16, s18, 0xffffff38
	v_mov_b32_e32 v12, s16
	ds_read_b64 v[20:21], v12
	s_waitcnt lgkmcnt(1)
	v_div_scale_f64 v[22:23], s[16:17], v[18:19], v[18:19], v[8:9]
	v_rcp_f64_e32 v[24:25], v[22:23]
	v_div_scale_f64 v[26:27], vcc, v[8:9], v[18:19], v[8:9]
	v_add_u32_e32 v11, 0x1200, v11
	v_fma_f64 v[28:29], -v[22:23], v[24:25], 1.0
	v_fmac_f64_e32 v[24:25], v[24:25], v[28:29]
	v_fma_f64 v[28:29], -v[22:23], v[24:25], 1.0
	v_fmac_f64_e32 v[24:25], v[24:25], v[28:29]
	v_mul_f64 v[28:29], v[26:27], v[24:25]
	v_fma_f64 v[22:23], -v[22:23], v[28:29], v[26:27]
	v_div_fmas_f64 v[22:23], v[22:23], v[24:25], v[28:29]
	v_div_fixup_f64 v[22:23], v[22:23], v[18:19], v[8:9]
	v_fma_f64 v[24:25], -v[22:23], v[16:17], v[6:7]
	s_waitcnt lgkmcnt(0)
	v_div_scale_f64 v[6:7], s[16:17], v[20:21], v[20:21], v[24:25]
	v_rcp_f64_e32 v[26:27], v[6:7]
	s_add_i32 s16, s10, -3
	s_add_i32 s13, s13, s16
	s_lshl_b32 s13, s13, 3
	v_fma_f64 v[8:9], -v[6:7], v[26:27], 1.0
	v_fmac_f64_e32 v[26:27], v[26:27], v[8:9]
	v_fma_f64 v[8:9], -v[6:7], v[26:27], 1.0
	v_fmac_f64_e32 v[26:27], v[26:27], v[8:9]
	v_div_scale_f64 v[8:9], vcc, v[24:25], v[20:21], v[24:25]
	v_mul_f64 v[28:29], v[8:9], v[26:27]
	s_add_i32 s12, s12, s16
	v_fma_f64 v[30:31], -v[6:7], v[28:29], v[8:9]
	v_mov_b32_e32 v6, s13
	s_lshl_b32 s12, s12, 3
	v_mov_b32_e32 v12, s12
	ds_read2_b64 v[6:9], v6 offset1:1
	ds_read2_b64 v[16:19], v12 offset1:1
	s_add_i32 s11, s11, s16
	v_div_fmas_f64 v[26:27], v[30:31], v[26:27], v[28:29]
	s_lshl_b32 s11, s11, 3
	v_div_fixup_f64 v[24:25], v[26:27], v[20:21], v[24:25]
	s_waitcnt lgkmcnt(1)
	v_fma_f64 v[4:5], -v[22:23], v[8:9], v[4:5]
	v_mov_b32_e32 v8, s11
	s_waitcnt lgkmcnt(0)
	v_fma_f64 v[4:5], -v[24:25], v[18:19], v[4:5]
	ds_read2_b64 v[18:21], v8 offset1:1
	s_add_i32 s11, s18, 0xfffffda8
	v_mov_b32_e32 v8, s11
	ds_read_b64 v[8:9], v8
	v_fma_f64 v[2:3], -v[22:23], v[6:7], v[2:3]
	s_waitcnt lgkmcnt(1)
	v_div_scale_f64 v[26:27], s[12:13], v[20:21], v[20:21], v[4:5]
	v_rcp_f64_e32 v[28:29], v[26:27]
	v_fma_f64 v[2:3], -v[24:25], v[16:17], v[2:3]
	s_add_i32 s11, s10, -4
	s_sub_i32 s1, s1, 32
	v_fma_f64 v[30:31], -v[26:27], v[28:29], 1.0
	v_fmac_f64_e32 v[28:29], v[28:29], v[30:31]
	v_fma_f64 v[30:31], -v[26:27], v[28:29], 1.0
	v_fmac_f64_e32 v[28:29], v[28:29], v[30:31]
	v_div_scale_f64 v[30:31], vcc, v[4:5], v[20:21], v[4:5]
	v_mul_f64 v[32:33], v[30:31], v[28:29]
	v_fma_f64 v[26:27], -v[26:27], v[32:33], v[30:31]
	s_cmp_lt_i32 s10, 7
	s_nop 0
	v_div_fmas_f64 v[26:27], v[26:27], v[28:29], v[32:33]
	v_div_fixup_f64 v[4:5], v[26:27], v[20:21], v[4:5]
	v_fma_f64 v[2:3], -v[4:5], v[18:19], v[2:3]
	s_waitcnt lgkmcnt(0)
	v_div_scale_f64 v[6:7], s[12:13], v[8:9], v[8:9], v[2:3]
	v_rcp_f64_e32 v[16:17], v[6:7]
	ds_write_b64 v13, v[22:23]
	ds_write_b64 v11, v[24:25]
	;; [unrolled: 1-line block ×3, first 2 shown]
	v_fma_f64 v[4:5], -v[6:7], v[16:17], 1.0
	v_fmac_f64_e32 v[16:17], v[16:17], v[4:5]
	v_fma_f64 v[4:5], -v[6:7], v[16:17], 1.0
	v_fmac_f64_e32 v[16:17], v[16:17], v[4:5]
	v_div_scale_f64 v[4:5], vcc, v[2:3], v[8:9], v[2:3]
	v_mul_f64 v[12:13], v[4:5], v[16:17]
	v_fma_f64 v[4:5], -v[6:7], v[12:13], v[4:5]
	s_nop 1
	v_div_fmas_f64 v[4:5], v[4:5], v[16:17], v[12:13]
	v_div_fixup_f64 v[2:3], v[4:5], v[8:9], v[2:3]
	ds_write_b64 v10, v[2:3]
	s_cbranch_scc1 .LBB96_45
; %bb.44:                               ;   in Loop: Header=BB96_41 Depth=1
	s_mov_b32 s10, s11
	s_branch .LBB96_41
.LBB96_45:
	s_cmp_lt_i32 s11, 0
	s_cbranch_scc1 .LBB96_58
; %bb.46:
	s_bitcmp1_b32 s11, 0
	s_cselect_b64 s[12:13], -1, 0
	s_and_b64 vcc, exec, s[12:13]
	s_mov_b32 s1, s11
	s_cbranch_vccnz .LBB96_51
; %bb.47:
	s_mul_i32 s1, s11, 24
	v_add_lshl_u32 v1, s1, v0, 3
	ds_read_b64 v[2:3], v1 offset:4608
	s_cmp_le_i32 s33, s11
	s_cbranch_scc1 .LBB96_50
; %bb.48:
	s_mul_i32 s10, s31, 0xc0
	s_lshl_b32 s1, s11, 3
	s_add_i32 s1, s10, s1
	v_lshl_add_u32 v4, v0, 3, s10
	s_addk_i32 s1, 0xff40
	v_add_u32_e32 v4, 0x1140, v4
	s_mov_b32 s10, s33
.LBB96_49:                              ; =>This Inner Loop Header: Depth=1
	v_mov_b32_e32 v5, s1
	ds_read_b64 v[6:7], v4
	ds_read_b64 v[8:9], v5
	s_add_i32 s10, s10, -1
	s_addk_i32 s1, 0xff40
	v_add_u32_e32 v4, 0xffffff40, v4
	s_cmp_gt_i32 s10, s11
	s_waitcnt lgkmcnt(0)
	v_fma_f64 v[2:3], -v[6:7], v[8:9], v[2:3]
	s_cbranch_scc1 .LBB96_49
.LBB96_50:
	s_mul_i32 s1, s11, 0xc8
	v_mov_b32_e32 v4, s1
	ds_read_b64 v[4:5], v4
	v_add_u32_e32 v1, 0x1200, v1
	s_add_i32 s1, s11, -1
	s_waitcnt lgkmcnt(0)
	v_div_scale_f64 v[6:7], s[12:13], v[4:5], v[4:5], v[2:3]
	v_rcp_f64_e32 v[8:9], v[6:7]
	v_div_scale_f64 v[10:11], vcc, v[2:3], v[4:5], v[2:3]
	v_fma_f64 v[12:13], -v[6:7], v[8:9], 1.0
	v_fmac_f64_e32 v[8:9], v[8:9], v[12:13]
	v_fma_f64 v[12:13], -v[6:7], v[8:9], 1.0
	v_fmac_f64_e32 v[8:9], v[8:9], v[12:13]
	v_mul_f64 v[12:13], v[10:11], v[8:9]
	v_fma_f64 v[6:7], -v[6:7], v[12:13], v[10:11]
	v_div_fmas_f64 v[6:7], v[6:7], v[8:9], v[12:13]
	v_div_fixup_f64 v[2:3], v[6:7], v[4:5], v[2:3]
	ds_write_b64 v1, v[2:3]
.LBB96_51:
	s_cmp_eq_u32 s11, 0
	s_cbranch_scc1 .LBB96_58
; %bb.52:
	s_mul_i32 s11, s31, 0xc0
	s_lshl_b32 s10, s1, 3
	s_add_i32 s12, s11, s10
	v_lshl_add_u32 v1, v0, 3, s11
	s_add_i32 s10, s12, 0xffffff40
	v_add_u32_e32 v1, 0x1140, v1
	s_add_i32 s11, s12, 0xffffff38
	s_branch .LBB96_54
.LBB96_53:                              ;   in Loop: Header=BB96_54 Depth=1
	s_addk_i32 s12, 0xff38
	v_mov_b32_e32 v4, s12
	ds_read_b64 v[4:5], v4
	s_add_i32 s16, s1, -2
	s_add_i32 s10, s10, -16
	;; [unrolled: 1-line block ×3, first 2 shown]
	s_cmp_lt_i32 s1, 2
	s_waitcnt lgkmcnt(0)
	v_div_scale_f64 v[8:9], s[12:13], v[4:5], v[4:5], v[2:3]
	v_rcp_f64_e32 v[10:11], v[8:9]
	v_div_scale_f64 v[12:13], vcc, v[2:3], v[4:5], v[2:3]
	s_mov_b32 s1, s16
	v_fma_f64 v[14:15], -v[8:9], v[10:11], 1.0
	v_fmac_f64_e32 v[10:11], v[10:11], v[14:15]
	v_fma_f64 v[14:15], -v[8:9], v[10:11], 1.0
	v_fmac_f64_e32 v[10:11], v[10:11], v[14:15]
	v_mul_f64 v[14:15], v[12:13], v[10:11]
	v_fma_f64 v[8:9], -v[8:9], v[14:15], v[12:13]
	v_div_fmas_f64 v[8:9], v[8:9], v[10:11], v[14:15]
	v_div_fixup_f64 v[2:3], v[8:9], v[4:5], v[2:3]
	ds_write_b64 v6, v[2:3]
	s_cbranch_scc1 .LBB96_58
.LBB96_54:                              ; =>This Loop Header: Depth=1
                                        ;     Child Loop BB96_55 Depth 2
                                        ;     Child Loop BB96_57 Depth 2
	s_mul_i32 s12, s1, 24
	v_add_lshl_u32 v2, s12, v0, 3
	ds_read_b64 v[4:5], v2 offset:4608
	s_cmp_le_i32 s33, s1
	v_mov_b32_e32 v3, v1
	s_mov_b32 s12, s10
	s_mov_b32 s13, s33
	s_cbranch_scc1 .LBB96_56
.LBB96_55:                              ;   Parent Loop BB96_54 Depth=1
                                        ; =>  This Inner Loop Header: Depth=2
	v_mov_b32_e32 v8, s12
	ds_read_b64 v[6:7], v3
	ds_read_b64 v[8:9], v8
	s_add_i32 s13, s13, -1
	s_addk_i32 s12, 0xff40
	v_add_u32_e32 v3, 0xffffff40, v3
	s_cmp_le_i32 s13, s1
	s_waitcnt lgkmcnt(0)
	v_fma_f64 v[4:5], -v[6:7], v[8:9], v[4:5]
	s_cbranch_scc0 .LBB96_55
.LBB96_56:                              ;   in Loop: Header=BB96_54 Depth=1
	s_mul_i32 s12, s1, 0xc8
	v_add_u32_e32 v7, 0x1200, v2
	v_mov_b32_e32 v2, s12
	ds_read_b64 v[8:9], v2
	v_add_u32_e32 v6, 0xffffff40, v7
	ds_read_b64 v[2:3], v6
	s_cmp_lt_i32 s33, s1
	s_mov_b32 s13, s11
	s_waitcnt lgkmcnt(1)
	v_div_scale_f64 v[10:11], s[16:17], v[8:9], v[8:9], v[4:5]
	v_rcp_f64_e32 v[12:13], v[10:11]
	v_div_scale_f64 v[14:15], vcc, v[4:5], v[8:9], v[4:5]
	s_mov_b32 s16, s31
	v_fma_f64 v[16:17], -v[10:11], v[12:13], 1.0
	v_fmac_f64_e32 v[12:13], v[12:13], v[16:17]
	v_fma_f64 v[16:17], -v[10:11], v[12:13], 1.0
	v_fmac_f64_e32 v[12:13], v[12:13], v[16:17]
	v_mul_f64 v[16:17], v[14:15], v[12:13]
	v_fma_f64 v[10:11], -v[10:11], v[16:17], v[14:15]
	v_div_fmas_f64 v[10:11], v[10:11], v[12:13], v[16:17]
	v_div_fixup_f64 v[4:5], v[10:11], v[8:9], v[4:5]
	ds_write_b64 v7, v[4:5]
	v_mov_b32_e32 v4, v1
	s_cbranch_scc1 .LBB96_53
.LBB96_57:                              ;   Parent Loop BB96_54 Depth=1
                                        ; =>  This Inner Loop Header: Depth=2
	v_mov_b32_e32 v5, s13
	ds_read_b64 v[8:9], v4
	ds_read_b64 v[10:11], v5
	s_add_i32 s16, s16, -1
	s_addk_i32 s13, 0xff40
	v_add_u32_e32 v4, 0xffffff40, v4
	s_cmp_gt_i32 s16, s1
	s_waitcnt lgkmcnt(0)
	v_fma_f64 v[2:3], -v[8:9], v[10:11], v[2:3]
	s_cbranch_scc1 .LBB96_57
	s_branch .LBB96_53
.LBB96_58:
	s_mov_b64 s[16:17], 0
.LBB96_59:
	s_andn2_b64 vcc, exec, s[16:17]
	s_cbranch_vccnz .LBB96_79
; %bb.60:
	s_andn2_b64 vcc, exec, s[8:9]
	s_mov_b32 s9, s33
	s_cbranch_vccnz .LBB96_66
; %bb.61:
	s_mul_i32 s8, s31, 0xc0
	s_mul_i32 s1, s31, 0xc8
	v_lshl_add_u32 v1, v0, 3, s8
	s_addk_i32 s1, 0xfce0
	v_add_u32_e32 v1, 0xf00, v1
	s_mov_b32 s8, s33
.LBB96_62:                              ; =>This Loop Header: Depth=1
                                        ;     Child Loop BB96_63 Depth 2
	s_mul_i32 s9, s8, 24
	s_sub_i32 s10, s9, 24
	v_add_lshl_u32 v10, s9, v0, 3
	v_add_lshl_u32 v11, s10, v0, 3
	s_sub_i32 s10, s9, 48
	s_addk_i32 s9, 0xffb8
	v_add_lshl_u32 v12, s10, v0, 3
	v_add_lshl_u32 v13, s9, v0, 3
	ds_read_b64 v[8:9], v10 offset:4608
	ds_read_b64 v[6:7], v11 offset:4608
	;; [unrolled: 1-line block ×4, first 2 shown]
	s_cmp_le_i32 s33, s8
	v_mov_b32_e32 v14, v1
	s_mov_b32 s11, s1
	s_mov_b32 s12, s33
	s_cbranch_scc1 .LBB96_64
.LBB96_63:                              ;   Parent Loop BB96_62 Depth=1
                                        ; =>  This Inner Loop Header: Depth=2
	ds_read2_b64 v[16:19], v14 offset0:48 offset1:72
	v_mov_b32_e32 v15, s11
	ds_read2_b64 v[20:23], v14 offset1:24
	ds_read2_b64 v[24:27], v15 offset0:74 offset1:75
	ds_read2_b64 v[28:31], v15 offset0:72 offset1:73
	;; [unrolled: 1-line block ×7, first 2 shown]
	ds_read2_b64 v[52:55], v15 offset1:1
	s_add_i32 s12, s12, -4
	s_waitcnt lgkmcnt(7)
	v_fma_f64 v[8:9], -v[18:19], v[26:27], v[8:9]
	s_waitcnt lgkmcnt(5)
	v_fma_f64 v[6:7], -v[18:19], v[34:35], v[6:7]
	;; [unrolled: 2-line block ×4, first 2 shown]
	v_fma_f64 v[8:9], -v[16:17], v[24:25], v[8:9]
	v_fma_f64 v[6:7], -v[16:17], v[32:33], v[6:7]
	v_fma_f64 v[4:5], -v[16:17], v[40:41], v[4:5]
	v_fma_f64 v[2:3], -v[16:17], v[48:49], v[2:3]
	s_sub_i32 s11, s11, 32
	v_fma_f64 v[8:9], -v[22:23], v[30:31], v[8:9]
	v_fma_f64 v[6:7], -v[22:23], v[38:39], v[6:7]
	;; [unrolled: 1-line block ×3, first 2 shown]
	s_waitcnt lgkmcnt(0)
	v_fma_f64 v[2:3], -v[22:23], v[54:55], v[2:3]
	v_add_u32_e32 v14, 0xfffffd00, v14
	s_cmp_le_i32 s12, s8
	v_fma_f64 v[8:9], -v[20:21], v[28:29], v[8:9]
	v_fma_f64 v[6:7], -v[20:21], v[36:37], v[6:7]
	;; [unrolled: 1-line block ×4, first 2 shown]
	s_cbranch_scc0 .LBB96_63
.LBB96_64:                              ;   in Loop: Header=BB96_62 Depth=1
	s_mul_i32 s16, s8, 0xc8
	v_add_u32_e32 v14, 0x1200, v10
	v_add_u32_e32 v10, 0x1200, v13
	v_mov_b32_e32 v13, s16
	ds_read_b64 v[20:21], v13
	s_add_i32 s11, s16, 0xffffff38
	v_mov_b32_e32 v13, s11
	ds_read2_b64 v[16:19], v13 offset1:1
	s_add_i32 s10, s10, s8
	s_waitcnt lgkmcnt(1)
	v_div_scale_f64 v[22:23], s[12:13], v[20:21], v[20:21], v[8:9]
	v_rcp_f64_e32 v[24:25], v[22:23]
	v_div_scale_f64 v[26:27], vcc, v[8:9], v[20:21], v[8:9]
	s_lshl_b32 s10, s10, 3
	v_fma_f64 v[28:29], -v[22:23], v[24:25], 1.0
	v_fmac_f64_e32 v[24:25], v[24:25], v[28:29]
	v_fma_f64 v[28:29], -v[22:23], v[24:25], 1.0
	v_fmac_f64_e32 v[24:25], v[24:25], v[28:29]
	v_mul_f64 v[28:29], v[26:27], v[24:25]
	v_fma_f64 v[22:23], -v[22:23], v[28:29], v[26:27]
	v_div_fmas_f64 v[22:23], v[22:23], v[24:25], v[28:29]
	v_div_fixup_f64 v[24:25], v[22:23], v[20:21], v[8:9]
	s_waitcnt lgkmcnt(0)
	v_fma_f64 v[18:19], -v[24:25], v[18:19], v[6:7]
	v_div_scale_f64 v[6:7], s[12:13], v[16:17], v[16:17], v[18:19]
	v_rcp_f64_e32 v[20:21], v[6:7]
	v_div_scale_f64 v[8:9], vcc, v[18:19], v[16:17], v[18:19]
	s_add_i32 s9, s8, s9
	v_fma_f64 v[22:23], -v[6:7], v[20:21], 1.0
	v_fmac_f64_e32 v[20:21], v[20:21], v[22:23]
	v_fma_f64 v[22:23], -v[6:7], v[20:21], 1.0
	v_fmac_f64_e32 v[20:21], v[20:21], v[22:23]
	v_mul_f64 v[22:23], v[8:9], v[20:21]
	v_fma_f64 v[26:27], -v[6:7], v[22:23], v[8:9]
	v_mov_b32_e32 v6, s10
	s_add_i32 s10, s16, 0xfffffe70
	v_mov_b32_e32 v7, s10
	ds_read_b64 v[28:29], v6
	ds_read2_b64 v[6:9], v7 offset1:1
	v_div_fmas_f64 v[20:21], v[26:27], v[20:21], v[22:23]
	v_div_fixup_f64 v[26:27], v[20:21], v[16:17], v[18:19]
	s_lshl_b32 s9, s9, 3
	s_waitcnt lgkmcnt(1)
	v_fma_f64 v[4:5], -v[24:25], v[28:29], v[4:5]
	s_waitcnt lgkmcnt(0)
	v_fma_f64 v[4:5], -v[26:27], v[8:9], v[4:5]
	v_div_scale_f64 v[8:9], s[10:11], v[6:7], v[6:7], v[4:5]
	v_rcp_f64_e32 v[28:29], v[8:9]
	s_add_i32 s9, s9, -8
	v_mov_b32_e32 v13, s9
	s_add_i32 s9, s16, 0xfffffda8
	v_fma_f64 v[16:17], -v[8:9], v[28:29], 1.0
	v_fmac_f64_e32 v[28:29], v[28:29], v[16:17]
	v_fma_f64 v[16:17], -v[8:9], v[28:29], 1.0
	v_fmac_f64_e32 v[28:29], v[28:29], v[16:17]
	v_div_scale_f64 v[16:17], vcc, v[4:5], v[6:7], v[4:5]
	v_mul_f64 v[30:31], v[16:17], v[28:29]
	v_fma_f64 v[8:9], -v[8:9], v[30:31], v[16:17]
	v_mov_b32_e32 v15, s9
	ds_read2_b64 v[16:19], v13 offset1:1
	ds_read2_b64 v[20:23], v15 offset1:1
	v_div_fmas_f64 v[8:9], v[8:9], v[28:29], v[30:31]
	v_div_fixup_f64 v[4:5], v[8:9], v[6:7], v[4:5]
	v_add_u32_e32 v11, 0x1200, v11
	s_waitcnt lgkmcnt(1)
	v_fma_f64 v[2:3], -v[24:25], v[18:19], v[2:3]
	v_fma_f64 v[2:3], -v[26:27], v[16:17], v[2:3]
	s_waitcnt lgkmcnt(0)
	v_fma_f64 v[2:3], -v[4:5], v[22:23], v[2:3]
	v_div_scale_f64 v[6:7], s[10:11], v[20:21], v[20:21], v[2:3]
	v_rcp_f64_e32 v[8:9], v[6:7]
	v_add_u32_e32 v12, 0x1200, v12
	ds_write_b64 v14, v[24:25]
	ds_write_b64 v11, v[26:27]
	;; [unrolled: 1-line block ×3, first 2 shown]
	s_add_i32 s9, s8, -4
	v_fma_f64 v[4:5], -v[6:7], v[8:9], 1.0
	v_fmac_f64_e32 v[8:9], v[8:9], v[4:5]
	v_fma_f64 v[4:5], -v[6:7], v[8:9], 1.0
	v_fmac_f64_e32 v[8:9], v[8:9], v[4:5]
	v_div_scale_f64 v[4:5], vcc, v[2:3], v[20:21], v[2:3]
	v_mul_f64 v[12:13], v[4:5], v[8:9]
	v_fma_f64 v[4:5], -v[6:7], v[12:13], v[4:5]
	s_addk_i32 s1, 0xfd00
	s_nop 0
	v_div_fmas_f64 v[4:5], v[4:5], v[8:9], v[12:13]
	v_div_fixup_f64 v[2:3], v[4:5], v[20:21], v[2:3]
	s_cmp_lt_i32 s8, 7
	ds_write_b64 v10, v[2:3]
	s_cbranch_scc1 .LBB96_66
; %bb.65:                               ;   in Loop: Header=BB96_62 Depth=1
	s_mov_b32 s8, s9
	s_branch .LBB96_62
.LBB96_66:
	s_cmp_lt_i32 s9, 0
	s_cbranch_scc1 .LBB96_79
; %bb.67:
	s_bitcmp1_b32 s9, 0
	s_cselect_b64 s[10:11], -1, 0
	s_and_b64 vcc, exec, s[10:11]
	s_mov_b32 s1, s9
	s_cbranch_vccnz .LBB96_72
; %bb.68:
	s_mul_i32 s1, s9, 24
	v_add_lshl_u32 v1, s1, v0, 3
	ds_read_b64 v[2:3], v1 offset:4608
	s_cmp_le_i32 s33, s9
	s_cbranch_scc1 .LBB96_71
; %bb.69:
	s_mul_i32 s1, s9, 0xc0
	s_lshl_b32 s8, s31, 3
	s_add_i32 s1, s1, s8
	s_mul_i32 s8, s31, 0xc0
	v_lshl_add_u32 v4, v0, 3, s8
	s_add_i32 s1, s1, -8
	v_add_u32_e32 v4, 0x1140, v4
	s_mov_b32 s8, s33
.LBB96_70:                              ; =>This Inner Loop Header: Depth=1
	v_mov_b32_e32 v5, s1
	ds_read_b64 v[6:7], v4
	ds_read_b64 v[8:9], v5
	s_add_i32 s8, s8, -1
	s_add_i32 s1, s1, -8
	v_add_u32_e32 v4, 0xffffff40, v4
	s_cmp_gt_i32 s8, s9
	s_waitcnt lgkmcnt(0)
	v_fma_f64 v[2:3], -v[6:7], v[8:9], v[2:3]
	s_cbranch_scc1 .LBB96_70
.LBB96_71:
	s_mul_i32 s1, s9, 0xc8
	v_mov_b32_e32 v4, s1
	ds_read_b64 v[4:5], v4
	v_add_u32_e32 v1, 0x1200, v1
	s_add_i32 s1, s9, -1
	s_waitcnt lgkmcnt(0)
	v_div_scale_f64 v[6:7], s[10:11], v[4:5], v[4:5], v[2:3]
	v_rcp_f64_e32 v[8:9], v[6:7]
	v_div_scale_f64 v[10:11], vcc, v[2:3], v[4:5], v[2:3]
	v_fma_f64 v[12:13], -v[6:7], v[8:9], 1.0
	v_fmac_f64_e32 v[8:9], v[8:9], v[12:13]
	v_fma_f64 v[12:13], -v[6:7], v[8:9], 1.0
	v_fmac_f64_e32 v[8:9], v[8:9], v[12:13]
	v_mul_f64 v[12:13], v[10:11], v[8:9]
	v_fma_f64 v[6:7], -v[6:7], v[12:13], v[10:11]
	v_div_fmas_f64 v[6:7], v[6:7], v[8:9], v[12:13]
	v_div_fixup_f64 v[2:3], v[6:7], v[4:5], v[2:3]
	ds_write_b64 v1, v[2:3]
.LBB96_72:
	s_cmp_eq_u32 s9, 0
	s_cbranch_scc1 .LBB96_79
; %bb.73:
	s_mul_i32 s8, s1, 0xc0
	s_lshl_b32 s9, s31, 3
	s_mul_i32 s10, s31, 0xc0
	s_add_i32 s9, s8, s9
	v_lshl_add_u32 v1, v0, 3, s10
	s_add_i32 s8, s9, -8
	v_add_u32_e32 v1, 0x1140, v1
	s_addk_i32 s9, 0xff38
	s_branch .LBB96_75
.LBB96_74:                              ;   in Loop: Header=BB96_75 Depth=1
	s_addk_i32 s10, 0xff38
	v_mov_b32_e32 v5, s10
	v_add_u32_e32 v4, 0x1200, v6
	ds_read_b64 v[6:7], v5
	s_add_i32 s12, s1, -2
	s_addk_i32 s8, 0xfe80
	s_addk_i32 s9, 0xfe80
	s_cmp_lt_i32 s1, 2
	s_waitcnt lgkmcnt(0)
	v_div_scale_f64 v[8:9], s[10:11], v[6:7], v[6:7], v[2:3]
	v_rcp_f64_e32 v[10:11], v[8:9]
	v_div_scale_f64 v[12:13], vcc, v[2:3], v[6:7], v[2:3]
	s_mov_b32 s1, s12
	v_fma_f64 v[14:15], -v[8:9], v[10:11], 1.0
	v_fmac_f64_e32 v[10:11], v[10:11], v[14:15]
	v_fma_f64 v[14:15], -v[8:9], v[10:11], 1.0
	v_fmac_f64_e32 v[10:11], v[10:11], v[14:15]
	v_mul_f64 v[14:15], v[12:13], v[10:11]
	v_fma_f64 v[8:9], -v[8:9], v[14:15], v[12:13]
	v_div_fmas_f64 v[8:9], v[8:9], v[10:11], v[14:15]
	v_div_fixup_f64 v[2:3], v[8:9], v[6:7], v[2:3]
	ds_write_b64 v4, v[2:3]
	s_cbranch_scc1 .LBB96_79
.LBB96_75:                              ; =>This Loop Header: Depth=1
                                        ;     Child Loop BB96_76 Depth 2
                                        ;     Child Loop BB96_78 Depth 2
	s_mul_i32 s11, s1, 24
	v_add_lshl_u32 v2, s11, v0, 3
	ds_read_b64 v[4:5], v2 offset:4608
	s_cmp_le_i32 s33, s1
	v_mov_b32_e32 v3, v1
	s_mov_b32 s10, s8
	s_mov_b32 s12, s33
	s_cbranch_scc1 .LBB96_77
.LBB96_76:                              ;   Parent Loop BB96_75 Depth=1
                                        ; =>  This Inner Loop Header: Depth=2
	v_mov_b32_e32 v8, s10
	ds_read_b64 v[6:7], v3
	ds_read_b64 v[8:9], v8
	s_add_i32 s12, s12, -1
	s_add_i32 s10, s10, -8
	v_add_u32_e32 v3, 0xffffff40, v3
	s_cmp_le_i32 s12, s1
	s_waitcnt lgkmcnt(0)
	v_fma_f64 v[4:5], -v[6:7], v[8:9], v[4:5]
	s_cbranch_scc0 .LBB96_76
.LBB96_77:                              ;   in Loop: Header=BB96_75 Depth=1
	s_mul_i32 s10, s1, 0xc8
	v_add_u32_e32 v7, 0x1200, v2
	v_mov_b32_e32 v2, s10
	ds_read_b64 v[8:9], v2
	s_sub_i32 s11, s11, 24
	v_add_lshl_u32 v6, s11, v0, 3
	ds_read_b64 v[2:3], v6 offset:4608
	s_cmp_lt_i32 s33, s1
	s_waitcnt lgkmcnt(1)
	v_div_scale_f64 v[10:11], s[12:13], v[8:9], v[8:9], v[4:5]
	v_rcp_f64_e32 v[12:13], v[10:11]
	v_div_scale_f64 v[14:15], vcc, v[4:5], v[8:9], v[4:5]
	s_mov_b32 s11, s9
	v_fma_f64 v[16:17], -v[10:11], v[12:13], 1.0
	v_fmac_f64_e32 v[12:13], v[12:13], v[16:17]
	v_fma_f64 v[16:17], -v[10:11], v[12:13], 1.0
	v_fmac_f64_e32 v[12:13], v[12:13], v[16:17]
	v_mul_f64 v[16:17], v[14:15], v[12:13]
	v_fma_f64 v[10:11], -v[10:11], v[16:17], v[14:15]
	v_div_fmas_f64 v[10:11], v[10:11], v[12:13], v[16:17]
	v_div_fixup_f64 v[4:5], v[10:11], v[8:9], v[4:5]
	ds_write_b64 v7, v[4:5]
	v_mov_b32_e32 v4, v1
	s_mov_b32 s12, s31
	s_cbranch_scc1 .LBB96_74
.LBB96_78:                              ;   Parent Loop BB96_75 Depth=1
                                        ; =>  This Inner Loop Header: Depth=2
	v_mov_b32_e32 v5, s11
	ds_read_b64 v[8:9], v4
	ds_read_b64 v[10:11], v5
	s_add_i32 s12, s12, -1
	s_add_i32 s11, s11, -8
	v_add_u32_e32 v4, 0xffffff40, v4
	s_cmp_gt_i32 s12, s1
	s_waitcnt lgkmcnt(0)
	v_fma_f64 v[2:3], -v[8:9], v[10:11], v[2:3]
	s_cbranch_scc1 .LBB96_78
	s_branch .LBB96_74
.LBB96_79:
	s_mov_b64 s[16:17], 0
.LBB96_80:
	s_andn2_b64 vcc, exec, s[16:17]
	s_cbranch_vccnz .LBB96_99
; %bb.81:
	s_cmp_lt_i32 s30, 4
	s_mov_b32 s9, 0
	s_cbranch_scc1 .LBB96_88
; %bb.82:
	v_mov_b32_e32 v1, 0x1200
	v_lshl_or_b32 v1, v0, 3, v1
	s_mov_b32 s1, 0
	s_mov_b32 s8, 0
.LBB96_83:                              ; =>This Loop Header: Depth=1
                                        ;     Child Loop BB96_85 Depth 2
	s_mul_i32 s9, s8, 24
	v_add_lshl_u32 v10, s9, v0, 3
	s_add_i32 s11, s9, 24
	s_add_i32 s10, s9, 48
	s_addk_i32 s9, 0x48
	v_add_lshl_u32 v11, s11, v0, 3
	v_add_lshl_u32 v12, s10, v0, 3
	v_add_lshl_u32 v13, s9, v0, 3
	ds_read_b64 v[8:9], v10 offset:4608
	ds_read_b64 v[6:7], v11 offset:4608
	;; [unrolled: 1-line block ×4, first 2 shown]
	s_cmp_eq_u32 s8, 0
	s_cbranch_scc1 .LBB96_86
; %bb.84:                               ;   in Loop: Header=BB96_83 Depth=1
	s_mov_b32 s12, 0
	v_mov_b32_e32 v14, v1
	s_mov_b32 s13, s1
.LBB96_85:                              ;   Parent Loop BB96_83 Depth=1
                                        ; =>  This Inner Loop Header: Depth=2
	ds_read2_b64 v[16:19], v14 offset1:24
	v_mov_b32_e32 v15, s13
	ds_read2_b64 v[20:23], v14 offset0:48 offset1:72
	ds_read_b128 v[24:27], v15
	ds_read_b128 v[28:31], v15 offset:16
	ds_read_b128 v[32:35], v15 offset:192
	;; [unrolled: 1-line block ×7, first 2 shown]
	s_add_i32 s12, s12, 4
	s_waitcnt lgkmcnt(7)
	v_fma_f64 v[8:9], -v[16:17], v[24:25], v[8:9]
	s_waitcnt lgkmcnt(5)
	v_fma_f64 v[6:7], -v[16:17], v[32:33], v[6:7]
	;; [unrolled: 2-line block ×4, first 2 shown]
	v_fma_f64 v[8:9], -v[18:19], v[26:27], v[8:9]
	v_fma_f64 v[6:7], -v[18:19], v[34:35], v[6:7]
	;; [unrolled: 1-line block ×4, first 2 shown]
	s_add_i32 s13, s13, 32
	v_fma_f64 v[8:9], -v[20:21], v[28:29], v[8:9]
	v_fma_f64 v[6:7], -v[20:21], v[36:37], v[6:7]
	;; [unrolled: 1-line block ×3, first 2 shown]
	s_waitcnt lgkmcnt(0)
	v_fma_f64 v[2:3], -v[20:21], v[52:53], v[2:3]
	v_add_u32_e32 v14, 0x300, v14
	s_cmp_ge_u32 s12, s8
	v_fma_f64 v[8:9], -v[22:23], v[30:31], v[8:9]
	v_fma_f64 v[6:7], -v[22:23], v[38:39], v[6:7]
	;; [unrolled: 1-line block ×4, first 2 shown]
	s_cbranch_scc0 .LBB96_85
.LBB96_86:                              ;   in Loop: Header=BB96_83 Depth=1
	s_mul_i32 s12, s8, 0xc8
	v_add_u32_e32 v14, 0x1200, v10
	v_add_u32_e32 v10, 0x1200, v13
	v_mov_b32_e32 v13, s12
	ds_read2_b64 v[16:19], v13 offset1:50
	s_add_i32 s11, s11, s8
	s_lshl_b32 s11, s11, 3
	v_mov_b32_e32 v13, s11
	s_add_i32 s10, s10, s8
	s_waitcnt lgkmcnt(0)
	v_div_scale_f64 v[20:21], s[12:13], v[16:17], v[16:17], v[8:9]
	v_rcp_f64_e32 v[22:23], v[20:21]
	v_div_scale_f64 v[24:25], vcc, v[8:9], v[16:17], v[8:9]
	s_lshl_b32 s10, s10, 3
	v_fma_f64 v[26:27], -v[20:21], v[22:23], 1.0
	v_fmac_f64_e32 v[22:23], v[22:23], v[26:27]
	v_fma_f64 v[26:27], -v[20:21], v[22:23], 1.0
	v_fmac_f64_e32 v[22:23], v[22:23], v[26:27]
	v_mul_f64 v[26:27], v[24:25], v[22:23]
	v_fma_f64 v[20:21], -v[20:21], v[26:27], v[24:25]
	v_div_fmas_f64 v[20:21], v[20:21], v[22:23], v[26:27]
	v_div_fixup_f64 v[8:9], v[20:21], v[16:17], v[8:9]
	ds_read_b128 v[20:23], v13
	v_mov_b32_e32 v13, s10
	ds_read_b128 v[24:27], v13
	s_add_i32 s9, s9, s8
	s_lshl_b32 s9, s9, 3
	s_waitcnt lgkmcnt(1)
	v_fma_f64 v[6:7], -v[8:9], v[20:21], v[6:7]
	v_div_scale_f64 v[16:17], s[10:11], v[22:23], v[22:23], v[6:7]
	v_rcp_f64_e32 v[20:21], v[16:17]
	s_waitcnt lgkmcnt(0)
	v_fma_f64 v[4:5], -v[8:9], v[24:25], v[4:5]
	v_mov_b32_e32 v13, s9
	v_add_u32_e32 v11, 0x1200, v11
	v_fma_f64 v[28:29], -v[16:17], v[20:21], 1.0
	v_fmac_f64_e32 v[20:21], v[20:21], v[28:29]
	v_fma_f64 v[28:29], -v[16:17], v[20:21], 1.0
	v_fmac_f64_e32 v[20:21], v[20:21], v[28:29]
	v_div_scale_f64 v[28:29], vcc, v[6:7], v[22:23], v[6:7]
	v_mul_f64 v[30:31], v[28:29], v[20:21]
	v_fma_f64 v[16:17], -v[16:17], v[30:31], v[28:29]
	v_add_u32_e32 v12, 0x1200, v12
	s_nop 0
	v_div_fmas_f64 v[16:17], v[16:17], v[20:21], v[30:31]
	v_div_fixup_f64 v[16:17], v[16:17], v[22:23], v[6:7]
	v_fma_f64 v[24:25], -v[16:17], v[26:27], v[4:5]
	v_div_scale_f64 v[4:5], s[10:11], v[18:19], v[18:19], v[24:25]
	v_rcp_f64_e32 v[26:27], v[4:5]
	s_add_i32 s9, s8, 4
	s_add_i32 s8, s8, 7
	s_addk_i32 s1, 0x300
	v_fma_f64 v[6:7], -v[4:5], v[26:27], 1.0
	v_fmac_f64_e32 v[26:27], v[26:27], v[6:7]
	v_fma_f64 v[6:7], -v[4:5], v[26:27], 1.0
	v_fmac_f64_e32 v[26:27], v[26:27], v[6:7]
	v_div_scale_f64 v[6:7], vcc, v[24:25], v[18:19], v[24:25]
	v_mul_f64 v[28:29], v[6:7], v[26:27]
	v_fma_f64 v[30:31], -v[4:5], v[28:29], v[6:7]
	ds_read_b128 v[4:7], v13
	ds_read_b128 v[20:23], v13 offset:16
	v_div_fmas_f64 v[26:27], v[30:31], v[26:27], v[28:29]
	v_div_fixup_f64 v[18:19], v[26:27], v[18:19], v[24:25]
	ds_write_b64 v14, v[8:9]
	ds_write_b64 v11, v[16:17]
	;; [unrolled: 1-line block ×3, first 2 shown]
	s_waitcnt lgkmcnt(4)
	v_fma_f64 v[2:3], -v[8:9], v[4:5], v[2:3]
	v_fma_f64 v[2:3], -v[16:17], v[6:7], v[2:3]
	s_waitcnt lgkmcnt(3)
	v_fma_f64 v[2:3], -v[18:19], v[20:21], v[2:3]
	v_div_scale_f64 v[4:5], s[10:11], v[22:23], v[22:23], v[2:3]
	v_rcp_f64_e32 v[6:7], v[4:5]
	s_cmp_ge_i32 s8, s31
	v_fma_f64 v[8:9], -v[4:5], v[6:7], 1.0
	v_fmac_f64_e32 v[6:7], v[6:7], v[8:9]
	v_fma_f64 v[8:9], -v[4:5], v[6:7], 1.0
	v_fmac_f64_e32 v[6:7], v[6:7], v[8:9]
	v_div_scale_f64 v[8:9], vcc, v[2:3], v[22:23], v[2:3]
	v_mul_f64 v[12:13], v[8:9], v[6:7]
	v_fma_f64 v[4:5], -v[4:5], v[12:13], v[8:9]
	s_nop 1
	v_div_fmas_f64 v[4:5], v[4:5], v[6:7], v[12:13]
	v_div_fixup_f64 v[2:3], v[4:5], v[22:23], v[2:3]
	ds_write_b64 v10, v[2:3]
	s_cbranch_scc1 .LBB96_88
; %bb.87:                               ;   in Loop: Header=BB96_83 Depth=1
	s_mov_b32 s8, s9
	s_branch .LBB96_83
.LBB96_88:
	s_cmp_ge_i32 s9, s31
	s_cbranch_scc1 .LBB96_99
; %bb.89:
	v_mov_b32_e32 v1, 0x1200
	s_add_i32 s1, s9, -1
	s_mul_i32 s8, s9, 0xc0
	v_lshl_or_b32 v1, v0, 3, v1
	s_mov_b32 s10, 0
	s_mov_b32 s11, s9
	s_branch .LBB96_91
.LBB96_90:                              ;   in Loop: Header=BB96_91 Depth=1
	s_mul_i32 s12, s9, 0xc8
	v_mov_b32_e32 v5, s12
	ds_read_b64 v[6:7], v5
	v_add_u32_e32 v4, 0x1200, v4
	s_add_i32 s9, s9, 1
	s_add_i32 s10, s10, 1
	s_addk_i32 s8, 0xc0
	s_waitcnt lgkmcnt(0)
	v_div_scale_f64 v[8:9], s[12:13], v[6:7], v[6:7], v[2:3]
	v_rcp_f64_e32 v[10:11], v[8:9]
	v_div_scale_f64 v[12:13], vcc, v[2:3], v[6:7], v[2:3]
	s_cmp_ge_i32 s9, s31
	v_fma_f64 v[14:15], -v[8:9], v[10:11], 1.0
	v_fmac_f64_e32 v[10:11], v[10:11], v[14:15]
	v_fma_f64 v[14:15], -v[8:9], v[10:11], 1.0
	v_fmac_f64_e32 v[10:11], v[10:11], v[14:15]
	v_mul_f64 v[14:15], v[12:13], v[10:11]
	v_fma_f64 v[8:9], -v[8:9], v[14:15], v[12:13]
	v_div_fmas_f64 v[8:9], v[8:9], v[10:11], v[14:15]
	v_div_fixup_f64 v[2:3], v[8:9], v[6:7], v[2:3]
	ds_write_b64 v4, v[2:3]
	v_add_u16_e64 v2, s11, 1
	v_readfirstlane_b32 s11, v2
	s_cbranch_scc1 .LBB96_99
.LBB96_91:                              ; =>This Loop Header: Depth=1
                                        ;     Child Loop BB96_94 Depth 2
                                        ;     Child Loop BB96_98 Depth 2
	s_mul_i32 s12, s9, 24
	v_add_lshl_u32 v4, s12, v0, 3
	ds_read_b64 v[2:3], v4 offset:4608
	s_cmp_eq_u32 s9, 0
	s_cbranch_scc1 .LBB96_90
; %bb.92:                               ;   in Loop: Header=BB96_91 Depth=1
	s_add_i32 s12, s1, s10
	s_cmp_lt_u32 s12, 7
	s_cbranch_scc1 .LBB96_96
; %bb.93:                               ;   in Loop: Header=BB96_91 Depth=1
	s_and_b32 s12, s9, -8
	s_mov_b32 s13, 0
	v_mov_b32_e32 v5, v1
	s_mov_b32 s16, s8
.LBB96_94:                              ;   Parent Loop BB96_91 Depth=1
                                        ; =>  This Inner Loop Header: Depth=2
	ds_read2_b64 v[6:9], v5 offset1:24
	v_mov_b32_e32 v34, s16
	ds_read2_b64 v[10:13], v5 offset0:48 offset1:72
	ds_read2_b64 v[14:17], v5 offset0:96 offset1:120
	;; [unrolled: 1-line block ×3, first 2 shown]
	ds_read_b128 v[22:25], v34
	ds_read_b128 v[26:29], v34 offset:16
	ds_read_b128 v[30:33], v34 offset:32
	;; [unrolled: 1-line block ×3, first 2 shown]
	s_add_i32 s13, s13, 8
	s_waitcnt lgkmcnt(3)
	v_fma_f64 v[2:3], -v[6:7], v[22:23], v[2:3]
	v_fma_f64 v[2:3], -v[8:9], v[24:25], v[2:3]
	s_waitcnt lgkmcnt(2)
	v_fma_f64 v[2:3], -v[10:11], v[26:27], v[2:3]
	v_fma_f64 v[2:3], -v[12:13], v[28:29], v[2:3]
	;; [unrolled: 3-line block ×3, first 2 shown]
	s_add_i32 s16, s16, 64
	s_waitcnt lgkmcnt(0)
	v_fma_f64 v[2:3], -v[18:19], v[34:35], v[2:3]
	v_add_u32_e32 v5, 0x600, v5
	s_cmp_eq_u32 s12, s13
	v_fma_f64 v[2:3], -v[20:21], v[36:37], v[2:3]
	s_cbranch_scc0 .LBB96_94
; %bb.95:                               ;   in Loop: Header=BB96_91 Depth=1
	s_and_b32 s13, s9, 7
	s_cmp_eq_u32 s13, 0
	s_cbranch_scc0 .LBB96_97
	s_branch .LBB96_90
.LBB96_96:                              ;   in Loop: Header=BB96_91 Depth=1
	s_mov_b32 s12, 0
	s_and_b32 s13, s9, 7
	s_cmp_eq_u32 s13, 0
	s_cbranch_scc1 .LBB96_90
.LBB96_97:                              ;   in Loop: Header=BB96_91 Depth=1
	s_lshl_b32 s16, s12, 3
	s_mulk_i32 s12, 0xc0
	s_and_b32 s13, s11, 7
	v_add_u32_e32 v5, s12, v1
.LBB96_98:                              ;   Parent Loop BB96_91 Depth=1
                                        ; =>  This Inner Loop Header: Depth=2
	s_add_i32 s12, s8, s16
	v_mov_b32_e32 v8, s12
	ds_read_b64 v[6:7], v5
	ds_read_b64 v[8:9], v8
	s_add_i32 s16, s16, 8
	s_add_i32 s13, s13, -1
	v_add_u32_e32 v5, 0xc0, v5
	s_cmp_lg_u32 s13, 0
	s_waitcnt lgkmcnt(0)
	v_fma_f64 v[2:3], -v[6:7], v[8:9], v[2:3]
	s_cbranch_scc1 .LBB96_98
	s_branch .LBB96_90
.LBB96_99:
	s_and_saveexec_b64 s[8:9], s[6:7]
	s_cbranch_execz .LBB96_106
; %bb.100:
	s_ashr_i32 s1, s0, 31
	s_mov_b32 s12, 0
	s_cmp_lt_u32 s30, 4
	v_lshlrev_b32_e32 v1, 3, v0
	s_cbranch_scc1 .LBB96_103
; %bb.101:
	v_mov_b32_e32 v3, s25
	v_add_co_u32_e32 v2, vcc, s24, v1
	s_mul_hi_i32 s17, s0, 24
	s_lshl_b64 s[6:7], s[0:1], 5
	s_lshl_b64 s[8:9], s[0:1], 4
	;; [unrolled: 1-line block ×3, first 2 shown]
	v_mov_b32_e32 v4, 0x1200
	v_addc_co_u32_e32 v3, vcc, 0, v3, vcc
	s_and_b32 s12, s30, 0x7ffffffc
	s_mul_i32 s13, s0, 24
	v_lshl_or_b32 v4, v0, 3, v4
	s_mov_b32 s16, 0
	v_mov_b32_e32 v5, s11
	v_mov_b32_e32 v6, s9
	;; [unrolled: 1-line block ×4, first 2 shown]
.LBB96_102:                             ; =>This Inner Loop Header: Depth=1
	v_add_co_u32_e32 v18, vcc, s10, v2
	ds_read2_b64 v[10:13], v4 offset1:24
	v_addc_co_u32_e32 v19, vcc, v3, v5, vcc
	v_add_co_u32_e32 v20, vcc, s8, v2
	ds_read2_b64 v[14:17], v4 offset0:48 offset1:72
	v_addc_co_u32_e32 v21, vcc, v3, v6, vcc
	v_add_co_u32_e32 v22, vcc, s13, v2
	v_addc_co_u32_e32 v23, vcc, v3, v7, vcc
	s_add_i32 s16, s16, 4
	s_waitcnt lgkmcnt(1)
	global_store_dwordx2 v[2:3], v[10:11], off
	global_store_dwordx2 v[18:19], v[12:13], off
	s_waitcnt lgkmcnt(0)
	global_store_dwordx2 v[20:21], v[14:15], off
	global_store_dwordx2 v[22:23], v[16:17], off
	v_add_co_u32_e32 v2, vcc, s6, v2
	v_add_u32_e32 v4, 0x300, v4
	s_cmp_lg_u32 s12, s16
	v_addc_co_u32_e32 v3, vcc, v3, v8, vcc
	s_cbranch_scc1 .LBB96_102
.LBB96_103:
	s_and_b32 s6, s30, 3
	s_cmp_eq_u32 s6, 0
	s_cbranch_scc1 .LBB96_106
; %bb.104:
	s_mul_hi_i32 s9, s0, s12
	s_mul_i32 s8, s0, s12
	s_lshl_b64 s[8:9], s[8:9], 3
	s_add_u32 s7, s14, s8
	s_addc_u32 s8, s15, s9
	s_add_u32 s7, s7, s23
	s_addc_u32 s8, s8, s22
	;; [unrolled: 2-line block ×4, first 2 shown]
	v_add_co_u32_e32 v2, vcc, s2, v1
	s_mul_i32 s2, s12, 0xc0
	v_mov_b32_e32 v3, s3
	s_lshl_b64 s[0:1], s[0:1], 3
	v_lshl_add_u32 v0, v0, 3, s2
	v_addc_co_u32_e32 v3, vcc, 0, v3, vcc
	v_add_u32_e32 v0, 0x1200, v0
	v_mov_b32_e32 v1, s1
.LBB96_105:                             ; =>This Inner Loop Header: Depth=1
	ds_read_b64 v[4:5], v0
	s_add_i32 s6, s6, -1
	v_add_u32_e32 v0, 0xc0, v0
	s_cmp_lg_u32 s6, 0
	s_waitcnt lgkmcnt(0)
	global_store_dwordx2 v[2:3], v[4:5], off
	v_add_co_u32_e32 v2, vcc, s0, v2
	v_addc_co_u32_e32 v3, vcc, v3, v1, vcc
	s_cbranch_scc1 .LBB96_105
.LBB96_106:
	s_endpgm
	.section	.rodata,"a",@progbits
	.p2align	6, 0x0
	.amdhsa_kernel _ZL31rocblas_trsm_small_right_deviceIddPKdPdLi24EEv13rocblas_fill_18rocblas_operation_17rocblas_diagonal_iiT0_T1_lilT2_lili
		.amdhsa_group_segment_fixed_size 9216
		.amdhsa_private_segment_fixed_size 0
		.amdhsa_kernarg_size 360
		.amdhsa_user_sgpr_count 6
		.amdhsa_user_sgpr_private_segment_buffer 1
		.amdhsa_user_sgpr_dispatch_ptr 0
		.amdhsa_user_sgpr_queue_ptr 0
		.amdhsa_user_sgpr_kernarg_segment_ptr 1
		.amdhsa_user_sgpr_dispatch_id 0
		.amdhsa_user_sgpr_flat_scratch_init 0
		.amdhsa_user_sgpr_kernarg_preload_length 0
		.amdhsa_user_sgpr_kernarg_preload_offset 0
		.amdhsa_user_sgpr_private_segment_size 0
		.amdhsa_uses_dynamic_stack 0
		.amdhsa_system_sgpr_private_segment_wavefront_offset 0
		.amdhsa_system_sgpr_workgroup_id_x 1
		.amdhsa_system_sgpr_workgroup_id_y 0
		.amdhsa_system_sgpr_workgroup_id_z 1
		.amdhsa_system_sgpr_workgroup_info 0
		.amdhsa_system_vgpr_workitem_id 0
		.amdhsa_next_free_vgpr 56
		.amdhsa_next_free_sgpr 38
		.amdhsa_accum_offset 56
		.amdhsa_reserve_vcc 1
		.amdhsa_reserve_flat_scratch 0
		.amdhsa_float_round_mode_32 0
		.amdhsa_float_round_mode_16_64 0
		.amdhsa_float_denorm_mode_32 3
		.amdhsa_float_denorm_mode_16_64 3
		.amdhsa_dx10_clamp 1
		.amdhsa_ieee_mode 1
		.amdhsa_fp16_overflow 0
		.amdhsa_tg_split 0
		.amdhsa_exception_fp_ieee_invalid_op 0
		.amdhsa_exception_fp_denorm_src 0
		.amdhsa_exception_fp_ieee_div_zero 0
		.amdhsa_exception_fp_ieee_overflow 0
		.amdhsa_exception_fp_ieee_underflow 0
		.amdhsa_exception_fp_ieee_inexact 0
		.amdhsa_exception_int_div_zero 0
	.end_amdhsa_kernel
	.section	.text._ZL31rocblas_trsm_small_right_deviceIddPKdPdLi24EEv13rocblas_fill_18rocblas_operation_17rocblas_diagonal_iiT0_T1_lilT2_lili,"axG",@progbits,_ZL31rocblas_trsm_small_right_deviceIddPKdPdLi24EEv13rocblas_fill_18rocblas_operation_17rocblas_diagonal_iiT0_T1_lilT2_lili,comdat
.Lfunc_end96:
	.size	_ZL31rocblas_trsm_small_right_deviceIddPKdPdLi24EEv13rocblas_fill_18rocblas_operation_17rocblas_diagonal_iiT0_T1_lilT2_lili, .Lfunc_end96-_ZL31rocblas_trsm_small_right_deviceIddPKdPdLi24EEv13rocblas_fill_18rocblas_operation_17rocblas_diagonal_iiT0_T1_lilT2_lili
                                        ; -- End function
	.section	.AMDGPU.csdata,"",@progbits
; Kernel info:
; codeLenInByte = 8036
; NumSgprs: 42
; NumVgprs: 56
; NumAgprs: 0
; TotalNumVgprs: 56
; ScratchSize: 0
; MemoryBound: 0
; FloatMode: 240
; IeeeMode: 1
; LDSByteSize: 9216 bytes/workgroup (compile time only)
; SGPRBlocks: 5
; VGPRBlocks: 6
; NumSGPRsForWavesPerEU: 42
; NumVGPRsForWavesPerEU: 56
; AccumOffset: 56
; Occupancy: 2
; WaveLimiterHint : 0
; COMPUTE_PGM_RSRC2:SCRATCH_EN: 0
; COMPUTE_PGM_RSRC2:USER_SGPR: 6
; COMPUTE_PGM_RSRC2:TRAP_HANDLER: 0
; COMPUTE_PGM_RSRC2:TGID_X_EN: 1
; COMPUTE_PGM_RSRC2:TGID_Y_EN: 0
; COMPUTE_PGM_RSRC2:TGID_Z_EN: 1
; COMPUTE_PGM_RSRC2:TIDIG_COMP_CNT: 0
; COMPUTE_PGM_RSRC3_GFX90A:ACCUM_OFFSET: 13
; COMPUTE_PGM_RSRC3_GFX90A:TG_SPLIT: 0
	.section	.text._ZL38rocblas_trsm_small_left_device_sharedBILi28ELi28ELb0EddPKdPdEv13rocblas_fill_18rocblas_operation_17rocblas_diagonal_iiT3_T4_lilT5_lili,"axG",@progbits,_ZL38rocblas_trsm_small_left_device_sharedBILi28ELi28ELb0EddPKdPdEv13rocblas_fill_18rocblas_operation_17rocblas_diagonal_iiT3_T4_lilT5_lili,comdat
	.globl	_ZL38rocblas_trsm_small_left_device_sharedBILi28ELi28ELb0EddPKdPdEv13rocblas_fill_18rocblas_operation_17rocblas_diagonal_iiT3_T4_lilT5_lili ; -- Begin function _ZL38rocblas_trsm_small_left_device_sharedBILi28ELi28ELb0EddPKdPdEv13rocblas_fill_18rocblas_operation_17rocblas_diagonal_iiT3_T4_lilT5_lili
	.p2align	8
	.type	_ZL38rocblas_trsm_small_left_device_sharedBILi28ELi28ELb0EddPKdPdEv13rocblas_fill_18rocblas_operation_17rocblas_diagonal_iiT3_T4_lilT5_lili,@function
_ZL38rocblas_trsm_small_left_device_sharedBILi28ELi28ELb0EddPKdPdEv13rocblas_fill_18rocblas_operation_17rocblas_diagonal_iiT3_T4_lilT5_lili: ; @_ZL38rocblas_trsm_small_left_device_sharedBILi28ELi28ELb0EddPKdPdEv13rocblas_fill_18rocblas_operation_17rocblas_diagonal_iiT3_T4_lilT5_lili
; %bb.0:
	s_load_dwordx4 s[8:11], s[4:5], 0x4
	s_load_dwordx4 s[12:15], s[4:5], 0x18
	s_load_dwordx2 s[20:21], s[4:5], 0x28
	s_load_dwordx4 s[0:3], s[4:5], 0x38
	s_load_dwordx2 s[16:17], s[4:5], 0x48
	s_waitcnt lgkmcnt(0)
	s_min_i32 s30, s10, 28
	s_mov_b32 s33, 0
	s_add_i32 s31, s30, -1
	v_cmp_gt_i32_e32 vcc, s30, v0
	s_and_saveexec_b64 s[18:19], vcc
	s_cbranch_execz .LBB97_10
; %bb.1:
	s_load_dword s22, s[4:5], 0x30
	s_mul_i32 s1, s7, s1
	s_mul_hi_u32 s24, s7, s0
	s_add_i32 s1, s24, s1
	s_mul_i32 s0, s7, s0
	s_waitcnt lgkmcnt(0)
	s_ashr_i32 s23, s22, 31
	s_cmp_lt_u32 s31, 3
	s_cbranch_scc1 .LBB97_4
; %bb.2:
	s_lshl_b64 s[24:25], s[0:1], 3
	s_add_u32 s26, s14, s24
	s_addc_u32 s27, s15, s25
	s_lshl_b64 s[24:25], s[20:21], 3
	s_add_u32 s24, s26, s24
	s_addc_u32 s25, s27, s25
	v_lshlrev_b32_e32 v1, 3, v0
	v_mov_b32_e32 v3, s25
	v_add_co_u32_e32 v2, vcc, s24, v1
	s_mul_hi_i32 s36, s22, 24
	s_lshl_b64 s[24:25], s[22:23], 5
	s_lshl_b64 s[26:27], s[22:23], 4
	;; [unrolled: 1-line block ×3, first 2 shown]
	v_addc_co_u32_e32 v3, vcc, 0, v3, vcc
	s_and_b32 s33, s30, -4
	s_mul_i32 s34, s22, 24
	s_mov_b32 s35, 0
	v_mov_b32_e32 v4, s29
	v_mov_b32_e32 v5, s27
	;; [unrolled: 1-line block ×4, first 2 shown]
.LBB97_3:                               ; =>This Inner Loop Header: Depth=1
	v_add_co_u32_e32 v10, vcc, s28, v2
	v_addc_co_u32_e32 v11, vcc, v3, v4, vcc
	v_add_co_u32_e32 v12, vcc, s26, v2
	v_addc_co_u32_e32 v13, vcc, v3, v5, vcc
	v_add_co_u32_e32 v14, vcc, s34, v2
	global_load_dwordx2 v[8:9], v[2:3], off
	v_addc_co_u32_e32 v15, vcc, v3, v6, vcc
	global_load_dwordx2 v[16:17], v[10:11], off
	global_load_dwordx2 v[18:19], v[12:13], off
	;; [unrolled: 1-line block ×3, first 2 shown]
	s_add_i32 s35, s35, 4
	v_add_co_u32_e32 v2, vcc, s24, v2
	v_addc_co_u32_e32 v3, vcc, v3, v7, vcc
	s_cmp_eq_u32 s33, s35
	s_waitcnt vmcnt(2)
	ds_write2_b64 v1, v[8:9], v[16:17] offset1:28
	s_waitcnt vmcnt(0)
	ds_write2_b64 v1, v[18:19], v[20:21] offset0:56 offset1:84
	v_add_u32_e32 v1, 0x380, v1
	s_cbranch_scc0 .LBB97_3
.LBB97_4:
	s_and_b32 s24, s30, 3
	s_cmp_eq_u32 s24, 0
	s_cbranch_scc1 .LBB97_7
; %bb.5:
	s_mul_i32 s25, s33, 0xe0
	v_lshl_add_u32 v1, v0, 3, s25
	s_mul_i32 s25, s23, s33
	s_mul_hi_u32 s26, s22, s33
	s_add_i32 s27, s26, s25
	s_mul_i32 s26, s22, s33
	s_lshl_b64 s[0:1], s[0:1], 3
	s_lshl_b64 s[26:27], s[26:27], 3
	s_add_u32 s25, s0, s26
	s_addc_u32 s26, s1, s27
	s_lshl_b64 s[0:1], s[20:21], 3
	s_add_u32 s0, s25, s0
	s_addc_u32 s1, s26, s1
	s_add_u32 s0, s14, s0
	v_lshlrev_b32_e32 v2, 3, v0
	s_addc_u32 s1, s15, s1
	v_mov_b32_e32 v3, s1
	v_add_co_u32_e32 v2, vcc, s0, v2
	s_lshl_b64 s[0:1], s[22:23], 3
	v_addc_co_u32_e32 v3, vcc, 0, v3, vcc
	v_mov_b32_e32 v4, s1
.LBB97_6:                               ; =>This Inner Loop Header: Depth=1
	global_load_dwordx2 v[6:7], v[2:3], off
	v_add_co_u32_e32 v2, vcc, s0, v2
	s_add_i32 s24, s24, -1
	v_addc_co_u32_e32 v3, vcc, v3, v4, vcc
	s_cmp_lg_u32 s24, 0
	s_waitcnt vmcnt(0)
	ds_write_b64 v1, v[6:7]
	v_add_u32_e32 v1, 0xe0, v1
	s_cbranch_scc1 .LBB97_6
.LBB97_7:
	v_mul_u32_u24_e32 v1, 29, v0
	v_mov_b32_e32 v2, 0
	s_cmpk_lg_i32 s9, 0x84
	v_lshlrev_b32_e32 v1, 3, v1
	v_mov_b32_e32 v3, 0x3ff00000
	s_cbranch_scc0 .LBB97_9
; %bb.8:
	ds_read_b64 v[2:3], v1
	s_waitcnt lgkmcnt(0)
	v_div_scale_f64 v[4:5], s[0:1], v[2:3], v[2:3], 1.0
	v_rcp_f64_e32 v[6:7], v[4:5]
	v_div_scale_f64 v[8:9], vcc, 1.0, v[2:3], 1.0
	v_fma_f64 v[10:11], -v[4:5], v[6:7], 1.0
	v_fmac_f64_e32 v[6:7], v[6:7], v[10:11]
	v_fma_f64 v[10:11], -v[4:5], v[6:7], 1.0
	v_fmac_f64_e32 v[6:7], v[6:7], v[10:11]
	v_mul_f64 v[10:11], v[8:9], v[6:7]
	v_fma_f64 v[4:5], -v[4:5], v[10:11], v[8:9]
	v_div_fmas_f64 v[4:5], v[4:5], v[6:7], v[10:11]
	v_div_fixup_f64 v[2:3], v[4:5], v[2:3], 1.0
.LBB97_9:
	ds_write_b64 v1, v[2:3]
.LBB97_10:
	s_or_b64 exec, exec, s[18:19]
	s_load_dword s9, s[4:5], 0x68
	s_load_dword s22, s[4:5], 0x50
	s_load_dwordx2 s[0:1], s[4:5], 0x58
	s_mov_b32 s18, 0
	s_waitcnt lgkmcnt(0)
	s_ashr_i32 s23, s22, 31
	s_mul_i32 s1, s7, s1
	s_mul_hi_u32 s4, s7, s0
	s_mul_i32 s0, s7, s0
	s_add_i32 s1, s4, s1
	s_lshl_b64 s[0:1], s[0:1], 3
	s_add_u32 s7, s2, s0
	s_addc_u32 s14, s3, s1
	s_lshl_b64 s[4:5], s[16:17], 3
	s_add_u32 s16, s7, s4
	s_mul_i32 s7, s6, 0xffffffe4
	s_addc_u32 s17, s14, s5
	s_add_i32 s9, s9, -1
	s_add_i32 s7, s7, s11
	s_cmp_ge_u32 s6, s9
	s_mul_i32 s6, s6, 28
	s_mul_hi_i32 s15, s22, s6
	s_mul_i32 s14, s22, s6
	s_cselect_b32 s9, s7, 28
	s_ashr_i32 s7, s6, 31
	s_lshl_b64 s[14:15], s[14:15], 3
	s_add_u32 s11, s16, s14
	s_addc_u32 s24, s17, s15
	s_cmp_gt_i32 s10, 0
	v_cmp_gt_i32_e32 vcc, s9, v0
	s_cselect_b64 s[14:15], -1, 0
	s_and_b64 s[14:15], vcc, s[14:15]
	s_and_saveexec_b64 s[16:17], s[14:15]
	s_cbranch_execz .LBB97_17
; %bb.11:
	s_cmp_lt_i32 s10, 8
	s_cbranch_scc1 .LBB97_14
; %bb.12:
	v_mad_i64_i32 v[2:3], s[18:19], s22, v0, 0
	v_lshlrev_b64 v[2:3], 3, v[2:3]
	v_mov_b32_e32 v4, s24
	v_add_co_u32_e32 v1, vcc, s11, v2
	v_addc_co_u32_e32 v2, vcc, v4, v3, vcc
	v_mov_b32_e32 v3, 0x1880
	s_lshl_b32 s9, s30, 3
	v_lshl_add_u32 v3, v0, 3, v3
	s_and_b32 s9, s9, 0xc0
	s_mov_b32 s18, 0
	s_mov_b64 s[20:21], 0
.LBB97_13:                              ; =>This Inner Loop Header: Depth=1
	v_mov_b32_e32 v4, s21
	v_add_co_u32_e32 v20, vcc, s20, v1
	v_addc_co_u32_e32 v21, vcc, v2, v4, vcc
	global_load_dwordx4 v[4:7], v[20:21], off
	global_load_dwordx4 v[8:11], v[20:21], off offset:16
	global_load_dwordx4 v[12:15], v[20:21], off offset:32
	global_load_dwordx4 v[16:19], v[20:21], off offset:48
	s_add_i32 s18, s18, 8
	s_add_u32 s20, s20, 64
	s_addc_u32 s21, s21, 0
	s_cmp_lg_u32 s9, s20
	s_waitcnt vmcnt(3)
	v_mul_f64 v[4:5], v[4:5], s[12:13]
	v_mul_f64 v[6:7], v[6:7], s[12:13]
	s_waitcnt vmcnt(2)
	v_mul_f64 v[8:9], v[8:9], s[12:13]
	v_mul_f64 v[10:11], v[10:11], s[12:13]
	;; [unrolled: 3-line block ×4, first 2 shown]
	ds_write2_b64 v3, v[4:5], v[6:7] offset1:28
	ds_write2_b64 v3, v[8:9], v[10:11] offset0:56 offset1:84
	ds_write2_b64 v3, v[12:13], v[14:15] offset0:112 offset1:140
	;; [unrolled: 1-line block ×3, first 2 shown]
	v_add_u32_e32 v3, 0x700, v3
	s_cbranch_scc1 .LBB97_13
.LBB97_14:
	s_and_b32 s9, s30, 7
	s_cmp_eq_u32 s9, 0
	s_mov_b32 s19, 0
	s_cbranch_scc1 .LBB97_17
; %bb.15:
	s_mul_i32 s20, s18, 0xe0
	v_lshl_add_u32 v1, v0, 3, s20
	s_lshl_b64 s[20:21], s[6:7], 3
	s_lshl_b64 s[18:19], s[18:19], 3
	s_add_u32 s18, s2, s18
	s_addc_u32 s19, s3, s19
	s_add_u32 s18, s18, s4
	s_addc_u32 s19, s19, s5
	v_lshlrev_b32_e32 v2, 3, v0
	s_add_u32 s18, s18, s0
	v_mov_b32_e32 v3, s21
	v_add_co_u32_e32 v4, vcc, s20, v2
	s_addc_u32 s19, s19, s1
	v_addc_co_u32_e32 v5, vcc, 0, v3, vcc
	v_pk_mov_b32 v[2:3], s[18:19], s[18:19] op_sel:[0,1]
	v_mad_u64_u32 v[2:3], s[18:19], v4, s22, v[2:3]
	v_mul_lo_u32 v4, v4, s23
	v_mul_lo_u32 v5, v5, s22
	v_add_u32_e32 v1, 0x1880, v1
	v_add3_u32 v3, v5, v3, v4
.LBB97_16:                              ; =>This Inner Loop Header: Depth=1
	global_load_dwordx2 v[4:5], v[2:3], off
	v_add_co_u32_e32 v2, vcc, 8, v2
	s_add_i32 s9, s9, -1
	v_addc_co_u32_e32 v3, vcc, 0, v3, vcc
	s_cmp_lg_u32 s9, 0
	s_waitcnt vmcnt(0)
	v_mul_f64 v[4:5], v[4:5], s[12:13]
	ds_write_b64 v1, v[4:5]
	v_add_u32_e32 v1, 0xe0, v1
	s_cbranch_scc1 .LBB97_16
.LBB97_17:
	s_or_b64 exec, exec, s[16:17]
	s_cmpk_eq_i32 s8, 0x6f
	s_mov_b64 s[8:9], -1
	s_waitcnt lgkmcnt(0)
	; wave barrier
	s_waitcnt lgkmcnt(0)
	s_cbranch_scc1 .LBB97_38
; %bb.18:
	s_cmp_gt_i32 s10, 27
	s_cselect_b64 s[8:9], -1, 0
	s_mov_b32 s12, 0
	s_and_b64 vcc, exec, s[8:9]
	s_cbranch_vccz .LBB97_20
; %bb.19:
	v_lshlrev_b32_e32 v1, 3, v0
	v_add_u32_e32 v59, 0x1800, v1
	v_add_u32_e32 v60, 0x1c00, v1
	;; [unrolled: 1-line block ×4, first 2 shown]
	v_mov_b32_e32 v62, 0
	ds_read2_b64 v[42:45], v59 offset0:16 offset1:44
	ds_read2_b64 v[46:49], v59 offset0:72 offset1:100
	ds_read2_b64 v[50:53], v59 offset0:128 offset1:156
	ds_read2_b64 v[54:57], v59 offset0:184 offset1:212
	ds_read2_b64 v[38:41], v60 offset0:112 offset1:140
	ds_read2_b64 v[34:37], v58 offset0:40 offset1:68
	ds_read2_b64 v[30:33], v58 offset0:96 offset1:124
	ds_read2_b64 v[26:29], v58 offset0:152 offset1:180
	ds_read2_b64 v[22:25], v58 offset0:208 offset1:236
	ds_read2_b64 v[18:21], v63 offset0:8 offset1:36
	ds_read2_b64 v[14:17], v63 offset0:64 offset1:92
	ds_read2_b64 v[10:13], v63 offset0:120 offset1:148
	ds_read2_b64 v[64:67], v62 offset1:58
	ds_read2_b64 v[6:9], v63 offset0:176 offset1:204
	ds_read_b128 v[68:71], v62 offset:224
	ds_read_b128 v[72:75], v62 offset:448
	v_add_u32_e32 v1, 0x2c00, v1
	s_waitcnt lgkmcnt(3)
	v_mul_f64 v[42:43], v[64:65], v[42:43]
	ds_read2_b64 v[2:5], v1 offset0:104 offset1:132
	s_waitcnt lgkmcnt(2)
	v_fma_f64 v[44:45], -v[42:43], v[68:69], v[44:45]
	v_mul_f64 v[44:45], v[70:71], v[44:45]
	ds_read_b128 v[68:71], v62 offset:672
	s_waitcnt lgkmcnt(2)
	v_fma_f64 v[46:47], -v[42:43], v[72:73], v[46:47]
	v_fma_f64 v[46:47], -v[44:45], v[74:75], v[46:47]
	ds_read_b128 v[72:75], v62 offset:688
	v_mul_f64 v[46:47], v[66:67], v[46:47]
	ds_read_b128 v[64:67], v62 offset:896
	s_waitcnt lgkmcnt(2)
	v_fma_f64 v[48:49], -v[42:43], v[68:69], v[48:49]
	v_fma_f64 v[48:49], -v[44:45], v[70:71], v[48:49]
	ds_read_b128 v[68:71], v62 offset:912
	s_waitcnt lgkmcnt(2)
	v_fma_f64 v[48:49], -v[46:47], v[72:73], v[48:49]
	v_mul_f64 v[48:49], v[74:75], v[48:49]
	ds_write2_b64 v59, v[42:43], v[44:45] offset0:16 offset1:44
	ds_write2_b64 v59, v[46:47], v[48:49] offset0:72 offset1:100
	s_waitcnt lgkmcnt(3)
	v_fma_f64 v[50:51], -v[42:43], v[64:65], v[50:51]
	v_fma_f64 v[50:51], -v[44:45], v[66:67], v[50:51]
	ds_read2_b64 v[64:67], v62 offset0:116 offset1:174
	ds_read_b128 v[72:75], v62 offset:1120
	s_waitcnt lgkmcnt(4)
	v_fma_f64 v[50:51], -v[46:47], v[68:69], v[50:51]
	v_fma_f64 v[50:51], -v[48:49], v[70:71], v[50:51]
	ds_read_b128 v[68:71], v62 offset:1136
	ds_read_b128 v[76:79], v62 offset:1152
	s_waitcnt lgkmcnt(2)
	v_fma_f64 v[52:53], -v[42:43], v[72:73], v[52:53]
	v_fma_f64 v[52:53], -v[44:45], v[74:75], v[52:53]
	v_mul_f64 v[50:51], v[64:65], v[50:51]
	s_waitcnt lgkmcnt(1)
	v_fma_f64 v[52:53], -v[46:47], v[68:69], v[52:53]
	v_fma_f64 v[52:53], -v[48:49], v[70:71], v[52:53]
	ds_read_b128 v[68:71], v62 offset:1344
	ds_read_b128 v[72:75], v62 offset:1360
	s_waitcnt lgkmcnt(2)
	v_fma_f64 v[52:53], -v[50:51], v[76:77], v[52:53]
	v_mul_f64 v[52:53], v[78:79], v[52:53]
	ds_read_b128 v[76:79], v62 offset:1376
	s_waitcnt lgkmcnt(2)
	v_fma_f64 v[54:55], -v[42:43], v[68:69], v[54:55]
	v_fma_f64 v[54:55], -v[44:45], v[70:71], v[54:55]
	ds_read_b128 v[68:71], v62 offset:1568
	s_waitcnt lgkmcnt(2)
	v_fma_f64 v[54:55], -v[46:47], v[72:73], v[54:55]
	v_fma_f64 v[54:55], -v[48:49], v[74:75], v[54:55]
	s_waitcnt lgkmcnt(1)
	v_fma_f64 v[54:55], -v[50:51], v[76:77], v[54:55]
	ds_read_b128 v[72:75], v62 offset:1584
	v_fma_f64 v[54:55], -v[52:53], v[78:79], v[54:55]
	v_mul_f64 v[54:55], v[66:67], v[54:55]
	ds_read_b128 v[64:67], v62 offset:1600
	s_waitcnt lgkmcnt(2)
	v_fma_f64 v[56:57], -v[42:43], v[68:69], v[56:57]
	v_fma_f64 v[56:57], -v[44:45], v[70:71], v[56:57]
	ds_read_b128 v[68:71], v62 offset:1616
	s_waitcnt lgkmcnt(2)
	v_fma_f64 v[56:57], -v[46:47], v[72:73], v[56:57]
	v_fma_f64 v[56:57], -v[48:49], v[74:75], v[56:57]
	s_waitcnt lgkmcnt(1)
	v_fma_f64 v[56:57], -v[50:51], v[64:65], v[56:57]
	v_fma_f64 v[56:57], -v[52:53], v[66:67], v[56:57]
	ds_read_b128 v[64:67], v62 offset:1792
	s_waitcnt lgkmcnt(1)
	v_fma_f64 v[56:57], -v[54:55], v[68:69], v[56:57]
	v_mul_f64 v[56:57], v[70:71], v[56:57]
	ds_read_b128 v[68:71], v62 offset:1808
	ds_read_b128 v[72:75], v62 offset:1824
	s_waitcnt lgkmcnt(2)
	v_fma_f64 v[38:39], -v[42:43], v[64:65], v[38:39]
	v_fma_f64 v[38:39], -v[44:45], v[66:67], v[38:39]
	ds_read_b128 v[64:67], v62 offset:1840
	s_waitcnt lgkmcnt(2)
	v_fma_f64 v[38:39], -v[46:47], v[68:69], v[38:39]
	v_fma_f64 v[38:39], -v[48:49], v[70:71], v[38:39]
	s_movk_i32 s12, 0x400
	ds_write2_b64 v59, v[50:51], v[52:53] offset0:128 offset1:156
	ds_write2_b64 v59, v[54:55], v[56:57] offset0:184 offset1:212
	s_waitcnt lgkmcnt(3)
	v_fma_f64 v[38:39], -v[50:51], v[72:73], v[38:39]
	v_add_u32_e64 v59, s12, 0
	v_fma_f64 v[38:39], -v[52:53], v[74:75], v[38:39]
	ds_read2_b64 v[68:71], v59 offset0:104 offset1:162
	ds_read_b128 v[72:75], v62 offset:2016
	s_waitcnt lgkmcnt(4)
	v_fma_f64 v[38:39], -v[54:55], v[64:65], v[38:39]
	v_fma_f64 v[38:39], -v[56:57], v[66:67], v[38:39]
	ds_read_b128 v[64:67], v62 offset:2032
	ds_read_b128 v[76:79], v62 offset:2048
	s_waitcnt lgkmcnt(2)
	v_fma_f64 v[40:41], -v[42:43], v[72:73], v[40:41]
	v_fma_f64 v[40:41], -v[44:45], v[74:75], v[40:41]
	ds_read_b128 v[72:75], v62 offset:2064
	s_waitcnt lgkmcnt(2)
	v_fma_f64 v[40:41], -v[46:47], v[64:65], v[40:41]
	v_fma_f64 v[40:41], -v[48:49], v[66:67], v[40:41]
	ds_read_b128 v[64:67], v62 offset:2080
	s_waitcnt lgkmcnt(2)
	v_fma_f64 v[40:41], -v[50:51], v[76:77], v[40:41]
	v_fma_f64 v[40:41], -v[52:53], v[78:79], v[40:41]
	s_waitcnt lgkmcnt(1)
	v_fma_f64 v[40:41], -v[54:55], v[72:73], v[40:41]
	v_mul_f64 v[38:39], v[68:69], v[38:39]
	v_fma_f64 v[40:41], -v[56:57], v[74:75], v[40:41]
	ds_read_b128 v[72:75], v62 offset:2240
	s_waitcnt lgkmcnt(1)
	v_fma_f64 v[40:41], -v[38:39], v[64:65], v[40:41]
	v_mul_f64 v[40:41], v[66:67], v[40:41]
	ds_read_b128 v[64:67], v62 offset:2256
	ds_read_b128 v[76:79], v62 offset:2272
	s_waitcnt lgkmcnt(2)
	v_fma_f64 v[34:35], -v[42:43], v[72:73], v[34:35]
	v_fma_f64 v[34:35], -v[44:45], v[74:75], v[34:35]
	ds_read_b128 v[72:75], v62 offset:2288
	s_waitcnt lgkmcnt(2)
	v_fma_f64 v[34:35], -v[46:47], v[64:65], v[34:35]
	v_fma_f64 v[34:35], -v[48:49], v[66:67], v[34:35]
	;; [unrolled: 4-line block ×3, first 2 shown]
	s_waitcnt lgkmcnt(1)
	v_fma_f64 v[34:35], -v[54:55], v[72:73], v[34:35]
	v_fma_f64 v[34:35], -v[56:57], v[74:75], v[34:35]
	ds_read_b128 v[72:75], v62 offset:2464
	s_waitcnt lgkmcnt(1)
	v_fma_f64 v[34:35], -v[38:39], v[64:65], v[34:35]
	v_fma_f64 v[34:35], -v[40:41], v[66:67], v[34:35]
	ds_read_b128 v[64:67], v62 offset:2480
	v_mul_f64 v[34:35], v[70:71], v[34:35]
	ds_read_b128 v[68:71], v62 offset:2496
	s_waitcnt lgkmcnt(2)
	v_fma_f64 v[36:37], -v[42:43], v[72:73], v[36:37]
	v_fma_f64 v[36:37], -v[44:45], v[74:75], v[36:37]
	ds_read_b128 v[72:75], v62 offset:2512
	s_waitcnt lgkmcnt(2)
	v_fma_f64 v[36:37], -v[46:47], v[64:65], v[36:37]
	v_fma_f64 v[36:37], -v[48:49], v[66:67], v[36:37]
	;; [unrolled: 4-line block ×4, first 2 shown]
	s_waitcnt lgkmcnt(1)
	v_fma_f64 v[36:37], -v[38:39], v[64:65], v[36:37]
	v_fma_f64 v[36:37], -v[40:41], v[66:67], v[36:37]
	ds_read_b128 v[64:67], v62 offset:2688
	s_waitcnt lgkmcnt(1)
	v_fma_f64 v[36:37], -v[34:35], v[68:69], v[36:37]
	v_mul_f64 v[36:37], v[70:71], v[36:37]
	ds_read_b128 v[68:71], v62 offset:2704
	ds_read_b128 v[72:75], v62 offset:2720
	s_waitcnt lgkmcnt(2)
	v_fma_f64 v[30:31], -v[42:43], v[64:65], v[30:31]
	v_fma_f64 v[30:31], -v[44:45], v[66:67], v[30:31]
	ds_read_b128 v[64:67], v62 offset:2736
	s_waitcnt lgkmcnt(2)
	v_fma_f64 v[30:31], -v[46:47], v[68:69], v[30:31]
	v_fma_f64 v[30:31], -v[48:49], v[70:71], v[30:31]
	ds_read_b128 v[68:71], v62 offset:2752
	s_waitcnt lgkmcnt(2)
	v_fma_f64 v[30:31], -v[50:51], v[72:73], v[30:31]
	v_fma_f64 v[30:31], -v[52:53], v[74:75], v[30:31]
	s_waitcnt lgkmcnt(1)
	v_fma_f64 v[30:31], -v[54:55], v[64:65], v[30:31]
	v_fma_f64 v[30:31], -v[56:57], v[66:67], v[30:31]
	ds_read_b128 v[64:67], v62 offset:2768
	s_waitcnt lgkmcnt(1)
	v_fma_f64 v[30:31], -v[38:39], v[68:69], v[30:31]
	v_fma_f64 v[30:31], -v[40:41], v[70:71], v[30:31]
	s_movk_i32 s12, 0x800
	ds_write2_b64 v60, v[38:39], v[40:41] offset0:112 offset1:140
	s_waitcnt lgkmcnt(1)
	v_fma_f64 v[30:31], -v[34:35], v[64:65], v[30:31]
	v_fma_f64 v[30:31], -v[36:37], v[66:67], v[30:31]
	ds_read_b128 v[64:67], v62 offset:2912
	ds_write2_b64 v58, v[34:35], v[36:37] offset0:40 offset1:68
	v_add_u32_e64 v59, s12, 0
	ds_read2_b64 v[72:75], v59 offset0:92 offset1:150
	ds_read_b128 v[68:71], v62 offset:2928
	ds_read_b128 v[76:79], v62 offset:2944
	;; [unrolled: 1-line block ×3, first 2 shown]
	s_waitcnt lgkmcnt(5)
	v_fma_f64 v[32:33], -v[42:43], v[64:65], v[32:33]
	v_fma_f64 v[32:33], -v[44:45], v[66:67], v[32:33]
	s_waitcnt lgkmcnt(2)
	v_fma_f64 v[32:33], -v[46:47], v[68:69], v[32:33]
	v_fma_f64 v[32:33], -v[48:49], v[70:71], v[32:33]
	ds_read_b128 v[64:67], v62 offset:2976
	ds_read_b128 v[68:71], v62 offset:2992
	s_waitcnt lgkmcnt(3)
	v_fma_f64 v[32:33], -v[50:51], v[76:77], v[32:33]
	v_fma_f64 v[32:33], -v[52:53], v[78:79], v[32:33]
	s_waitcnt lgkmcnt(2)
	v_fma_f64 v[32:33], -v[54:55], v[80:81], v[32:33]
	v_fma_f64 v[32:33], -v[56:57], v[82:83], v[32:33]
	ds_read_b128 v[76:79], v62 offset:3008
	s_waitcnt lgkmcnt(2)
	v_fma_f64 v[32:33], -v[38:39], v[64:65], v[32:33]
	v_fma_f64 v[32:33], -v[40:41], v[66:67], v[32:33]
	ds_read_b128 v[64:67], v62 offset:3136
	s_waitcnt lgkmcnt(2)
	v_fma_f64 v[32:33], -v[34:35], v[68:69], v[32:33]
	v_mul_f64 v[30:31], v[72:73], v[30:31]
	v_fma_f64 v[32:33], -v[36:37], v[70:71], v[32:33]
	ds_read_b128 v[68:71], v62 offset:3152
	s_waitcnt lgkmcnt(2)
	v_fma_f64 v[32:33], -v[30:31], v[76:77], v[32:33]
	v_mul_f64 v[32:33], v[78:79], v[32:33]
	ds_read_b128 v[76:79], v62 offset:3168
	s_waitcnt lgkmcnt(2)
	v_fma_f64 v[26:27], -v[42:43], v[64:65], v[26:27]
	v_fma_f64 v[26:27], -v[44:45], v[66:67], v[26:27]
	ds_read_b128 v[64:67], v62 offset:3184
	s_waitcnt lgkmcnt(2)
	v_fma_f64 v[26:27], -v[46:47], v[68:69], v[26:27]
	v_fma_f64 v[26:27], -v[48:49], v[70:71], v[26:27]
	;; [unrolled: 4-line block ×5, first 2 shown]
	s_waitcnt lgkmcnt(1)
	v_fma_f64 v[26:27], -v[34:35], v[76:77], v[26:27]
	v_fma_f64 v[26:27], -v[36:37], v[78:79], v[26:27]
	s_waitcnt lgkmcnt(0)
	v_fma_f64 v[26:27], -v[30:31], v[64:65], v[26:27]
	v_fma_f64 v[26:27], -v[32:33], v[66:67], v[26:27]
	ds_read_b128 v[64:67], v62 offset:3360
	ds_write2_b64 v58, v[30:31], v[32:33] offset0:96 offset1:124
	v_mul_f64 v[26:27], v[74:75], v[26:27]
	ds_read_b128 v[68:71], v62 offset:3376
	ds_read_b128 v[72:75], v62 offset:3392
	;; [unrolled: 1-line block ×3, first 2 shown]
	s_movk_i32 s12, 0xc00
	s_waitcnt lgkmcnt(4)
	v_fma_f64 v[28:29], -v[42:43], v[64:65], v[28:29]
	v_fma_f64 v[28:29], -v[44:45], v[66:67], v[28:29]
	s_waitcnt lgkmcnt(2)
	v_fma_f64 v[28:29], -v[46:47], v[68:69], v[28:29]
	v_fma_f64 v[28:29], -v[48:49], v[70:71], v[28:29]
	ds_read_b128 v[64:67], v62 offset:3424
	ds_read_b128 v[68:71], v62 offset:3440
	s_waitcnt lgkmcnt(3)
	v_fma_f64 v[28:29], -v[50:51], v[72:73], v[28:29]
	v_fma_f64 v[28:29], -v[52:53], v[74:75], v[28:29]
	s_waitcnt lgkmcnt(2)
	v_fma_f64 v[28:29], -v[54:55], v[76:77], v[28:29]
	v_fma_f64 v[28:29], -v[56:57], v[78:79], v[28:29]
	ds_read_b128 v[72:75], v62 offset:3456
	s_waitcnt lgkmcnt(2)
	v_fma_f64 v[28:29], -v[38:39], v[64:65], v[28:29]
	v_fma_f64 v[28:29], -v[40:41], v[66:67], v[28:29]
	ds_read_b128 v[64:67], v62 offset:3472
	s_waitcnt lgkmcnt(2)
	v_fma_f64 v[28:29], -v[34:35], v[68:69], v[28:29]
	v_fma_f64 v[28:29], -v[36:37], v[70:71], v[28:29]
	s_waitcnt lgkmcnt(1)
	v_fma_f64 v[28:29], -v[30:31], v[72:73], v[28:29]
	v_fma_f64 v[28:29], -v[32:33], v[74:75], v[28:29]
	ds_read_b128 v[68:71], v62 offset:3584
	s_waitcnt lgkmcnt(1)
	v_fma_f64 v[28:29], -v[26:27], v[64:65], v[28:29]
	v_mul_f64 v[28:29], v[66:67], v[28:29]
	ds_read_b128 v[64:67], v62 offset:3600
	ds_read_b128 v[72:75], v62 offset:3616
	s_waitcnt lgkmcnt(2)
	v_fma_f64 v[22:23], -v[42:43], v[68:69], v[22:23]
	v_fma_f64 v[22:23], -v[44:45], v[70:71], v[22:23]
	ds_read_b128 v[68:71], v62 offset:3632
	s_waitcnt lgkmcnt(2)
	v_fma_f64 v[22:23], -v[46:47], v[64:65], v[22:23]
	v_fma_f64 v[22:23], -v[48:49], v[66:67], v[22:23]
	;; [unrolled: 4-line block ×6, first 2 shown]
	s_waitcnt lgkmcnt(1)
	v_fma_f64 v[22:23], -v[30:31], v[68:69], v[22:23]
	v_fma_f64 v[22:23], -v[32:33], v[70:71], v[22:23]
	s_waitcnt lgkmcnt(0)
	v_fma_f64 v[22:23], -v[26:27], v[64:65], v[22:23]
	v_fma_f64 v[22:23], -v[28:29], v[66:67], v[22:23]
	ds_read_b128 v[64:67], v62 offset:3808
	ds_write2_b64 v58, v[26:27], v[28:29] offset0:152 offset1:180
	v_add_u32_e64 v59, s12, 0
	ds_read2_b64 v[72:75], v59 offset0:80 offset1:138
	ds_read_b128 v[68:71], v62 offset:3824
	ds_read_b128 v[76:79], v62 offset:3840
	;; [unrolled: 1-line block ×3, first 2 shown]
	s_waitcnt lgkmcnt(5)
	v_fma_f64 v[24:25], -v[42:43], v[64:65], v[24:25]
	v_fma_f64 v[24:25], -v[44:45], v[66:67], v[24:25]
	s_waitcnt lgkmcnt(2)
	v_fma_f64 v[24:25], -v[46:47], v[68:69], v[24:25]
	v_fma_f64 v[24:25], -v[48:49], v[70:71], v[24:25]
	ds_read_b128 v[64:67], v62 offset:3872
	ds_read_b128 v[68:71], v62 offset:3888
	s_waitcnt lgkmcnt(3)
	v_fma_f64 v[24:25], -v[50:51], v[76:77], v[24:25]
	v_fma_f64 v[24:25], -v[52:53], v[78:79], v[24:25]
	s_waitcnt lgkmcnt(2)
	v_fma_f64 v[24:25], -v[54:55], v[80:81], v[24:25]
	v_fma_f64 v[24:25], -v[56:57], v[82:83], v[24:25]
	ds_read_b128 v[76:79], v62 offset:3904
	s_waitcnt lgkmcnt(2)
	v_fma_f64 v[24:25], -v[38:39], v[64:65], v[24:25]
	v_fma_f64 v[24:25], -v[40:41], v[66:67], v[24:25]
	ds_read_b128 v[64:67], v62 offset:3920
	;; [unrolled: 4-line block ×3, first 2 shown]
	s_waitcnt lgkmcnt(2)
	v_fma_f64 v[24:25], -v[30:31], v[76:77], v[24:25]
	v_fma_f64 v[24:25], -v[32:33], v[78:79], v[24:25]
	s_waitcnt lgkmcnt(1)
	v_fma_f64 v[24:25], -v[26:27], v[64:65], v[24:25]
	v_mul_f64 v[22:23], v[72:73], v[22:23]
	v_fma_f64 v[24:25], -v[28:29], v[66:67], v[24:25]
	ds_read_b128 v[64:67], v62 offset:4032
	s_waitcnt lgkmcnt(1)
	v_fma_f64 v[24:25], -v[22:23], v[68:69], v[24:25]
	v_mul_f64 v[24:25], v[70:71], v[24:25]
	ds_read_b128 v[68:71], v62 offset:4048
	ds_write2_b64 v58, v[22:23], v[24:25] offset0:208 offset1:236
	ds_read_b128 v[58:61], v62 offset:4064
	s_waitcnt lgkmcnt(3)
	v_fma_f64 v[18:19], -v[42:43], v[64:65], v[18:19]
	v_fma_f64 v[18:19], -v[44:45], v[66:67], v[18:19]
	ds_read_b128 v[64:67], v62 offset:4080
	s_waitcnt lgkmcnt(3)
	v_fma_f64 v[18:19], -v[46:47], v[68:69], v[18:19]
	v_fma_f64 v[18:19], -v[48:49], v[70:71], v[18:19]
	ds_read_b128 v[68:71], v62 offset:4096
	s_waitcnt lgkmcnt(2)
	v_fma_f64 v[18:19], -v[50:51], v[58:59], v[18:19]
	v_fma_f64 v[18:19], -v[52:53], v[60:61], v[18:19]
	ds_read_b128 v[58:61], v62 offset:4112
	s_waitcnt lgkmcnt(2)
	v_fma_f64 v[18:19], -v[54:55], v[64:65], v[18:19]
	v_fma_f64 v[18:19], -v[56:57], v[66:67], v[18:19]
	ds_read_b128 v[64:67], v62 offset:4128
	s_waitcnt lgkmcnt(2)
	v_fma_f64 v[18:19], -v[38:39], v[68:69], v[18:19]
	v_fma_f64 v[18:19], -v[40:41], v[70:71], v[18:19]
	ds_read_b128 v[68:71], v62 offset:4144
	s_waitcnt lgkmcnt(2)
	v_fma_f64 v[18:19], -v[34:35], v[58:59], v[18:19]
	v_fma_f64 v[18:19], -v[36:37], v[60:61], v[18:19]
	ds_read_b128 v[58:61], v62 offset:4160
	s_waitcnt lgkmcnt(2)
	v_fma_f64 v[18:19], -v[30:31], v[64:65], v[18:19]
	v_fma_f64 v[18:19], -v[32:33], v[66:67], v[18:19]
	s_waitcnt lgkmcnt(1)
	v_fma_f64 v[18:19], -v[26:27], v[68:69], v[18:19]
	ds_read_b128 v[64:67], v62 offset:4256
	v_fma_f64 v[18:19], -v[28:29], v[70:71], v[18:19]
	s_waitcnt lgkmcnt(1)
	v_fma_f64 v[18:19], -v[22:23], v[58:59], v[18:19]
	v_fma_f64 v[18:19], -v[24:25], v[60:61], v[18:19]
	v_mul_f64 v[58:59], v[74:75], v[18:19]
	ds_read_b128 v[68:71], v62 offset:4272
	ds_read_b128 v[72:75], v62 offset:4288
	;; [unrolled: 1-line block ×3, first 2 shown]
	s_waitcnt lgkmcnt(3)
	v_fma_f64 v[18:19], -v[42:43], v[64:65], v[20:21]
	v_fma_f64 v[18:19], -v[44:45], v[66:67], v[18:19]
	s_waitcnt lgkmcnt(2)
	v_fma_f64 v[18:19], -v[46:47], v[68:69], v[18:19]
	v_fma_f64 v[18:19], -v[48:49], v[70:71], v[18:19]
	s_waitcnt lgkmcnt(1)
	v_fma_f64 v[60:61], -v[50:51], v[72:73], v[18:19]
	ds_read_b128 v[18:21], v62 offset:4320
	ds_read_b128 v[64:67], v62 offset:4336
	v_fma_f64 v[60:61], -v[52:53], v[74:75], v[60:61]
	s_waitcnt lgkmcnt(2)
	v_fma_f64 v[60:61], -v[54:55], v[76:77], v[60:61]
	v_fma_f64 v[60:61], -v[56:57], v[78:79], v[60:61]
	s_waitcnt lgkmcnt(1)
	v_fma_f64 v[18:19], -v[38:39], v[18:19], v[60:61]
	ds_read_b128 v[68:71], v62 offset:4352
	v_fma_f64 v[18:19], -v[40:41], v[20:21], v[18:19]
	s_waitcnt lgkmcnt(1)
	v_fma_f64 v[18:19], -v[34:35], v[64:65], v[18:19]
	v_fma_f64 v[60:61], -v[36:37], v[66:67], v[18:19]
	ds_read_b128 v[18:21], v62 offset:4368
	ds_read_b128 v[64:67], v62 offset:4384
	s_waitcnt lgkmcnt(2)
	v_fma_f64 v[60:61], -v[30:31], v[68:69], v[60:61]
	v_fma_f64 v[60:61], -v[32:33], v[70:71], v[60:61]
	ds_read_b128 v[68:71], v62 offset:4400
	s_waitcnt lgkmcnt(2)
	v_fma_f64 v[18:19], -v[26:27], v[18:19], v[60:61]
	v_fma_f64 v[18:19], -v[28:29], v[20:21], v[18:19]
	s_waitcnt lgkmcnt(1)
	v_fma_f64 v[18:19], -v[22:23], v[64:65], v[18:19]
	v_fma_f64 v[18:19], -v[24:25], v[66:67], v[18:19]
	s_waitcnt lgkmcnt(0)
	v_fma_f64 v[18:19], -v[58:59], v[68:69], v[18:19]
	v_mul_f64 v[60:61], v[70:71], v[18:19]
	ds_read_b128 v[18:21], v62 offset:4480
	ds_write2_b64 v63, v[58:59], v[60:61] offset0:8 offset1:36
	ds_read_b128 v[64:67], v62 offset:4496
	ds_read_b128 v[68:71], v62 offset:4512
	;; [unrolled: 1-line block ×3, first 2 shown]
	s_movk_i32 s12, 0x1000
	s_waitcnt lgkmcnt(4)
	v_fma_f64 v[14:15], -v[42:43], v[18:19], v[14:15]
	v_fma_f64 v[14:15], -v[44:45], v[20:21], v[14:15]
	s_waitcnt lgkmcnt(2)
	v_fma_f64 v[14:15], -v[46:47], v[64:65], v[14:15]
	v_fma_f64 v[14:15], -v[48:49], v[66:67], v[14:15]
	ds_read_b128 v[18:21], v62 offset:4544
	ds_read_b128 v[64:67], v62 offset:4560
	s_waitcnt lgkmcnt(3)
	v_fma_f64 v[14:15], -v[50:51], v[68:69], v[14:15]
	v_fma_f64 v[14:15], -v[52:53], v[70:71], v[14:15]
	s_waitcnt lgkmcnt(2)
	v_fma_f64 v[14:15], -v[54:55], v[72:73], v[14:15]
	v_fma_f64 v[14:15], -v[56:57], v[74:75], v[14:15]
	ds_read_b128 v[68:71], v62 offset:4576
	s_waitcnt lgkmcnt(2)
	v_fma_f64 v[14:15], -v[38:39], v[18:19], v[14:15]
	v_fma_f64 v[14:15], -v[40:41], v[20:21], v[14:15]
	ds_read_b128 v[18:21], v62 offset:4592
	s_waitcnt lgkmcnt(2)
	v_fma_f64 v[14:15], -v[34:35], v[64:65], v[14:15]
	v_fma_f64 v[14:15], -v[36:37], v[66:67], v[14:15]
	ds_read_b128 v[64:67], v62 offset:4608
	s_waitcnt lgkmcnt(2)
	v_fma_f64 v[14:15], -v[30:31], v[68:69], v[14:15]
	v_fma_f64 v[14:15], -v[32:33], v[70:71], v[14:15]
	ds_read_b128 v[68:71], v62 offset:4624
	s_waitcnt lgkmcnt(2)
	v_fma_f64 v[14:15], -v[26:27], v[18:19], v[14:15]
	v_fma_f64 v[14:15], -v[28:29], v[20:21], v[14:15]
	s_waitcnt lgkmcnt(1)
	v_fma_f64 v[14:15], -v[22:23], v[64:65], v[14:15]
	v_fma_f64 v[14:15], -v[24:25], v[66:67], v[14:15]
	s_waitcnt lgkmcnt(0)
	v_fma_f64 v[14:15], -v[58:59], v[68:69], v[14:15]
	ds_read_b128 v[66:69], v62 offset:4704
	v_add_u32_e64 v64, s12, 0
	ds_read2_b64 v[18:21], v64 offset0:68 offset1:126
	v_fma_f64 v[14:15], -v[60:61], v[70:71], v[14:15]
	ds_read_b128 v[70:73], v62 offset:4720
	ds_read_b128 v[74:77], v62 offset:4736
	;; [unrolled: 1-line block ×3, first 2 shown]
	s_waitcnt lgkmcnt(4)
	v_fma_f64 v[16:17], -v[42:43], v[66:67], v[16:17]
	v_fma_f64 v[16:17], -v[44:45], v[68:69], v[16:17]
	s_waitcnt lgkmcnt(2)
	v_fma_f64 v[16:17], -v[46:47], v[70:71], v[16:17]
	v_fma_f64 v[16:17], -v[48:49], v[72:73], v[16:17]
	v_mul_f64 v[14:15], v[18:19], v[14:15]
	s_waitcnt lgkmcnt(1)
	v_fma_f64 v[66:67], -v[50:51], v[74:75], v[16:17]
	ds_read_b128 v[16:19], v62 offset:4768
	v_fma_f64 v[66:67], -v[52:53], v[76:77], v[66:67]
	s_waitcnt lgkmcnt(1)
	v_fma_f64 v[70:71], -v[54:55], v[78:79], v[66:67]
	ds_read_b128 v[66:69], v62 offset:4784
	v_fma_f64 v[70:71], -v[56:57], v[80:81], v[70:71]
	;; [unrolled: 4-line block ×7, first 2 shown]
	s_waitcnt lgkmcnt(1)
	v_fma_f64 v[66:67], -v[58:59], v[70:71], v[66:67]
	v_fma_f64 v[70:71], -v[60:61], v[72:73], v[66:67]
	ds_read_b128 v[66:69], v62 offset:4928
	s_waitcnt lgkmcnt(1)
	v_fma_f64 v[16:17], -v[14:15], v[16:17], v[70:71]
	ds_read_b128 v[70:73], v62 offset:4944
	ds_read_b128 v[74:77], v62 offset:4960
	v_mul_f64 v[16:17], v[18:19], v[16:17]
	s_waitcnt lgkmcnt(2)
	v_fma_f64 v[10:11], -v[42:43], v[66:67], v[10:11]
	v_fma_f64 v[10:11], -v[44:45], v[68:69], v[10:11]
	ds_read_b128 v[66:69], v62 offset:4976
	s_waitcnt lgkmcnt(2)
	v_fma_f64 v[10:11], -v[46:47], v[70:71], v[10:11]
	v_fma_f64 v[10:11], -v[48:49], v[72:73], v[10:11]
	ds_read_b128 v[70:73], v62 offset:4992
	;; [unrolled: 4-line block ×4, first 2 shown]
	s_waitcnt lgkmcnt(2)
	v_fma_f64 v[10:11], -v[38:39], v[70:71], v[10:11]
	v_fma_f64 v[10:11], -v[40:41], v[72:73], v[10:11]
	s_waitcnt lgkmcnt(1)
	v_fma_f64 v[10:11], -v[34:35], v[74:75], v[10:11]
	ds_read_b128 v[70:73], v62 offset:5040
	v_fma_f64 v[10:11], -v[36:37], v[76:77], v[10:11]
	s_waitcnt lgkmcnt(1)
	v_fma_f64 v[10:11], -v[30:31], v[66:67], v[10:11]
	v_fma_f64 v[10:11], -v[32:33], v[68:69], v[10:11]
	ds_read_b128 v[66:69], v62 offset:5056
	ds_read_b128 v[74:77], v62 offset:5072
	s_waitcnt lgkmcnt(2)
	v_fma_f64 v[10:11], -v[26:27], v[70:71], v[10:11]
	v_fma_f64 v[10:11], -v[28:29], v[72:73], v[10:11]
	ds_read_b128 v[70:73], v62 offset:5088
	s_waitcnt lgkmcnt(2)
	v_fma_f64 v[10:11], -v[22:23], v[66:67], v[10:11]
	v_fma_f64 v[10:11], -v[24:25], v[68:69], v[10:11]
	;; [unrolled: 4-line block ×3, first 2 shown]
	ds_write2_b64 v63, v[14:15], v[16:17] offset0:64 offset1:92
	s_waitcnt lgkmcnt(2)
	v_fma_f64 v[10:11], -v[14:15], v[70:71], v[10:11]
	v_fma_f64 v[10:11], -v[16:17], v[72:73], v[10:11]
	ds_read_b128 v[70:73], v62 offset:5168
	ds_read_b128 v[74:77], v62 offset:5184
	;; [unrolled: 1-line block ×3, first 2 shown]
	v_mul_f64 v[18:19], v[20:21], v[10:11]
	s_waitcnt lgkmcnt(4)
	v_fma_f64 v[10:11], -v[42:43], v[66:67], v[12:13]
	v_fma_f64 v[10:11], -v[44:45], v[68:69], v[10:11]
	s_waitcnt lgkmcnt(2)
	v_fma_f64 v[10:11], -v[46:47], v[70:71], v[10:11]
	v_fma_f64 v[10:11], -v[48:49], v[72:73], v[10:11]
	s_waitcnt lgkmcnt(1)
	v_fma_f64 v[20:21], -v[50:51], v[74:75], v[10:11]
	ds_read_b128 v[10:13], v62 offset:5216
	ds_read_b128 v[66:69], v62 offset:5232
	v_fma_f64 v[20:21], -v[52:53], v[76:77], v[20:21]
	s_waitcnt lgkmcnt(2)
	v_fma_f64 v[20:21], -v[54:55], v[78:79], v[20:21]
	v_fma_f64 v[20:21], -v[56:57], v[80:81], v[20:21]
	s_waitcnt lgkmcnt(1)
	v_fma_f64 v[10:11], -v[38:39], v[10:11], v[20:21]
	ds_read_b128 v[70:73], v62 offset:5248
	v_fma_f64 v[10:11], -v[40:41], v[12:13], v[10:11]
	s_waitcnt lgkmcnt(1)
	v_fma_f64 v[20:21], -v[34:35], v[66:67], v[10:11]
	ds_read_b128 v[10:13], v62 offset:5264
	;; [unrolled: 4-line block ×3, first 2 shown]
	v_fma_f64 v[20:21], -v[32:33], v[72:73], v[20:21]
	s_waitcnt lgkmcnt(1)
	v_fma_f64 v[10:11], -v[26:27], v[10:11], v[20:21]
	v_fma_f64 v[20:21], -v[28:29], v[12:13], v[10:11]
	ds_read_b128 v[10:13], v62 offset:5296
	ds_read_b128 v[70:73], v62 offset:5312
	s_waitcnt lgkmcnt(2)
	v_fma_f64 v[20:21], -v[22:23], v[66:67], v[20:21]
	v_fma_f64 v[20:21], -v[24:25], v[68:69], v[20:21]
	ds_read_b128 v[66:69], v62 offset:5328
	s_waitcnt lgkmcnt(2)
	v_fma_f64 v[10:11], -v[58:59], v[10:11], v[20:21]
	v_fma_f64 v[10:11], -v[60:61], v[12:13], v[10:11]
	s_waitcnt lgkmcnt(1)
	v_fma_f64 v[10:11], -v[14:15], v[70:71], v[10:11]
	v_fma_f64 v[10:11], -v[16:17], v[72:73], v[10:11]
	s_waitcnt lgkmcnt(0)
	v_fma_f64 v[10:11], -v[18:19], v[66:67], v[10:11]
	v_mul_f64 v[20:21], v[68:69], v[10:11]
	ds_read_b128 v[10:13], v62 offset:5376
	ds_write2_b64 v63, v[18:19], v[20:21] offset0:120 offset1:148
	ds_read_b128 v[66:69], v62 offset:5392
	ds_read_b128 v[70:73], v62 offset:5408
	;; [unrolled: 1-line block ×3, first 2 shown]
	s_mov_b32 s12, 28
	s_waitcnt lgkmcnt(4)
	v_fma_f64 v[6:7], -v[42:43], v[10:11], v[6:7]
	v_fma_f64 v[6:7], -v[44:45], v[12:13], v[6:7]
	s_waitcnt lgkmcnt(2)
	v_fma_f64 v[6:7], -v[46:47], v[66:67], v[6:7]
	v_fma_f64 v[6:7], -v[48:49], v[68:69], v[6:7]
	ds_read_b128 v[10:13], v62 offset:5440
	ds_read_b128 v[66:69], v62 offset:5456
	s_waitcnt lgkmcnt(3)
	v_fma_f64 v[6:7], -v[50:51], v[70:71], v[6:7]
	v_fma_f64 v[6:7], -v[52:53], v[72:73], v[6:7]
	s_waitcnt lgkmcnt(2)
	v_fma_f64 v[6:7], -v[54:55], v[74:75], v[6:7]
	v_fma_f64 v[6:7], -v[56:57], v[76:77], v[6:7]
	ds_read_b128 v[70:73], v62 offset:5472
	s_waitcnt lgkmcnt(2)
	v_fma_f64 v[6:7], -v[38:39], v[10:11], v[6:7]
	v_fma_f64 v[6:7], -v[40:41], v[12:13], v[6:7]
	ds_read_b128 v[10:13], v62 offset:5488
	;; [unrolled: 4-line block ×6, first 2 shown]
	s_waitcnt lgkmcnt(2)
	v_fma_f64 v[6:7], -v[58:59], v[70:71], v[6:7]
	v_fma_f64 v[6:7], -v[60:61], v[72:73], v[6:7]
	s_waitcnt lgkmcnt(1)
	v_fma_f64 v[6:7], -v[14:15], v[74:75], v[6:7]
	v_fma_f64 v[6:7], -v[16:17], v[76:77], v[6:7]
	ds_read2_b64 v[10:13], v64 offset0:184 offset1:242
	s_waitcnt lgkmcnt(1)
	v_fma_f64 v[6:7], -v[18:19], v[66:67], v[6:7]
	ds_read_b128 v[64:67], v62 offset:5600
	v_fma_f64 v[6:7], -v[20:21], v[68:69], v[6:7]
	ds_read_b128 v[68:71], v62 offset:5616
	ds_read_b128 v[72:75], v62 offset:5632
	;; [unrolled: 1-line block ×3, first 2 shown]
	s_waitcnt lgkmcnt(4)
	v_mul_f64 v[6:7], v[10:11], v[6:7]
	s_waitcnt lgkmcnt(3)
	v_fma_f64 v[8:9], -v[42:43], v[64:65], v[8:9]
	v_fma_f64 v[8:9], -v[44:45], v[66:67], v[8:9]
	s_waitcnt lgkmcnt(2)
	v_fma_f64 v[8:9], -v[46:47], v[68:69], v[8:9]
	v_fma_f64 v[8:9], -v[48:49], v[70:71], v[8:9]
	s_waitcnt lgkmcnt(1)
	v_fma_f64 v[64:65], -v[50:51], v[72:73], v[8:9]
	ds_read_b128 v[8:11], v62 offset:5664
	v_fma_f64 v[64:65], -v[52:53], v[74:75], v[64:65]
	s_waitcnt lgkmcnt(1)
	v_fma_f64 v[68:69], -v[54:55], v[76:77], v[64:65]
	ds_read_b128 v[64:67], v62 offset:5680
	;; [unrolled: 4-line block ×9, first 2 shown]
	v_fma_f64 v[8:9], -v[16:17], v[10:11], v[8:9]
	s_waitcnt lgkmcnt(1)
	v_fma_f64 v[8:9], -v[18:19], v[64:65], v[8:9]
	v_fma_f64 v[8:9], -v[20:21], v[66:67], v[8:9]
	ds_read_b128 v[64:67], v62 offset:5824
	s_waitcnt lgkmcnt(1)
	v_fma_f64 v[8:9], -v[6:7], v[68:69], v[8:9]
	v_mul_f64 v[8:9], v[70:71], v[8:9]
	ds_read_b128 v[68:71], v62 offset:5840
	ds_read_b128 v[72:75], v62 offset:5856
	s_waitcnt lgkmcnt(2)
	v_fma_f64 v[2:3], -v[42:43], v[64:65], v[2:3]
	v_fma_f64 v[2:3], -v[44:45], v[66:67], v[2:3]
	ds_read_b128 v[64:67], v62 offset:5872
	s_waitcnt lgkmcnt(2)
	v_fma_f64 v[2:3], -v[46:47], v[68:69], v[2:3]
	v_fma_f64 v[2:3], -v[48:49], v[70:71], v[2:3]
	ds_read_b128 v[68:71], v62 offset:5888
	s_waitcnt lgkmcnt(2)
	v_fma_f64 v[2:3], -v[50:51], v[72:73], v[2:3]
	v_fma_f64 v[2:3], -v[52:53], v[74:75], v[2:3]
	ds_read_b128 v[72:75], v62 offset:5904
	s_waitcnt lgkmcnt(2)
	v_fma_f64 v[2:3], -v[54:55], v[64:65], v[2:3]
	v_fma_f64 v[2:3], -v[56:57], v[66:67], v[2:3]
	ds_read_b128 v[64:67], v62 offset:5920
	s_waitcnt lgkmcnt(2)
	v_fma_f64 v[2:3], -v[38:39], v[68:69], v[2:3]
	v_fma_f64 v[2:3], -v[40:41], v[70:71], v[2:3]
	ds_read_b128 v[68:71], v62 offset:5936
	s_waitcnt lgkmcnt(2)
	v_fma_f64 v[2:3], -v[34:35], v[72:73], v[2:3]
	v_fma_f64 v[2:3], -v[36:37], v[74:75], v[2:3]
	ds_read_b128 v[72:75], v62 offset:5952
	s_waitcnt lgkmcnt(2)
	v_fma_f64 v[2:3], -v[30:31], v[64:65], v[2:3]
	v_fma_f64 v[2:3], -v[32:33], v[66:67], v[2:3]
	ds_read_b128 v[64:67], v62 offset:5968
	s_waitcnt lgkmcnt(2)
	v_fma_f64 v[2:3], -v[26:27], v[68:69], v[2:3]
	v_fma_f64 v[2:3], -v[28:29], v[70:71], v[2:3]
	ds_read_b128 v[68:71], v62 offset:5984
	s_waitcnt lgkmcnt(2)
	v_fma_f64 v[2:3], -v[22:23], v[72:73], v[2:3]
	v_fma_f64 v[2:3], -v[24:25], v[74:75], v[2:3]
	ds_read_b128 v[72:75], v62 offset:6000
	s_waitcnt lgkmcnt(2)
	v_fma_f64 v[2:3], -v[58:59], v[64:65], v[2:3]
	v_fma_f64 v[2:3], -v[60:61], v[66:67], v[2:3]
	ds_read_b128 v[64:67], v62 offset:6016
	s_waitcnt lgkmcnt(2)
	v_fma_f64 v[2:3], -v[14:15], v[68:69], v[2:3]
	v_fma_f64 v[2:3], -v[16:17], v[70:71], v[2:3]
	s_waitcnt lgkmcnt(1)
	v_fma_f64 v[2:3], -v[18:19], v[72:73], v[2:3]
	v_fma_f64 v[2:3], -v[20:21], v[74:75], v[2:3]
	s_waitcnt lgkmcnt(0)
	v_fma_f64 v[2:3], -v[6:7], v[64:65], v[2:3]
	v_fma_f64 v[2:3], -v[8:9], v[66:67], v[2:3]
	ds_read_b128 v[64:67], v62 offset:6048
	ds_write2_b64 v63, v[6:7], v[8:9] offset0:176 offset1:204
	v_mul_f64 v[76:77], v[12:13], v[2:3]
	ds_read_b128 v[10:13], v62 offset:6064
	ds_read_b128 v[68:71], v62 offset:6080
	;; [unrolled: 1-line block ×3, first 2 shown]
	s_waitcnt lgkmcnt(4)
	v_fma_f64 v[2:3], -v[42:43], v[64:65], v[4:5]
	v_fma_f64 v[2:3], -v[44:45], v[66:67], v[2:3]
	s_waitcnt lgkmcnt(2)
	v_fma_f64 v[2:3], -v[46:47], v[10:11], v[2:3]
	v_fma_f64 v[2:3], -v[48:49], v[12:13], v[2:3]
	s_waitcnt lgkmcnt(1)
	v_fma_f64 v[10:11], -v[50:51], v[68:69], v[2:3]
	ds_read_b128 v[2:5], v62 offset:6112
	v_fma_f64 v[10:11], -v[52:53], v[70:71], v[10:11]
	s_waitcnt lgkmcnt(1)
	v_fma_f64 v[42:43], -v[54:55], v[72:73], v[10:11]
	ds_read_b128 v[10:13], v62 offset:6128
	;; [unrolled: 4-line block ×7, first 2 shown]
	v_fma_f64 v[10:11], -v[24:25], v[12:13], v[10:11]
	s_waitcnt lgkmcnt(1)
	v_fma_f64 v[10:11], -v[58:59], v[30:31], v[10:11]
	v_fma_f64 v[22:23], -v[60:61], v[32:33], v[10:11]
	ds_read_b128 v[10:13], v62 offset:6224
	s_waitcnt lgkmcnt(1)
	v_fma_f64 v[2:3], -v[14:15], v[2:3], v[22:23]
	ds_read_b128 v[22:25], v62 offset:6240
	v_fma_f64 v[14:15], -v[16:17], v[4:5], v[2:3]
	ds_read_b128 v[2:5], v62 offset:6256
	s_waitcnt lgkmcnt(2)
	v_fma_f64 v[10:11], -v[18:19], v[10:11], v[14:15]
	v_fma_f64 v[10:11], -v[20:21], v[12:13], v[10:11]
	s_waitcnt lgkmcnt(1)
	v_fma_f64 v[6:7], -v[6:7], v[22:23], v[10:11]
	v_fma_f64 v[6:7], -v[8:9], v[24:25], v[6:7]
	s_waitcnt lgkmcnt(0)
	v_fma_f64 v[2:3], -v[76:77], v[2:3], v[6:7]
	v_mul_f64 v[2:3], v[4:5], v[2:3]
	ds_write2_b64 v1, v[76:77], v[2:3] offset0:104 offset1:132
.LBB97_20:
	s_cmp_lt_i32 s12, s30
	s_cbranch_scc0 .LBB97_37
; %bb.21:
	s_add_i32 s13, s12, 23
	s_cmp_ge_u32 s13, s30
	s_cbranch_scc1 .LBB97_26
; %bb.22:
	s_mul_i32 s16, s12, 28
	v_add_lshl_u32 v1, s16, v0, 3
	v_add_u32_e32 v2, 0x1800, v1
	ds_read2_b64 v[42:45], v2 offset0:16 offset1:44
	ds_read2_b64 v[38:41], v2 offset0:72 offset1:100
	;; [unrolled: 1-line block ×4, first 2 shown]
	v_add_u32_e32 v2, 0x1c00, v1
	ds_read2_b64 v[26:29], v2 offset0:112 offset1:140
	v_add_u32_e32 v2, 0x2000, v1
	ds_read2_b64 v[22:25], v2 offset0:40 offset1:68
	ds_read2_b64 v[18:21], v2 offset0:96 offset1:124
	;; [unrolled: 1-line block ×4, first 2 shown]
	v_add_u32_e32 v2, 0x2800, v1
	s_add_i32 s17, s16, 0x284
	ds_read2_b64 v[6:9], v2 offset0:8 offset1:36
	ds_read2_b64 v[2:5], v2 offset0:64 offset1:92
	v_add_lshl_u32 v46, s17, v0, 3
	ds_read_b64 v[56:57], v1 offset:11200
	ds_read_b64 v[54:55], v46 offset:6272
	s_andn2_b64 vcc, exec, s[8:9]
	s_cbranch_vccnz .LBB97_25
; %bb.23:
	v_mov_b32_e32 v46, 0x1880
	s_mul_i32 s8, s12, 0xe0
	v_lshl_add_u32 v46, v0, 3, v46
	s_mov_b32 s9, 0
.LBB97_24:                              ; =>This Inner Loop Header: Depth=1
	v_mov_b32_e32 v47, s8
	v_add_u32_e32 v86, 0x800, v47
	v_add_u32_e32 v90, 0xc00, v47
	ds_read_b64 v[52:53], v46
	ds_read2_b64 v[48:51], v47 offset1:28
	ds_read2_b64 v[58:61], v47 offset0:56 offset1:84
	ds_read2_b64 v[62:65], v47 offset0:112 offset1:140
	;; [unrolled: 1-line block ×4, first 2 shown]
	v_add_u32_e32 v47, 0x1000, v47
	ds_read2_b64 v[74:77], v86 offset0:24 offset1:52
	ds_read2_b64 v[78:81], v86 offset0:80 offset1:108
	;; [unrolled: 1-line block ×7, first 2 shown]
	s_add_i32 s9, s9, 1
	s_add_i32 s8, s8, 8
	v_add_u32_e32 v46, 0xe0, v46
	s_cmp_lt_u32 s9, s12
	s_waitcnt lgkmcnt(11)
	v_fma_f64 v[42:43], -v[52:53], v[48:49], v[42:43]
	v_fma_f64 v[44:45], -v[52:53], v[50:51], v[44:45]
	s_waitcnt lgkmcnt(10)
	v_fma_f64 v[38:39], -v[52:53], v[58:59], v[38:39]
	v_fma_f64 v[40:41], -v[52:53], v[60:61], v[40:41]
	;; [unrolled: 3-line block ×12, first 2 shown]
	s_cbranch_scc1 .LBB97_24
.LBB97_25:
	s_mul_i32 s8, s12, 0xe8
	s_add_i32 s9, s16, 28
	v_add_u32_e32 v58, 0x1880, v1
	v_mov_b32_e32 v1, s8
	s_add_i32 s8, s9, s12
	s_lshl_b32 s8, s8, 3
	ds_read2_b64 v[46:49], v1 offset1:58
	v_mov_b32_e32 v50, s8
	ds_read_b128 v[50:53], v50
	v_add_u32_e32 v74, 0x800, v1
	s_mul_i32 s13, s13, 28
	s_waitcnt lgkmcnt(1)
	v_mul_f64 v[42:43], v[46:47], v[42:43]
	ds_write_b64 v58, v[42:43]
	s_waitcnt lgkmcnt(1)
	v_fma_f64 v[44:45], -v[42:43], v[50:51], v[44:45]
	v_add_lshl_u32 v50, s9, v0, 3
	s_add_i32 s9, s16, 56
	s_add_i32 s17, s9, s12
	v_mul_f64 v[44:45], v[52:53], v[44:45]
	s_lshl_b32 s17, s17, 3
	ds_write_b64 v50, v[44:45] offset:6272
	v_mov_b32_e32 v50, s17
	ds_read_b128 v[50:53], v50
	s_add_i32 s17, s16, 0x54
	s_add_i32 s18, s17, s12
	s_lshl_b32 s18, s18, 3
	v_mov_b32_e32 v62, s18
	ds_read_b128 v[58:61], v62
	s_waitcnt lgkmcnt(1)
	v_fma_f64 v[38:39], -v[42:43], v[50:51], v[38:39]
	v_fma_f64 v[38:39], -v[44:45], v[52:53], v[38:39]
	v_mul_f64 v[38:39], v[48:49], v[38:39]
	v_add_lshl_u32 v48, s9, v0, 3
	s_add_i32 s9, s16, 0x70
	s_add_i32 s18, s9, s12
	s_lshl_b32 s18, s18, 3
	s_waitcnt lgkmcnt(0)
	v_fma_f64 v[40:41], -v[42:43], v[58:59], v[40:41]
	v_mov_b32_e32 v52, s18
	ds_write_b64 v48, v[38:39] offset:6272
	v_fma_f64 v[40:41], -v[44:45], v[60:61], v[40:41]
	ds_read_b128 v[48:51], v62 offset:16
	ds_read_b128 v[58:61], v52
	ds_read_b64 v[46:47], v1 offset:5104
	s_add_i32 s8, s12, 24
	s_waitcnt lgkmcnt(2)
	v_fma_f64 v[40:41], -v[38:39], v[48:49], v[40:41]
	s_waitcnt lgkmcnt(1)
	v_fma_f64 v[34:35], -v[42:43], v[58:59], v[34:35]
	v_add_lshl_u32 v48, s17, v0, 3
	v_fma_f64 v[34:35], -v[44:45], v[60:61], v[34:35]
	s_add_i32 s17, s16, 0x8c
	ds_read_b128 v[58:61], v52 offset:16
	s_add_i32 s18, s17, s12
	v_mul_f64 v[40:41], v[50:51], v[40:41]
	s_lshl_b32 s18, s18, 3
	ds_write_b64 v48, v[40:41] offset:6272
	ds_read2_b64 v[48:51], v1 offset0:116 offset1:174
	v_mov_b32_e32 v52, s18
	ds_read_b128 v[62:65], v52
	s_waitcnt lgkmcnt(3)
	v_fma_f64 v[34:35], -v[38:39], v[58:59], v[34:35]
	v_fma_f64 v[34:35], -v[40:41], v[60:61], v[34:35]
	ds_read_b128 v[58:61], v52 offset:16
	s_waitcnt lgkmcnt(2)
	v_mul_f64 v[34:35], v[48:49], v[34:35]
	v_add_lshl_u32 v48, s9, v0, 3
	s_add_i32 s9, s16, 0xa8
	s_waitcnt lgkmcnt(1)
	v_fma_f64 v[36:37], -v[42:43], v[62:63], v[36:37]
	s_add_i32 s18, s9, s12
	v_fma_f64 v[36:37], -v[44:45], v[64:65], v[36:37]
	s_lshl_b32 s18, s18, 3
	ds_write_b64 v48, v[34:35] offset:6272
	s_waitcnt lgkmcnt(1)
	v_fma_f64 v[36:37], -v[38:39], v[58:59], v[36:37]
	v_mov_b32_e32 v48, s18
	v_fma_f64 v[36:37], -v[40:41], v[60:61], v[36:37]
	ds_read_b128 v[58:61], v48
	ds_read_b128 v[62:65], v48 offset:16
	ds_read_b128 v[66:69], v52 offset:32
	v_add_lshl_u32 v49, s17, v0, 3
	s_add_i32 s17, s16, 0xc4
	s_waitcnt lgkmcnt(2)
	v_fma_f64 v[30:31], -v[42:43], v[58:59], v[30:31]
	v_fma_f64 v[30:31], -v[44:45], v[60:61], v[30:31]
	ds_read_b128 v[58:61], v48 offset:32
	s_add_i32 s18, s17, s12
	s_waitcnt lgkmcnt(2)
	v_fma_f64 v[30:31], -v[38:39], v[62:63], v[30:31]
	s_lshl_b32 s18, s18, 3
	s_waitcnt lgkmcnt(1)
	v_fma_f64 v[36:37], -v[34:35], v[66:67], v[36:37]
	v_fma_f64 v[30:31], -v[40:41], v[64:65], v[30:31]
	v_mov_b32_e32 v52, s18
	v_mul_f64 v[36:37], v[68:69], v[36:37]
	ds_read_b128 v[62:65], v52
	s_waitcnt lgkmcnt(1)
	v_fma_f64 v[30:31], -v[34:35], v[58:59], v[30:31]
	v_fma_f64 v[30:31], -v[36:37], v[60:61], v[30:31]
	ds_write_b64 v49, v[36:37] offset:6272
	v_mul_f64 v[30:31], v[50:51], v[30:31]
	ds_read_b128 v[48:51], v52 offset:16
	ds_read_b128 v[58:61], v52 offset:32
	v_add_lshl_u32 v53, s9, v0, 3
	s_waitcnt lgkmcnt(3)
	v_fma_f64 v[32:33], -v[42:43], v[62:63], v[32:33]
	s_add_i32 s9, s16, 0xe0
	v_fma_f64 v[32:33], -v[44:45], v[64:65], v[32:33]
	s_add_i32 s18, s9, s12
	s_waitcnt lgkmcnt(1)
	v_fma_f64 v[32:33], -v[38:39], v[48:49], v[32:33]
	s_lshl_b32 s18, s18, 3
	v_fma_f64 v[32:33], -v[40:41], v[50:51], v[32:33]
	v_mov_b32_e32 v70, s18
	ds_read_b128 v[62:65], v70 offset:16
	s_waitcnt lgkmcnt(1)
	v_fma_f64 v[32:33], -v[34:35], v[58:59], v[32:33]
	ds_write_b64 v53, v[30:31] offset:6272
	v_fma_f64 v[32:33], -v[36:37], v[60:61], v[32:33]
	ds_read_b64 v[52:53], v52 offset:48
	ds_read_b128 v[58:61], v70
	ds_read2_b64 v[48:51], v1 offset0:203 offset1:232
	ds_read_b128 v[66:69], v70 offset:32
	v_add_u32_e32 v1, 0x1000, v1
	s_waitcnt lgkmcnt(3)
	v_fma_f64 v[32:33], -v[30:31], v[52:53], v[32:33]
	s_waitcnt lgkmcnt(2)
	v_fma_f64 v[26:27], -v[42:43], v[58:59], v[26:27]
	v_fma_f64 v[26:27], -v[44:45], v[60:61], v[26:27]
	ds_read_b128 v[58:61], v70 offset:48
	s_waitcnt lgkmcnt(2)
	v_mul_f64 v[32:33], v[48:49], v[32:33]
	v_add_lshl_u32 v48, s17, v0, 3
	v_fma_f64 v[26:27], -v[38:39], v[62:63], v[26:27]
	s_add_i32 s17, s16, 0xfc
	v_fma_f64 v[26:27], -v[40:41], v[64:65], v[26:27]
	s_add_i32 s18, s17, s12
	s_waitcnt lgkmcnt(1)
	v_fma_f64 v[26:27], -v[34:35], v[66:67], v[26:27]
	s_lshl_b32 s18, s18, 3
	v_fma_f64 v[26:27], -v[36:37], v[68:69], v[26:27]
	v_mov_b32_e32 v52, s18
	ds_read_b128 v[62:65], v52
	s_waitcnt lgkmcnt(1)
	v_fma_f64 v[26:27], -v[30:31], v[58:59], v[26:27]
	v_fma_f64 v[26:27], -v[32:33], v[60:61], v[26:27]
	ds_write_b64 v48, v[32:33] offset:6272
	v_mul_f64 v[26:27], v[50:51], v[26:27]
	ds_read_b128 v[48:51], v52 offset:16
	ds_read_b128 v[58:61], v52 offset:32
	s_waitcnt lgkmcnt(3)
	v_fma_f64 v[28:29], -v[42:43], v[62:63], v[28:29]
	v_add_lshl_u32 v53, s9, v0, 3
	v_fma_f64 v[28:29], -v[44:45], v[64:65], v[28:29]
	ds_write_b64 v53, v[26:27] offset:6272
	s_waitcnt lgkmcnt(2)
	v_fma_f64 v[28:29], -v[38:39], v[48:49], v[28:29]
	v_fma_f64 v[28:29], -v[40:41], v[50:51], v[28:29]
	ds_read_b128 v[48:51], v52 offset:48
	ds_read_b64 v[52:53], v52 offset:64
	s_waitcnt lgkmcnt(3)
	v_fma_f64 v[28:29], -v[34:35], v[58:59], v[28:29]
	v_fma_f64 v[28:29], -v[36:37], v[60:61], v[28:29]
	s_add_i32 s9, s16, 0x118
	s_waitcnt lgkmcnt(1)
	v_fma_f64 v[28:29], -v[30:31], v[48:49], v[28:29]
	v_fma_f64 v[28:29], -v[32:33], v[50:51], v[28:29]
	ds_read2_b64 v[62:65], v74 offset0:5 offset1:34
	s_waitcnt lgkmcnt(1)
	v_fma_f64 v[28:29], -v[26:27], v[52:53], v[28:29]
	v_add_lshl_u32 v52, s17, v0, 3
	s_add_i32 s17, s9, s12
	s_lshl_b32 s17, s17, 3
	v_mov_b32_e32 v53, s17
	ds_read_b128 v[48:51], v53
	s_waitcnt lgkmcnt(1)
	v_mul_f64 v[28:29], v[62:63], v[28:29]
	ds_write_b64 v52, v[28:29] offset:6272
	ds_read_b128 v[58:61], v53 offset:16
	ds_read_b128 v[66:69], v53 offset:32
	;; [unrolled: 1-line block ×3, first 2 shown]
	s_add_i32 s17, s16, 0x134
	s_waitcnt lgkmcnt(4)
	v_fma_f64 v[22:23], -v[42:43], v[48:49], v[22:23]
	v_fma_f64 v[22:23], -v[44:45], v[50:51], v[22:23]
	s_waitcnt lgkmcnt(2)
	v_fma_f64 v[22:23], -v[38:39], v[58:59], v[22:23]
	v_fma_f64 v[22:23], -v[40:41], v[60:61], v[22:23]
	ds_read_b128 v[48:51], v53 offset:64
	s_waitcnt lgkmcnt(2)
	v_fma_f64 v[22:23], -v[34:35], v[66:67], v[22:23]
	s_add_i32 s18, s17, s12
	v_fma_f64 v[22:23], -v[36:37], v[68:69], v[22:23]
	s_lshl_b32 s18, s18, 3
	s_waitcnt lgkmcnt(1)
	v_fma_f64 v[22:23], -v[30:31], v[70:71], v[22:23]
	v_mov_b32_e32 v52, s18
	v_fma_f64 v[22:23], -v[32:33], v[72:73], v[22:23]
	ds_read_b128 v[58:61], v52
	s_waitcnt lgkmcnt(1)
	v_fma_f64 v[22:23], -v[26:27], v[48:49], v[22:23]
	v_fma_f64 v[22:23], -v[28:29], v[50:51], v[22:23]
	ds_read_b128 v[48:51], v52 offset:16
	v_mul_f64 v[22:23], v[64:65], v[22:23]
	ds_read_b128 v[62:65], v52 offset:32
	s_waitcnt lgkmcnt(2)
	v_fma_f64 v[24:25], -v[42:43], v[58:59], v[24:25]
	v_fma_f64 v[24:25], -v[44:45], v[60:61], v[24:25]
	ds_read_b128 v[58:61], v52 offset:48
	s_waitcnt lgkmcnt(2)
	v_fma_f64 v[24:25], -v[38:39], v[48:49], v[24:25]
	v_add_lshl_u32 v53, s9, v0, 3
	v_fma_f64 v[24:25], -v[40:41], v[50:51], v[24:25]
	s_add_i32 s9, s16, 0x150
	s_waitcnt lgkmcnt(1)
	v_fma_f64 v[24:25], -v[34:35], v[62:63], v[24:25]
	s_add_i32 s18, s9, s12
	v_fma_f64 v[24:25], -v[36:37], v[64:65], v[24:25]
	s_lshl_b32 s18, s18, 3
	s_waitcnt lgkmcnt(0)
	v_fma_f64 v[24:25], -v[30:31], v[58:59], v[24:25]
	v_mov_b32_e32 v70, s18
	ds_read_b128 v[48:51], v52 offset:64
	v_fma_f64 v[24:25], -v[32:33], v[60:61], v[24:25]
	ds_read_b128 v[58:61], v70
	ds_write_b64 v53, v[22:23] offset:6272
	ds_read_b64 v[52:53], v52 offset:80
	ds_read_b128 v[62:65], v70 offset:16
	ds_read_b128 v[66:69], v70 offset:32
	s_waitcnt lgkmcnt(4)
	v_fma_f64 v[18:19], -v[42:43], v[58:59], v[18:19]
	v_fma_f64 v[18:19], -v[44:45], v[60:61], v[18:19]
	ds_read_b128 v[58:61], v70 offset:48
	v_fma_f64 v[24:25], -v[26:27], v[48:49], v[24:25]
	s_waitcnt lgkmcnt(2)
	v_fma_f64 v[18:19], -v[38:39], v[62:63], v[18:19]
	v_fma_f64 v[24:25], -v[28:29], v[50:51], v[24:25]
	ds_read2_b64 v[48:51], v74 offset0:63 offset1:92
	v_fma_f64 v[18:19], -v[40:41], v[64:65], v[18:19]
	s_waitcnt lgkmcnt(2)
	v_fma_f64 v[18:19], -v[34:35], v[66:67], v[18:19]
	ds_read_b128 v[62:65], v70 offset:64
	v_fma_f64 v[18:19], -v[36:37], v[68:69], v[18:19]
	s_waitcnt lgkmcnt(2)
	v_fma_f64 v[18:19], -v[30:31], v[58:59], v[18:19]
	v_fma_f64 v[24:25], -v[22:23], v[52:53], v[24:25]
	;; [unrolled: 1-line block ×3, first 2 shown]
	ds_read_b128 v[58:61], v70 offset:80
	s_waitcnt lgkmcnt(2)
	v_mul_f64 v[24:25], v[48:49], v[24:25]
	v_add_lshl_u32 v48, s17, v0, 3
	s_add_i32 s17, s16, 0x16c
	s_add_i32 s18, s17, s12
	s_waitcnt lgkmcnt(1)
	v_fma_f64 v[18:19], -v[26:27], v[62:63], v[18:19]
	s_lshl_b32 s18, s18, 3
	v_fma_f64 v[18:19], -v[28:29], v[64:65], v[18:19]
	v_mov_b32_e32 v52, s18
	ds_read_b128 v[62:65], v52
	s_waitcnt lgkmcnt(1)
	v_fma_f64 v[18:19], -v[22:23], v[58:59], v[18:19]
	v_fma_f64 v[18:19], -v[24:25], v[60:61], v[18:19]
	ds_write_b64 v48, v[24:25] offset:6272
	v_mul_f64 v[18:19], v[50:51], v[18:19]
	ds_read_b128 v[48:51], v52 offset:16
	ds_read_b128 v[58:61], v52 offset:32
	s_waitcnt lgkmcnt(3)
	v_fma_f64 v[20:21], -v[42:43], v[62:63], v[20:21]
	v_fma_f64 v[20:21], -v[44:45], v[64:65], v[20:21]
	ds_read_b128 v[62:65], v52 offset:48
	s_waitcnt lgkmcnt(2)
	v_fma_f64 v[20:21], -v[38:39], v[48:49], v[20:21]
	v_fma_f64 v[20:21], -v[40:41], v[50:51], v[20:21]
	;; [unrolled: 4-line block ×3, first 2 shown]
	ds_read_b128 v[58:61], v52 offset:80
	s_waitcnt lgkmcnt(2)
	v_fma_f64 v[20:21], -v[30:31], v[62:63], v[20:21]
	v_add_lshl_u32 v53, s9, v0, 3
	v_fma_f64 v[20:21], -v[32:33], v[64:65], v[20:21]
	ds_read_b128 v[62:65], v52 offset:96
	s_add_i32 s9, s16, 0x188
	s_waitcnt lgkmcnt(2)
	v_fma_f64 v[20:21], -v[26:27], v[48:49], v[20:21]
	v_add_lshl_u32 v52, s17, v0, 3
	s_add_i32 s17, s9, s12
	v_fma_f64 v[20:21], -v[28:29], v[50:51], v[20:21]
	s_lshl_b32 s17, s17, 3
	ds_write_b64 v53, v[18:19] offset:6272
	s_waitcnt lgkmcnt(2)
	v_fma_f64 v[20:21], -v[22:23], v[58:59], v[20:21]
	v_mov_b32_e32 v53, s17
	v_fma_f64 v[20:21], -v[24:25], v[60:61], v[20:21]
	ds_read_b128 v[48:51], v53
	s_waitcnt lgkmcnt(2)
	v_fma_f64 v[20:21], -v[18:19], v[62:63], v[20:21]
	v_mul_f64 v[20:21], v[64:65], v[20:21]
	ds_write_b64 v52, v[20:21] offset:6272
	ds_read_b128 v[58:61], v53 offset:16
	ds_read_b128 v[62:65], v53 offset:32
	;; [unrolled: 1-line block ×3, first 2 shown]
	s_waitcnt lgkmcnt(4)
	v_fma_f64 v[14:15], -v[42:43], v[48:49], v[14:15]
	v_fma_f64 v[14:15], -v[44:45], v[50:51], v[14:15]
	s_waitcnt lgkmcnt(2)
	v_fma_f64 v[14:15], -v[38:39], v[58:59], v[14:15]
	v_fma_f64 v[14:15], -v[40:41], v[60:61], v[14:15]
	ds_read_b128 v[48:51], v53 offset:64
	ds_read_b128 v[58:61], v53 offset:80
	s_waitcnt lgkmcnt(3)
	v_fma_f64 v[14:15], -v[34:35], v[62:63], v[14:15]
	v_fma_f64 v[14:15], -v[36:37], v[64:65], v[14:15]
	s_waitcnt lgkmcnt(2)
	v_fma_f64 v[14:15], -v[30:31], v[66:67], v[14:15]
	v_fma_f64 v[14:15], -v[32:33], v[68:69], v[14:15]
	;; [unrolled: 3-line block ×4, first 2 shown]
	s_add_i32 s17, s16, 0x1a4
	ds_read_b128 v[58:61], v53 offset:96
	s_add_i32 s18, s17, s12
	s_lshl_b32 s18, s18, 3
	v_mov_b32_e32 v52, s18
	ds_read_b128 v[62:65], v52
	s_waitcnt lgkmcnt(1)
	v_fma_f64 v[14:15], -v[18:19], v[58:59], v[14:15]
	v_fma_f64 v[14:15], -v[20:21], v[60:61], v[14:15]
	ds_read_b128 v[58:61], v52 offset:16
	ds_read_b128 v[66:69], v52 offset:32
	s_waitcnt lgkmcnt(2)
	v_fma_f64 v[16:17], -v[42:43], v[62:63], v[16:17]
	v_fma_f64 v[16:17], -v[44:45], v[64:65], v[16:17]
	ds_read_b128 v[62:65], v52 offset:48
	s_waitcnt lgkmcnt(2)
	v_fma_f64 v[16:17], -v[38:39], v[58:59], v[16:17]
	v_fma_f64 v[16:17], -v[40:41], v[60:61], v[16:17]
	ds_read_b128 v[58:61], v52 offset:64
	ds_read2_b64 v[48:51], v74 offset0:150 offset1:208
	s_waitcnt lgkmcnt(3)
	v_fma_f64 v[16:17], -v[34:35], v[66:67], v[16:17]
	v_fma_f64 v[16:17], -v[36:37], v[68:69], v[16:17]
	ds_read_b128 v[66:69], v52 offset:80
	s_waitcnt lgkmcnt(3)
	v_fma_f64 v[16:17], -v[30:31], v[62:63], v[16:17]
	v_fma_f64 v[16:17], -v[32:33], v[64:65], v[16:17]
	ds_read_b128 v[62:65], v52 offset:96
	s_waitcnt lgkmcnt(3)
	v_fma_f64 v[16:17], -v[26:27], v[58:59], v[16:17]
	s_waitcnt lgkmcnt(2)
	v_mul_f64 v[14:15], v[48:49], v[14:15]
	v_add_lshl_u32 v48, s9, v0, 3
	v_fma_f64 v[16:17], -v[28:29], v[60:61], v[16:17]
	ds_read_b128 v[58:61], v52 offset:112
	s_add_i32 s9, s16, 0x1c0
	s_waitcnt lgkmcnt(2)
	v_fma_f64 v[16:17], -v[22:23], v[66:67], v[16:17]
	s_add_i32 s18, s9, s12
	v_fma_f64 v[16:17], -v[24:25], v[68:69], v[16:17]
	s_lshl_b32 s18, s18, 3
	ds_write_b64 v48, v[14:15] offset:6272
	s_waitcnt lgkmcnt(2)
	v_fma_f64 v[16:17], -v[18:19], v[62:63], v[16:17]
	v_mov_b32_e32 v48, s18
	v_fma_f64 v[16:17], -v[20:21], v[64:65], v[16:17]
	ds_read_b128 v[62:65], v48
	s_waitcnt lgkmcnt(2)
	v_fma_f64 v[16:17], -v[14:15], v[58:59], v[16:17]
	v_mul_f64 v[16:17], v[60:61], v[16:17]
	ds_read_b128 v[58:61], v48 offset:16
	ds_read_b128 v[66:69], v48 offset:32
	s_waitcnt lgkmcnt(2)
	v_fma_f64 v[10:11], -v[42:43], v[62:63], v[10:11]
	v_fma_f64 v[10:11], -v[44:45], v[64:65], v[10:11]
	ds_read_b128 v[62:65], v48 offset:48
	s_waitcnt lgkmcnt(2)
	v_fma_f64 v[10:11], -v[38:39], v[58:59], v[10:11]
	v_fma_f64 v[10:11], -v[40:41], v[60:61], v[10:11]
	;; [unrolled: 4-line block ×5, first 2 shown]
	ds_read_b128 v[58:61], v48 offset:112
	v_add_lshl_u32 v49, s17, v0, 3
	s_waitcnt lgkmcnt(2)
	v_fma_f64 v[10:11], -v[22:23], v[66:67], v[10:11]
	s_add_i32 s17, s16, 0x1dc
	v_fma_f64 v[10:11], -v[24:25], v[68:69], v[10:11]
	s_add_i32 s18, s17, s12
	s_waitcnt lgkmcnt(1)
	v_fma_f64 v[10:11], -v[18:19], v[62:63], v[10:11]
	s_lshl_b32 s18, s18, 3
	v_fma_f64 v[10:11], -v[20:21], v[64:65], v[10:11]
	v_mov_b32_e32 v52, s18
	ds_read_b128 v[62:65], v52
	s_waitcnt lgkmcnt(1)
	v_fma_f64 v[10:11], -v[14:15], v[58:59], v[10:11]
	v_fma_f64 v[10:11], -v[16:17], v[60:61], v[10:11]
	ds_write_b64 v49, v[16:17] offset:6272
	v_mul_f64 v[10:11], v[50:51], v[10:11]
	ds_read_b128 v[48:51], v52 offset:16
	ds_read_b128 v[58:61], v52 offset:32
	s_waitcnt lgkmcnt(3)
	v_fma_f64 v[12:13], -v[42:43], v[62:63], v[12:13]
	v_fma_f64 v[12:13], -v[44:45], v[64:65], v[12:13]
	ds_read_b128 v[62:65], v52 offset:48
	s_waitcnt lgkmcnt(2)
	v_fma_f64 v[12:13], -v[38:39], v[48:49], v[12:13]
	v_fma_f64 v[12:13], -v[40:41], v[50:51], v[12:13]
	;; [unrolled: 4-line block ×4, first 2 shown]
	s_waitcnt lgkmcnt(1)
	v_fma_f64 v[12:13], -v[26:27], v[48:49], v[12:13]
	v_fma_f64 v[12:13], -v[28:29], v[50:51], v[12:13]
	ds_read_b128 v[48:51], v52 offset:96
	ds_read_b128 v[62:65], v52 offset:112
	s_waitcnt lgkmcnt(2)
	v_fma_f64 v[12:13], -v[22:23], v[58:59], v[12:13]
	v_add_lshl_u32 v53, s9, v0, 3
	v_fma_f64 v[12:13], -v[24:25], v[60:61], v[12:13]
	ds_read_b128 v[58:61], v52 offset:128
	s_add_i32 s9, s16, 0x1f8
	s_waitcnt lgkmcnt(2)
	v_fma_f64 v[12:13], -v[18:19], v[48:49], v[12:13]
	v_add_lshl_u32 v52, s17, v0, 3
	s_add_i32 s17, s9, s12
	v_fma_f64 v[12:13], -v[20:21], v[50:51], v[12:13]
	s_lshl_b32 s17, s17, 3
	ds_write_b64 v53, v[10:11] offset:6272
	s_waitcnt lgkmcnt(2)
	v_fma_f64 v[12:13], -v[14:15], v[62:63], v[12:13]
	v_mov_b32_e32 v53, s17
	v_fma_f64 v[12:13], -v[16:17], v[64:65], v[12:13]
	ds_read_b128 v[48:51], v53
	s_waitcnt lgkmcnt(2)
	v_fma_f64 v[12:13], -v[10:11], v[58:59], v[12:13]
	v_mul_f64 v[12:13], v[60:61], v[12:13]
	ds_write_b64 v52, v[12:13] offset:6272
	ds_read_b128 v[58:61], v53 offset:16
	ds_read_b128 v[62:65], v53 offset:32
	;; [unrolled: 1-line block ×3, first 2 shown]
	s_waitcnt lgkmcnt(4)
	v_fma_f64 v[6:7], -v[42:43], v[48:49], v[6:7]
	v_fma_f64 v[6:7], -v[44:45], v[50:51], v[6:7]
	s_waitcnt lgkmcnt(2)
	v_fma_f64 v[6:7], -v[38:39], v[58:59], v[6:7]
	v_fma_f64 v[6:7], -v[40:41], v[60:61], v[6:7]
	ds_read_b128 v[48:51], v53 offset:64
	ds_read_b128 v[58:61], v53 offset:80
	s_waitcnt lgkmcnt(3)
	v_fma_f64 v[6:7], -v[34:35], v[62:63], v[6:7]
	v_fma_f64 v[6:7], -v[36:37], v[64:65], v[6:7]
	s_waitcnt lgkmcnt(2)
	v_fma_f64 v[6:7], -v[30:31], v[66:67], v[6:7]
	v_fma_f64 v[6:7], -v[32:33], v[68:69], v[6:7]
	ds_read_b128 v[62:65], v53 offset:96
	s_waitcnt lgkmcnt(2)
	v_fma_f64 v[6:7], -v[26:27], v[48:49], v[6:7]
	v_fma_f64 v[6:7], -v[28:29], v[50:51], v[6:7]
	ds_read_b128 v[48:51], v53 offset:112
	s_waitcnt lgkmcnt(2)
	v_fma_f64 v[6:7], -v[22:23], v[58:59], v[6:7]
	v_fma_f64 v[6:7], -v[24:25], v[60:61], v[6:7]
	s_waitcnt lgkmcnt(1)
	v_fma_f64 v[6:7], -v[18:19], v[62:63], v[6:7]
	s_add_i32 s17, s16, 0x214
	ds_read_b128 v[58:61], v53 offset:128
	v_fma_f64 v[6:7], -v[20:21], v[64:65], v[6:7]
	s_add_i32 s18, s17, s12
	s_waitcnt lgkmcnt(1)
	v_fma_f64 v[6:7], -v[14:15], v[48:49], v[6:7]
	s_lshl_b32 s18, s18, 3
	v_fma_f64 v[6:7], -v[16:17], v[50:51], v[6:7]
	ds_read2_b64 v[48:51], v1 offset0:10 offset1:68
	v_mov_b32_e32 v1, s18
	ds_read_b128 v[62:65], v1
	s_waitcnt lgkmcnt(2)
	v_fma_f64 v[6:7], -v[10:11], v[58:59], v[6:7]
	v_fma_f64 v[6:7], -v[12:13], v[60:61], v[6:7]
	ds_read_b128 v[58:61], v1 offset:16
	ds_read_b128 v[66:69], v1 offset:32
	s_waitcnt lgkmcnt(2)
	v_fma_f64 v[8:9], -v[42:43], v[62:63], v[8:9]
	v_fma_f64 v[8:9], -v[44:45], v[64:65], v[8:9]
	ds_read_b128 v[62:65], v1 offset:48
	s_waitcnt lgkmcnt(2)
	v_fma_f64 v[8:9], -v[38:39], v[58:59], v[8:9]
	v_fma_f64 v[8:9], -v[40:41], v[60:61], v[8:9]
	;; [unrolled: 4-line block ×4, first 2 shown]
	s_waitcnt lgkmcnt(1)
	v_fma_f64 v[8:9], -v[26:27], v[58:59], v[8:9]
	v_fma_f64 v[8:9], -v[28:29], v[60:61], v[8:9]
	ds_read_b128 v[58:61], v1 offset:96
	ds_read_b128 v[62:65], v1 offset:112
	s_waitcnt lgkmcnt(2)
	v_fma_f64 v[8:9], -v[22:23], v[66:67], v[8:9]
	v_fma_f64 v[8:9], -v[24:25], v[68:69], v[8:9]
	ds_read_b128 v[66:69], v1 offset:128
	s_waitcnt lgkmcnt(2)
	v_fma_f64 v[8:9], -v[18:19], v[58:59], v[8:9]
	v_mul_f64 v[6:7], v[48:49], v[6:7]
	v_add_lshl_u32 v48, s9, v0, 3
	v_fma_f64 v[8:9], -v[20:21], v[60:61], v[8:9]
	ds_read_b128 v[58:61], v1 offset:144
	s_add_i32 s9, s16, 0x230
	s_waitcnt lgkmcnt(2)
	v_fma_f64 v[8:9], -v[14:15], v[62:63], v[8:9]
	s_add_i32 s18, s9, s12
	v_fma_f64 v[8:9], -v[16:17], v[64:65], v[8:9]
	s_lshl_b32 s18, s18, 3
	s_waitcnt lgkmcnt(1)
	v_fma_f64 v[8:9], -v[10:11], v[66:67], v[8:9]
	v_mov_b32_e32 v1, s18
	v_fma_f64 v[8:9], -v[12:13], v[68:69], v[8:9]
	ds_read_b128 v[62:65], v1
	s_waitcnt lgkmcnt(1)
	v_fma_f64 v[8:9], -v[6:7], v[58:59], v[8:9]
	v_mul_f64 v[8:9], v[60:61], v[8:9]
	ds_read_b128 v[58:61], v1 offset:16
	ds_read_b128 v[66:69], v1 offset:32
	s_waitcnt lgkmcnt(2)
	v_fma_f64 v[2:3], -v[42:43], v[62:63], v[2:3]
	v_fma_f64 v[2:3], -v[44:45], v[64:65], v[2:3]
	ds_read_b128 v[62:65], v1 offset:48
	s_waitcnt lgkmcnt(2)
	v_fma_f64 v[2:3], -v[38:39], v[58:59], v[2:3]
	v_fma_f64 v[2:3], -v[40:41], v[60:61], v[2:3]
	;; [unrolled: 4-line block ×4, first 2 shown]
	s_waitcnt lgkmcnt(1)
	v_fma_f64 v[2:3], -v[26:27], v[58:59], v[2:3]
	v_fma_f64 v[2:3], -v[28:29], v[60:61], v[2:3]
	ds_read_b128 v[58:61], v1 offset:96
	ds_read_b128 v[62:65], v1 offset:112
	s_waitcnt lgkmcnt(2)
	v_fma_f64 v[2:3], -v[22:23], v[66:67], v[2:3]
	v_fma_f64 v[2:3], -v[24:25], v[68:69], v[2:3]
	ds_read_b128 v[66:69], v1 offset:128
	s_waitcnt lgkmcnt(2)
	v_fma_f64 v[2:3], -v[18:19], v[58:59], v[2:3]
	v_fma_f64 v[2:3], -v[20:21], v[60:61], v[2:3]
	ds_read_b128 v[58:61], v1 offset:144
	ds_write_b64 v48, v[6:7] offset:6272
	v_add_lshl_u32 v48, s17, v0, 3
	s_waitcnt lgkmcnt(3)
	v_fma_f64 v[2:3], -v[14:15], v[62:63], v[2:3]
	s_add_i32 s17, s16, 0x24c
	v_fma_f64 v[2:3], -v[16:17], v[64:65], v[2:3]
	s_add_i32 s18, s17, s12
	s_waitcnt lgkmcnt(2)
	v_fma_f64 v[2:3], -v[10:11], v[66:67], v[2:3]
	s_lshl_b32 s18, s18, 3
	v_fma_f64 v[2:3], -v[12:13], v[68:69], v[2:3]
	v_mov_b32_e32 v1, s18
	ds_read_b128 v[62:65], v1
	s_waitcnt lgkmcnt(2)
	v_fma_f64 v[2:3], -v[6:7], v[58:59], v[2:3]
	v_fma_f64 v[2:3], -v[8:9], v[60:61], v[2:3]
	ds_write_b64 v48, v[8:9] offset:6272
	v_mul_f64 v[52:53], v[50:51], v[2:3]
	ds_read_b128 v[48:51], v1 offset:16
	v_add_lshl_u32 v2, s9, v0, 3
	ds_read_b128 v[58:61], v1 offset:32
	ds_write_b64 v2, v[52:53] offset:6272
	s_waitcnt lgkmcnt(4)
	v_fma_f64 v[2:3], -v[42:43], v[62:63], v[4:5]
	v_fma_f64 v[2:3], -v[44:45], v[64:65], v[2:3]
	s_waitcnt lgkmcnt(2)
	v_fma_f64 v[48:49], -v[38:39], v[48:49], v[2:3]
	ds_read_b128 v[2:5], v1 offset:48
	v_fma_f64 v[48:49], -v[40:41], v[50:51], v[48:49]
	s_waitcnt lgkmcnt(2)
	v_fma_f64 v[58:59], -v[34:35], v[58:59], v[48:49]
	ds_read_b128 v[48:51], v1 offset:64
	v_fma_f64 v[58:59], -v[36:37], v[60:61], v[58:59]
	s_waitcnt lgkmcnt(1)
	v_fma_f64 v[2:3], -v[30:31], v[2:3], v[58:59]
	ds_read_b128 v[58:61], v1 offset:80
	v_fma_f64 v[2:3], -v[32:33], v[4:5], v[2:3]
	s_waitcnt lgkmcnt(1)
	v_fma_f64 v[48:49], -v[26:27], v[48:49], v[2:3]
	ds_read_b128 v[2:5], v1 offset:96
	v_fma_f64 v[48:49], -v[28:29], v[50:51], v[48:49]
	s_waitcnt lgkmcnt(1)
	v_fma_f64 v[58:59], -v[22:23], v[58:59], v[48:49]
	ds_read_b128 v[48:51], v1 offset:112
	v_fma_f64 v[58:59], -v[24:25], v[60:61], v[58:59]
	s_waitcnt lgkmcnt(1)
	v_fma_f64 v[2:3], -v[18:19], v[2:3], v[58:59]
	v_fma_f64 v[58:59], -v[20:21], v[4:5], v[2:3]
	ds_read_b128 v[2:5], v1 offset:128
	s_waitcnt lgkmcnt(1)
	v_fma_f64 v[48:49], -v[14:15], v[48:49], v[58:59]
	ds_read_b128 v[58:61], v1 offset:144
	v_fma_f64 v[62:63], -v[16:17], v[50:51], v[48:49]
	ds_read_b128 v[48:51], v1 offset:160
	s_waitcnt lgkmcnt(2)
	v_fma_f64 v[2:3], -v[10:11], v[2:3], v[62:63]
	v_fma_f64 v[2:3], -v[12:13], v[4:5], v[2:3]
	s_add_i32 s9, s16, 0x268
	s_waitcnt lgkmcnt(1)
	v_fma_f64 v[2:3], -v[6:7], v[58:59], v[2:3]
	s_add_i32 s16, s9, s12
	v_fma_f64 v[2:3], -v[8:9], v[60:61], v[2:3]
	s_lshl_b32 s16, s16, 3
	s_waitcnt lgkmcnt(0)
	v_fma_f64 v[2:3], -v[52:53], v[48:49], v[2:3]
	v_mov_b32_e32 v68, s16
	v_mul_f64 v[66:67], v[50:51], v[2:3]
	ds_read_b128 v[2:5], v68
	v_add_lshl_u32 v1, s17, v0, 3
	ds_write_b64 v1, v[66:67] offset:6272
	ds_read_b128 v[48:51], v68 offset:16
	ds_read_b128 v[58:61], v68 offset:32
	;; [unrolled: 1-line block ×3, first 2 shown]
	s_add_i32 s12, s13, s12
	s_waitcnt lgkmcnt(4)
	v_fma_f64 v[2:3], -v[42:43], v[2:3], v[56:57]
	v_fma_f64 v[2:3], -v[44:45], v[4:5], v[2:3]
	s_waitcnt lgkmcnt(2)
	v_fma_f64 v[2:3], -v[38:39], v[48:49], v[2:3]
	v_fma_f64 v[2:3], -v[40:41], v[50:51], v[2:3]
	s_waitcnt lgkmcnt(1)
	v_fma_f64 v[48:49], -v[34:35], v[58:59], v[2:3]
	ds_read_b128 v[2:5], v68 offset:64
	v_fma_f64 v[48:49], -v[36:37], v[60:61], v[48:49]
	s_waitcnt lgkmcnt(1)
	v_fma_f64 v[56:57], -v[30:31], v[62:63], v[48:49]
	ds_read_b128 v[48:51], v68 offset:80
	;; [unrolled: 4-line block ×3, first 2 shown]
	v_fma_f64 v[2:3], -v[28:29], v[4:5], v[2:3]
	s_waitcnt lgkmcnt(1)
	v_fma_f64 v[2:3], -v[22:23], v[48:49], v[2:3]
	v_fma_f64 v[48:49], -v[24:25], v[50:51], v[2:3]
	ds_read_b128 v[2:5], v68 offset:112
	s_waitcnt lgkmcnt(1)
	v_fma_f64 v[56:57], -v[18:19], v[56:57], v[48:49]
	ds_read_b128 v[48:51], v68 offset:128
	v_fma_f64 v[60:61], -v[20:21], v[58:59], v[56:57]
	ds_read_b128 v[56:59], v68 offset:144
	s_waitcnt lgkmcnt(2)
	v_fma_f64 v[2:3], -v[14:15], v[2:3], v[60:61]
	v_fma_f64 v[2:3], -v[16:17], v[4:5], v[2:3]
	s_waitcnt lgkmcnt(1)
	v_fma_f64 v[2:3], -v[10:11], v[48:49], v[2:3]
	v_fma_f64 v[2:3], -v[12:13], v[50:51], v[2:3]
	;; [unrolled: 3-line block ×3, first 2 shown]
	ds_read_b128 v[2:5], v68 offset:160
	s_lshl_b32 s12, s12, 3
	v_mov_b32_e32 v1, s12
	ds_read_b128 v[48:51], v1
	s_mov_b32 s12, s8
	s_waitcnt lgkmcnt(1)
	v_fma_f64 v[2:3], -v[52:53], v[2:3], v[56:57]
	v_fma_f64 v[2:3], -v[66:67], v[4:5], v[2:3]
	v_mul_f64 v[46:47], v[46:47], v[2:3]
	ds_read_b128 v[2:5], v1 offset:16
	v_add_lshl_u32 v56, s9, v0, 3
	ds_write_b64 v56, v[46:47] offset:6272
	ds_read_b128 v[56:59], v1 offset:32
	s_waitcnt lgkmcnt(3)
	v_fma_f64 v[42:43], -v[42:43], v[48:49], v[54:55]
	v_fma_f64 v[42:43], -v[44:45], v[50:51], v[42:43]
	s_waitcnt lgkmcnt(2)
	v_fma_f64 v[2:3], -v[38:39], v[2:3], v[42:43]
	ds_read_b128 v[42:45], v1 offset:48
	v_fma_f64 v[2:3], -v[40:41], v[4:5], v[2:3]
	s_waitcnt lgkmcnt(1)
	v_fma_f64 v[34:35], -v[34:35], v[56:57], v[2:3]
	ds_read_b128 v[2:5], v1 offset:64
	;; [unrolled: 4-line block ×6, first 2 shown]
	v_fma_f64 v[18:19], -v[20:21], v[32:33], v[18:19]
	s_waitcnt lgkmcnt(1)
	v_fma_f64 v[2:3], -v[14:15], v[2:3], v[18:19]
	v_fma_f64 v[14:15], -v[16:17], v[4:5], v[2:3]
	ds_read_b128 v[2:5], v1 offset:144
	s_waitcnt lgkmcnt(1)
	v_fma_f64 v[10:11], -v[10:11], v[22:23], v[14:15]
	ds_read_b128 v[14:17], v1 offset:160
	v_fma_f64 v[18:19], -v[12:13], v[24:25], v[10:11]
	ds_read_b128 v[10:13], v1 offset:176
	s_waitcnt lgkmcnt(2)
	v_fma_f64 v[2:3], -v[6:7], v[2:3], v[18:19]
	v_fma_f64 v[2:3], -v[8:9], v[4:5], v[2:3]
	s_waitcnt lgkmcnt(1)
	v_fma_f64 v[2:3], -v[52:53], v[14:15], v[2:3]
	v_fma_f64 v[2:3], -v[66:67], v[16:17], v[2:3]
	s_waitcnt lgkmcnt(0)
	v_fma_f64 v[2:3], -v[46:47], v[10:11], v[2:3]
	v_mul_f64 v[2:3], v[12:13], v[2:3]
	v_add_lshl_u32 v1, s13, v0, 3
	ds_write_b64 v1, v[2:3] offset:6272
.LBB97_26:
	s_cmp_ge_i32 s12, s30
	s_cbranch_scc1 .LBB97_37
; %bb.27:
	v_mov_b32_e32 v1, 0x1880
	s_add_i32 s8, s12, -1
	s_mul_i32 s9, s12, 0xe0
	v_lshl_add_u32 v1, v0, 3, v1
	s_mov_b32 s13, 0
	s_mov_b32 s16, s12
	s_branch .LBB97_29
.LBB97_28:                              ;   in Loop: Header=BB97_29 Depth=1
	s_mul_i32 s17, s12, 0xe8
	v_mov_b32_e32 v5, s17
	ds_read_b64 v[6:7], v5
	s_add_i32 s12, s12, 1
	s_add_i32 s13, s13, 1
	s_addk_i32 s9, 0xe0
	v_add_u16_e64 v5, s16, 1
	v_add_u32_e32 v4, 0x1880, v4
	s_waitcnt lgkmcnt(0)
	v_mul_f64 v[2:3], v[6:7], v[2:3]
	s_cmp_ge_i32 s12, s30
	v_readfirstlane_b32 s16, v5
	ds_write_b64 v4, v[2:3]
	s_cbranch_scc1 .LBB97_37
.LBB97_29:                              ; =>This Loop Header: Depth=1
                                        ;     Child Loop BB97_32 Depth 2
                                        ;     Child Loop BB97_36 Depth 2
	s_mul_i32 s17, s12, 28
	v_add_lshl_u32 v4, s17, v0, 3
	ds_read_b64 v[2:3], v4 offset:6272
	s_cmp_eq_u32 s12, 0
	s_cbranch_scc1 .LBB97_28
; %bb.30:                               ;   in Loop: Header=BB97_29 Depth=1
	s_add_i32 s17, s8, s13
	s_cmp_lt_u32 s17, 7
	s_cbranch_scc1 .LBB97_34
; %bb.31:                               ;   in Loop: Header=BB97_29 Depth=1
	s_and_b32 s17, s12, -8
	s_mov_b32 s18, 0
	v_mov_b32_e32 v5, v1
	s_mov_b32 s19, s9
.LBB97_32:                              ;   Parent Loop BB97_29 Depth=1
                                        ; =>  This Inner Loop Header: Depth=2
	ds_read2_b64 v[6:9], v5 offset1:28
	v_mov_b32_e32 v34, s19
	ds_read2_b64 v[10:13], v5 offset0:56 offset1:84
	ds_read2_b64 v[14:17], v5 offset0:112 offset1:140
	;; [unrolled: 1-line block ×3, first 2 shown]
	ds_read_b128 v[22:25], v34
	ds_read_b128 v[26:29], v34 offset:16
	ds_read_b128 v[30:33], v34 offset:32
	;; [unrolled: 1-line block ×3, first 2 shown]
	s_add_i32 s18, s18, 8
	s_waitcnt lgkmcnt(3)
	v_fma_f64 v[2:3], -v[6:7], v[22:23], v[2:3]
	v_fma_f64 v[2:3], -v[8:9], v[24:25], v[2:3]
	s_waitcnt lgkmcnt(2)
	v_fma_f64 v[2:3], -v[10:11], v[26:27], v[2:3]
	v_fma_f64 v[2:3], -v[12:13], v[28:29], v[2:3]
	;; [unrolled: 3-line block ×3, first 2 shown]
	s_add_i32 s19, s19, 64
	s_waitcnt lgkmcnt(0)
	v_fma_f64 v[2:3], -v[18:19], v[34:35], v[2:3]
	v_add_u32_e32 v5, 0x700, v5
	s_cmp_lg_u32 s17, s18
	v_fma_f64 v[2:3], -v[20:21], v[36:37], v[2:3]
	s_cbranch_scc1 .LBB97_32
; %bb.33:                               ;   in Loop: Header=BB97_29 Depth=1
	s_and_b32 s18, s12, 7
	s_cmp_eq_u32 s18, 0
	s_cbranch_scc0 .LBB97_35
	s_branch .LBB97_28
.LBB97_34:                              ;   in Loop: Header=BB97_29 Depth=1
	s_mov_b32 s17, 0
	s_and_b32 s18, s12, 7
	s_cmp_eq_u32 s18, 0
	s_cbranch_scc1 .LBB97_28
.LBB97_35:                              ;   in Loop: Header=BB97_29 Depth=1
	s_lshl_b32 s19, s17, 3
	s_mulk_i32 s17, 0xe0
	s_and_b32 s18, s16, 7
	v_add_u32_e32 v5, s17, v1
.LBB97_36:                              ;   Parent Loop BB97_29 Depth=1
                                        ; =>  This Inner Loop Header: Depth=2
	s_add_i32 s17, s9, s19
	v_mov_b32_e32 v8, s17
	ds_read_b64 v[6:7], v5
	ds_read_b64 v[8:9], v8
	s_add_i32 s19, s19, 8
	s_add_i32 s18, s18, -1
	v_add_u32_e32 v5, 0xe0, v5
	s_cmp_lg_u32 s18, 0
	s_waitcnt lgkmcnt(0)
	v_fma_f64 v[2:3], -v[6:7], v[8:9], v[2:3]
	s_cbranch_scc1 .LBB97_36
	s_branch .LBB97_28
.LBB97_37:
	s_mov_b64 s[8:9], 0
.LBB97_38:
	s_and_b64 vcc, exec, s[8:9]
	s_cbranch_vccz .LBB97_60
; %bb.39:
	s_cmp_gt_i32 s10, 27
	s_mov_b32 s8, s31
	s_cbranch_scc0 .LBB97_41
; %bb.40:
	s_mul_i32 s8, s31, 28
	s_mul_i32 s44, s30, 28
	v_add_lshl_u32 v1, s8, v0, 3
	s_sub_i32 s43, s44, 56
	s_add_i32 s42, s44, 0xffffffac
	s_add_i32 s41, s44, 0xffffff90
	;; [unrolled: 1-line block ×26, first 2 shown]
	s_sub_i32 s44, s44, 28
	v_add_lshl_u32 v60, s43, v0, 3
	v_add_lshl_u32 v71, s42, v0, 3
	v_add_lshl_u32 v73, s41, v0, 3
	ds_read_b64 v[50:51], v1 offset:6272
	ds_read_b64 v[56:57], v60 offset:6272
	;; [unrolled: 1-line block ×4, first 2 shown]
	v_add_lshl_u32 v1, s45, v0, 3
	s_add_i32 s45, s30, s44
	s_lshl_b32 s45, s45, 3
	s_add_i32 s45, s45, -16
	v_add_lshl_u32 v75, s40, v0, 3
	v_add_lshl_u32 v83, s36, v0, 3
	v_add_lshl_u32 v76, s29, v0, 3
	v_add_lshl_u32 v84, s25, v0, 3
	v_add_lshl_u32 v92, s18, v0, 3
	v_add_lshl_u32 v45, s12, v0, 3
	v_mov_b32_e32 v52, s45
	s_mul_i32 s45, s31, 0xe8
	v_add_lshl_u32 v77, s39, v0, 3
	v_add_lshl_u32 v79, s38, v0, 3
	v_add_lshl_u32 v81, s37, v0, 3
	ds_read_b64 v[96:97], v75 offset:6272
	ds_read_b64 v[100:101], v77 offset:6272
	ds_read_b64 v[38:39], v79 offset:6272
	ds_read_b64 v[36:37], v81 offset:6272
	v_add_lshl_u32 v70, s35, v0, 3
	v_add_lshl_u32 v72, s34, v0, 3
	v_add_lshl_u32 v74, s33, v0, 3
	ds_read_b64 v[30:31], v83 offset:6272
	ds_read_b64 v[24:25], v70 offset:6272
	ds_read_b64 v[22:23], v72 offset:6272
	ds_read_b64 v[20:21], v74 offset:6272
	;; [unrolled: 7-line block ×5, first 2 shown]
	v_add_lshl_u32 v44, s9, v0, 3
	v_add_lshl_u32 v102, s8, v0, 3
	ds_read_b64 v[32:33], v45 offset:6272
	ds_read_b64 v[42:43], v44 offset:6272
	;; [unrolled: 1-line block ×4, first 2 shown]
	ds_read2_b64 v[52:55], v52 offset1:1
	s_add_i32 s46, s45, 0xffffff18
	v_mov_b32_e32 v58, s46
	ds_read_b64 v[58:59], v58
	s_add_i32 s46, s30, -4
	s_add_i32 s47, s46, s44
	s_waitcnt lgkmcnt(1)
	v_mul_f64 v[50:51], v[54:55], v[50:51]
	v_add_lshl_u32 v54, s44, v0, 3
	s_lshl_b32 s47, s47, 3
	ds_write_b64 v54, v[50:51] offset:6272
	v_fma_f64 v[52:53], -v[50:51], v[52:53], v[56:57]
	v_mov_b32_e32 v54, s47
	s_waitcnt lgkmcnt(1)
	v_mul_f64 v[52:53], v[58:59], v[52:53]
	ds_read2_b64 v[56:59], v54 offset1:1
	s_add_i32 s47, s46, s43
	s_lshl_b32 s47, s47, 3
	s_add_i32 s46, s46, s42
	v_mov_b32_e32 v54, s47
	s_lshl_b32 s46, s46, 3
	ds_write_b64 v60, v[52:53] offset:6272
	ds_read2_b64 v[60:63], v54 offset1:1
	s_waitcnt lgkmcnt(2)
	v_fma_f64 v[54:55], -v[50:51], v[58:59], v[64:65]
	v_mov_b32_e32 v58, s46
	ds_read2_b64 v[64:67], v58 offset1:1
	s_add_i32 s46, s45, 0xfffffd48
	v_mov_b32_e32 v58, s46
	s_add_i32 s46, s30, -6
	s_add_i32 s47, s46, s44
	v_fma_f64 v[56:57], -v[50:51], v[56:57], v[68:69]
	s_lshl_b32 s47, s47, 3
	s_waitcnt lgkmcnt(1)
	v_fma_f64 v[54:55], -v[52:53], v[62:63], v[54:55]
	v_fma_f64 v[56:57], -v[52:53], v[60:61], v[56:57]
	v_mov_b32_e32 v60, s47
	s_add_i32 s47, s46, s43
	s_waitcnt lgkmcnt(0)
	v_mul_f64 v[54:55], v[66:67], v[54:55]
	s_lshl_b32 s47, s47, 3
	ds_read_b64 v[58:59], v58
	ds_write_b64 v71, v[54:55] offset:6272
	v_mov_b32_e32 v66, s47
	ds_read2_b64 v[60:63], v60 offset1:1
	ds_read2_b64 v[66:69], v66 offset1:1
	s_add_i32 s47, s46, s42
	v_fma_f64 v[56:57], -v[54:55], v[64:65], v[56:57]
	s_lshl_b32 s47, s47, 3
	s_waitcnt lgkmcnt(3)
	v_mul_f64 v[56:57], v[58:59], v[56:57]
	s_waitcnt lgkmcnt(1)
	v_fma_f64 v[58:59], -v[50:51], v[62:63], v[96:97]
	v_mov_b32_e32 v62, s47
	ds_read2_b64 v[62:65], v62 offset1:1
	s_add_i32 s47, s46, s41
	s_lshl_b32 s47, s47, 3
	s_add_i32 s46, s46, s40
	s_waitcnt lgkmcnt(1)
	v_fma_f64 v[58:59], -v[52:53], v[68:69], v[58:59]
	v_mov_b32_e32 v68, s47
	ds_read2_b64 v[96:99], v68 offset1:1
	s_lshl_b32 s46, s46, 3
	s_waitcnt lgkmcnt(1)
	v_fma_f64 v[58:59], -v[54:55], v[64:65], v[58:59]
	v_mov_b32_e32 v64, s46
	ds_read2_b64 v[104:107], v64 offset1:1
	s_add_i32 s46, s45, 0xfffffb78
	v_mov_b32_e32 v64, s46
	s_add_i32 s46, s30, -8
	v_fma_f64 v[60:61], -v[50:51], v[60:61], v[100:101]
	s_add_i32 s47, s46, s44
	v_fma_f64 v[60:61], -v[52:53], v[66:67], v[60:61]
	s_lshl_b32 s47, s47, 3
	s_waitcnt lgkmcnt(1)
	v_fma_f64 v[58:59], -v[56:57], v[98:99], v[58:59]
	v_fma_f64 v[60:61], -v[54:55], v[62:63], v[60:61]
	v_mov_b32_e32 v62, s47
	s_add_i32 s47, s46, s43
	ds_read_b64 v[68:69], v64
	s_waitcnt lgkmcnt(1)
	v_mul_f64 v[58:59], v[106:107], v[58:59]
	s_lshl_b32 s47, s47, 3
	ds_write_b64 v73, v[56:57] offset:6272
	ds_write_b64 v75, v[58:59] offset:6272
	v_mov_b32_e32 v63, s47
	s_add_i32 s47, s46, s42
	v_fma_f64 v[60:61], -v[56:57], v[96:97], v[60:61]
	ds_read2_b64 v[64:67], v62 offset1:1
	ds_read2_b64 v[96:99], v63 offset1:1
	s_lshl_b32 s47, s47, 3
	v_mov_b32_e32 v62, s47
	s_add_i32 s47, s46, s41
	v_fma_f64 v[60:61], -v[58:59], v[104:105], v[60:61]
	s_lshl_b32 s47, s47, 3
	s_waitcnt lgkmcnt(4)
	v_mul_f64 v[60:61], v[68:69], v[60:61]
	v_mov_b32_e32 v63, s47
	s_add_i32 s47, s46, s40
	ds_write_b64 v77, v[60:61] offset:6272
	s_waitcnt lgkmcnt(2)
	v_fma_f64 v[38:39], -v[50:51], v[66:67], v[38:39]
	s_lshl_b32 s47, s47, 3
	s_waitcnt lgkmcnt(1)
	v_fma_f64 v[38:39], -v[52:53], v[98:99], v[38:39]
	ds_read2_b64 v[66:69], v62 offset1:1
	ds_read2_b64 v[98:101], v63 offset1:1
	v_mov_b32_e32 v62, s47
	s_add_i32 s47, s46, s39
	s_lshl_b32 s47, s47, 3
	v_mov_b32_e32 v63, s47
	s_add_i32 s47, s45, 0xfffffa90
	ds_read2_b64 v[104:107], v62 offset1:1
	ds_read2_b64 v[108:111], v63 offset1:1
	v_mov_b32_e32 v62, s47
	ds_read_b64 v[62:63], v62
	s_waitcnt lgkmcnt(4)
	v_fma_f64 v[38:39], -v[54:55], v[68:69], v[38:39]
	s_waitcnt lgkmcnt(3)
	v_fma_f64 v[38:39], -v[56:57], v[100:101], v[38:39]
	;; [unrolled: 2-line block ×3, first 2 shown]
	s_add_i32 s46, s46, s38
	s_waitcnt lgkmcnt(1)
	v_fma_f64 v[38:39], -v[60:61], v[110:111], v[38:39]
	s_lshl_b32 s46, s46, 3
	s_waitcnt lgkmcnt(0)
	v_mul_f64 v[62:63], v[62:63], v[38:39]
	v_fma_f64 v[36:37], -v[50:51], v[64:65], v[36:37]
	v_mov_b32_e32 v38, s46
	s_add_i32 s46, s45, 0xfffff9a8
	v_fma_f64 v[36:37], -v[52:53], v[96:97], v[36:37]
	ds_read_b64 v[38:39], v38
	v_mov_b32_e32 v64, s46
	v_fma_f64 v[36:37], -v[54:55], v[66:67], v[36:37]
	ds_read_b64 v[64:65], v64
	v_fma_f64 v[36:37], -v[56:57], v[98:99], v[36:37]
	v_fma_f64 v[36:37], -v[58:59], v[104:105], v[36:37]
	s_add_i32 s46, s30, -10
	v_fma_f64 v[36:37], -v[60:61], v[108:109], v[36:37]
	s_add_i32 s47, s46, s44
	s_waitcnt lgkmcnt(1)
	v_fma_f64 v[36:37], -v[62:63], v[38:39], v[36:37]
	s_lshl_b32 s47, s47, 3
	s_waitcnt lgkmcnt(0)
	v_mul_f64 v[64:65], v[64:65], v[36:37]
	v_mov_b32_e32 v36, s47
	s_add_i32 s47, s46, s43
	s_lshl_b32 s47, s47, 3
	v_mov_b32_e32 v66, s47
	s_add_i32 s47, s46, s42
	ds_write_b64 v79, v[62:63] offset:6272
	s_lshl_b32 s47, s47, 3
	ds_read2_b64 v[36:39], v36 offset1:1
	ds_read2_b64 v[96:99], v66 offset1:1
	v_mov_b32_e32 v66, s47
	s_add_i32 s47, s46, s41
	s_lshl_b32 s47, s47, 3
	v_mov_b32_e32 v67, s47
	s_add_i32 s47, s46, s40
	ds_read2_b64 v[104:107], v66 offset1:1
	ds_read2_b64 v[108:111], v67 offset1:1
	s_lshl_b32 s47, s47, 3
	s_waitcnt lgkmcnt(3)
	v_fma_f64 v[30:31], -v[50:51], v[38:39], v[30:31]
	v_mov_b32_e32 v38, s47
	s_add_i32 s47, s46, s39
	s_lshl_b32 s47, s47, 3
	s_waitcnt lgkmcnt(2)
	v_fma_f64 v[30:31], -v[52:53], v[98:99], v[30:31]
	v_mov_b32_e32 v39, s47
	s_add_i32 s47, s46, s38
	ds_write_b64 v81, v[64:65] offset:6272
	s_waitcnt lgkmcnt(2)
	v_fma_f64 v[30:31], -v[54:55], v[106:107], v[30:31]
	s_lshl_b32 s47, s47, 3
	s_waitcnt lgkmcnt(1)
	v_fma_f64 v[30:31], -v[56:57], v[110:111], v[30:31]
	ds_read2_b64 v[98:101], v38 offset1:1
	ds_read2_b64 v[110:113], v39 offset1:1
	v_mov_b32_e32 v38, s47
	s_add_i32 s47, s46, s37
	s_lshl_b32 s47, s47, 3
	v_mov_b32_e32 v39, s47
	s_add_i32 s47, s45, 0xfffff8c0
	ds_read2_b64 v[114:117], v38 offset1:1
	ds_read2_b64 v[118:121], v39 offset1:1
	v_mov_b32_e32 v38, s47
	ds_read_b64 v[38:39], v38
	s_waitcnt lgkmcnt(4)
	v_fma_f64 v[30:31], -v[58:59], v[100:101], v[30:31]
	s_waitcnt lgkmcnt(3)
	v_fma_f64 v[30:31], -v[60:61], v[112:113], v[30:31]
	;; [unrolled: 2-line block ×3, first 2 shown]
	v_fma_f64 v[24:25], -v[50:51], v[36:37], v[24:25]
	s_add_i32 s46, s46, s36
	s_waitcnt lgkmcnt(1)
	v_fma_f64 v[30:31], -v[64:65], v[120:121], v[30:31]
	v_fma_f64 v[24:25], -v[52:53], v[96:97], v[24:25]
	s_lshl_b32 s46, s46, 3
	s_waitcnt lgkmcnt(0)
	v_mul_f64 v[66:67], v[38:39], v[30:31]
	v_fma_f64 v[24:25], -v[54:55], v[104:105], v[24:25]
	v_mov_b32_e32 v30, s46
	s_addk_i32 s45, 0xf7d8
	v_fma_f64 v[24:25], -v[56:57], v[108:109], v[24:25]
	ds_read_b64 v[30:31], v30
	v_mov_b32_e32 v36, s45
	v_fma_f64 v[24:25], -v[58:59], v[98:99], v[24:25]
	ds_read_b64 v[36:37], v36
	v_fma_f64 v[24:25], -v[60:61], v[110:111], v[24:25]
	v_fma_f64 v[24:25], -v[62:63], v[114:115], v[24:25]
	s_add_i32 s45, s30, -12
	v_fma_f64 v[24:25], -v[64:65], v[118:119], v[24:25]
	s_add_i32 s46, s45, s44
	s_waitcnt lgkmcnt(1)
	v_fma_f64 v[24:25], -v[66:67], v[30:31], v[24:25]
	s_lshl_b32 s46, s46, 3
	s_waitcnt lgkmcnt(0)
	v_mul_f64 v[68:69], v[36:37], v[24:25]
	v_mov_b32_e32 v24, s46
	s_add_i32 s46, s45, s43
	s_lshl_b32 s46, s46, 3
	v_mov_b32_e32 v25, s46
	s_add_i32 s46, s45, s42
	ds_write_b64 v83, v[66:67] offset:6272
	s_lshl_b32 s46, s46, 3
	ds_read2_b64 v[36:39], v24 offset1:1
	ds_read2_b64 v[96:99], v25 offset1:1
	v_mov_b32_e32 v24, s46
	s_add_i32 s46, s45, s41
	s_lshl_b32 s46, s46, 3
	v_mov_b32_e32 v25, s46
	ds_read2_b64 v[104:107], v24 offset1:1
	ds_read2_b64 v[108:111], v25 offset1:1
	s_waitcnt lgkmcnt(3)
	v_fma_f64 v[22:23], -v[50:51], v[38:39], v[22:23]
	s_waitcnt lgkmcnt(2)
	v_fma_f64 v[22:23], -v[52:53], v[98:99], v[22:23]
	s_add_i32 s46, s45, s40
	s_waitcnt lgkmcnt(1)
	v_fma_f64 v[22:23], -v[54:55], v[106:107], v[22:23]
	s_lshl_b32 s46, s46, 3
	s_waitcnt lgkmcnt(0)
	v_fma_f64 v[30:31], -v[56:57], v[110:111], v[22:23]
	v_mov_b32_e32 v22, s46
	ds_read2_b64 v[22:25], v22 offset1:1
	s_add_i32 s46, s45, s39
	s_lshl_b32 s46, s46, 3
	v_mov_b32_e32 v38, s46
	ds_read2_b64 v[98:101], v38 offset1:1
	s_add_i32 s46, s45, s38
	s_lshl_b32 s46, s46, 3
	s_waitcnt lgkmcnt(1)
	v_fma_f64 v[24:25], -v[58:59], v[24:25], v[30:31]
	v_mov_b32_e32 v30, s46
	s_add_i32 s46, s45, s37
	s_lshl_b32 s46, s46, 3
	v_mov_b32_e32 v31, s46
	s_add_i32 s46, s45, s36
	ds_write_b64 v70, v[68:69] offset:6272
	s_lshl_b32 s46, s46, 3
	ds_read2_b64 v[110:113], v30 offset1:1
	ds_read2_b64 v[114:117], v31 offset1:1
	v_mov_b32_e32 v30, s46
	s_add_i32 s46, s45, s35
	s_lshl_b32 s46, s46, 3
	v_mov_b32_e32 v31, s46
	ds_read2_b64 v[118:121], v30 offset1:1
	ds_read2_b64 v[122:125], v31 offset1:1
	s_waitcnt lgkmcnt(5)
	v_fma_f64 v[24:25], -v[60:61], v[100:101], v[24:25]
	v_fma_f64 v[20:21], -v[50:51], v[36:37], v[20:21]
	s_waitcnt lgkmcnt(3)
	v_fma_f64 v[24:25], -v[62:63], v[112:113], v[24:25]
	s_add_i32 s45, s45, s34
	v_fma_f64 v[20:21], -v[52:53], v[96:97], v[20:21]
	s_waitcnt lgkmcnt(2)
	v_fma_f64 v[24:25], -v[64:65], v[116:117], v[24:25]
	s_lshl_b32 s45, s45, 3
	v_fma_f64 v[20:21], -v[54:55], v[104:105], v[20:21]
	s_waitcnt lgkmcnt(1)
	v_fma_f64 v[24:25], -v[66:67], v[120:121], v[24:25]
	v_mov_b32_e32 v30, s45
	s_mul_i32 s45, s30, 0xe8
	v_fma_f64 v[20:21], -v[56:57], v[108:109], v[20:21]
	s_waitcnt lgkmcnt(0)
	v_fma_f64 v[24:25], -v[68:69], v[124:125], v[24:25]
	ds_read2_b64 v[124:127], v30 offset1:1
	s_add_i32 s46, s45, 0xfffff520
	v_fma_f64 v[20:21], -v[58:59], v[22:23], v[20:21]
	v_mov_b32_e32 v30, s46
	v_fma_f64 v[20:21], -v[60:61], v[98:99], v[20:21]
	ds_read_b64 v[30:31], v30
	v_fma_f64 v[20:21], -v[62:63], v[110:111], v[20:21]
	v_fma_f64 v[20:21], -v[64:65], v[114:115], v[20:21]
	;; [unrolled: 1-line block ×3, first 2 shown]
	s_add_i32 s46, s30, -14
	s_waitcnt lgkmcnt(1)
	v_mul_f64 v[70:71], v[126:127], v[24:25]
	v_fma_f64 v[20:21], -v[68:69], v[122:123], v[20:21]
	s_add_i32 s47, s46, s44
	v_fma_f64 v[20:21], -v[70:71], v[124:125], v[20:21]
	s_lshl_b32 s47, s47, 3
	ds_write_b64 v72, v[70:71] offset:6272
	s_waitcnt lgkmcnt(1)
	v_mul_f64 v[72:73], v[30:31], v[20:21]
	v_mov_b32_e32 v20, s47
	s_add_i32 s47, s46, s43
	s_lshl_b32 s47, s47, 3
	v_mov_b32_e32 v24, s47
	s_add_i32 s47, s46, s42
	s_lshl_b32 s47, s47, 3
	ds_read2_b64 v[20:23], v20 offset1:1
	ds_read2_b64 v[36:39], v24 offset1:1
	v_mov_b32_e32 v24, s47
	s_add_i32 s47, s46, s41
	s_lshl_b32 s47, s47, 3
	v_mov_b32_e32 v25, s47
	s_add_i32 s47, s46, s40
	s_lshl_b32 s47, s47, 3
	ds_read2_b64 v[96:99], v24 offset1:1
	ds_read2_b64 v[104:107], v25 offset1:1
	s_waitcnt lgkmcnt(3)
	v_fma_f64 v[18:19], -v[50:51], v[22:23], v[18:19]
	v_mov_b32_e32 v22, s47
	ds_read2_b64 v[22:25], v22 offset1:1
	s_add_i32 s47, s46, s39
	s_waitcnt lgkmcnt(3)
	v_fma_f64 v[18:19], -v[52:53], v[38:39], v[18:19]
	s_lshl_b32 s47, s47, 3
	s_waitcnt lgkmcnt(2)
	v_fma_f64 v[18:19], -v[54:55], v[98:99], v[18:19]
	v_mov_b32_e32 v30, s47
	ds_read2_b64 v[98:101], v30 offset1:1
	s_add_i32 s47, s46, s38
	s_waitcnt lgkmcnt(2)
	v_fma_f64 v[18:19], -v[56:57], v[106:107], v[18:19]
	s_lshl_b32 s47, s47, 3
	s_waitcnt lgkmcnt(1)
	v_fma_f64 v[18:19], -v[58:59], v[24:25], v[18:19]
	v_mov_b32_e32 v24, s47
	s_add_i32 s47, s46, s37
	s_lshl_b32 s47, s47, 3
	v_mov_b32_e32 v25, s47
	s_add_i32 s47, s46, s36
	ds_write_b64 v74, v[72:73] offset:6272
	s_lshl_b32 s47, s47, 3
	ds_read2_b64 v[106:109], v24 offset1:1
	ds_read2_b64 v[110:113], v25 offset1:1
	v_mov_b32_e32 v24, s47
	s_add_i32 s47, s46, s35
	s_lshl_b32 s47, s47, 3
	v_mov_b32_e32 v25, s47
	ds_read2_b64 v[114:117], v24 offset1:1
	ds_read2_b64 v[118:121], v25 offset1:1
	s_waitcnt lgkmcnt(5)
	v_fma_f64 v[18:19], -v[60:61], v[100:101], v[18:19]
	s_add_i32 s47, s46, s34
	v_fma_f64 v[16:17], -v[50:51], v[20:21], v[16:17]
	s_waitcnt lgkmcnt(3)
	v_fma_f64 v[18:19], -v[62:63], v[108:109], v[18:19]
	s_lshl_b32 s47, s47, 3
	v_fma_f64 v[16:17], -v[52:53], v[36:37], v[16:17]
	s_waitcnt lgkmcnt(2)
	v_fma_f64 v[18:19], -v[64:65], v[112:113], v[18:19]
	v_mov_b32_e32 v24, s47
	s_add_i32 s47, s46, s33
	v_fma_f64 v[16:17], -v[54:55], v[96:97], v[16:17]
	s_waitcnt lgkmcnt(1)
	v_fma_f64 v[18:19], -v[66:67], v[116:117], v[18:19]
	s_lshl_b32 s47, s47, 3
	s_add_i32 s46, s46, s29
	v_fma_f64 v[16:17], -v[56:57], v[104:105], v[16:17]
	s_waitcnt lgkmcnt(0)
	v_fma_f64 v[18:19], -v[68:69], v[120:121], v[18:19]
	ds_read2_b64 v[120:123], v24 offset1:1
	v_mov_b32_e32 v24, s47
	s_lshl_b32 s46, s46, 3
	v_fma_f64 v[16:17], -v[58:59], v[22:23], v[16:17]
	ds_read2_b64 v[124:127], v24 offset1:1
	v_mov_b32_e32 v24, s46
	v_fma_f64 v[16:17], -v[60:61], v[98:99], v[16:17]
	ds_read2_b64 v[128:131], v24 offset1:1
	s_add_i32 s46, s45, 0xfffff350
	v_fma_f64 v[16:17], -v[62:63], v[106:107], v[16:17]
	v_mov_b32_e32 v24, s46
	v_fma_f64 v[16:17], -v[64:65], v[110:111], v[16:17]
	ds_read_b64 v[24:25], v24
	v_fma_f64 v[16:17], -v[66:67], v[114:115], v[16:17]
	s_waitcnt lgkmcnt(3)
	v_fma_f64 v[18:19], -v[70:71], v[122:123], v[18:19]
	v_fma_f64 v[16:17], -v[68:69], v[118:119], v[16:17]
	s_waitcnt lgkmcnt(2)
	v_fma_f64 v[18:19], -v[72:73], v[126:127], v[18:19]
	v_fma_f64 v[16:17], -v[70:71], v[120:121], v[16:17]
	s_add_i32 s46, s30, -16
	s_waitcnt lgkmcnt(1)
	v_mul_f64 v[74:75], v[130:131], v[18:19]
	v_fma_f64 v[16:17], -v[72:73], v[124:125], v[16:17]
	s_add_i32 s47, s46, s44
	v_fma_f64 v[16:17], -v[74:75], v[128:129], v[16:17]
	s_lshl_b32 s47, s47, 3
	ds_write_b64 v76, v[74:75] offset:6272
	s_waitcnt lgkmcnt(1)
	v_mul_f64 v[76:77], v[24:25], v[16:17]
	v_mov_b32_e32 v16, s47
	ds_read2_b64 v[16:19], v16 offset1:1
	s_add_i32 s47, s46, s43
	s_lshl_b32 s47, s47, 3
	v_mov_b32_e32 v20, s47
	ds_read2_b64 v[20:23], v20 offset1:1
	s_add_i32 s47, s46, s42
	s_lshl_b32 s47, s47, 3
	s_waitcnt lgkmcnt(1)
	v_fma_f64 v[8:9], -v[50:51], v[18:19], v[8:9]
	v_mov_b32_e32 v18, s47
	s_add_i32 s47, s46, s41
	s_lshl_b32 s47, s47, 3
	v_mov_b32_e32 v19, s47
	s_add_i32 s47, s46, s40
	ds_write_b64 v78, v[76:77] offset:6272
	s_lshl_b32 s47, s47, 3
	ds_read2_b64 v[36:39], v18 offset1:1
	ds_read2_b64 v[96:99], v19 offset1:1
	v_mov_b32_e32 v18, s47
	s_add_i32 s47, s46, s39
	s_lshl_b32 s47, s47, 3
	v_mov_b32_e32 v19, s47
	s_add_i32 s47, s46, s38
	s_lshl_b32 s47, s47, 3
	ds_read2_b64 v[104:107], v18 offset1:1
	ds_read2_b64 v[108:111], v19 offset1:1
	v_mov_b32_e32 v18, s47
	s_add_i32 s47, s46, s37
	s_lshl_b32 s47, s47, 3
	s_waitcnt lgkmcnt(5)
	v_fma_f64 v[8:9], -v[52:53], v[22:23], v[8:9]
	ds_read2_b64 v[22:25], v18 offset1:1
	v_mov_b32_e32 v18, s47
	s_add_i32 s47, s46, s36
	s_waitcnt lgkmcnt(4)
	v_fma_f64 v[8:9], -v[54:55], v[38:39], v[8:9]
	s_lshl_b32 s47, s47, 3
	s_waitcnt lgkmcnt(3)
	v_fma_f64 v[8:9], -v[56:57], v[98:99], v[8:9]
	ds_read2_b64 v[98:101], v18 offset1:1
	v_mov_b32_e32 v18, s47
	s_add_i32 s47, s46, s35
	s_lshl_b32 s47, s47, 3
	v_mov_b32_e32 v19, s47
	s_add_i32 s47, s46, s34
	s_waitcnt lgkmcnt(3)
	v_fma_f64 v[8:9], -v[58:59], v[106:107], v[8:9]
	s_lshl_b32 s47, s47, 3
	s_waitcnt lgkmcnt(2)
	v_fma_f64 v[8:9], -v[60:61], v[110:111], v[8:9]
	ds_read2_b64 v[110:113], v18 offset1:1
	ds_read2_b64 v[114:117], v19 offset1:1
	v_mov_b32_e32 v18, s47
	s_add_i32 s47, s46, s33
	v_fma_f64 v[6:7], -v[50:51], v[16:17], v[6:7]
	s_lshl_b32 s47, s47, 3
	v_fma_f64 v[6:7], -v[52:53], v[20:21], v[6:7]
	s_waitcnt lgkmcnt(3)
	v_fma_f64 v[8:9], -v[62:63], v[24:25], v[8:9]
	v_mov_b32_e32 v19, s47
	ds_read2_b64 v[118:121], v18 offset1:1
	ds_read2_b64 v[122:125], v19 offset1:1
	v_fma_f64 v[6:7], -v[54:55], v[36:37], v[6:7]
	s_waitcnt lgkmcnt(4)
	v_fma_f64 v[8:9], -v[64:65], v[100:101], v[8:9]
	s_add_i32 s47, s46, s29
	v_fma_f64 v[6:7], -v[56:57], v[96:97], v[6:7]
	s_waitcnt lgkmcnt(3)
	v_fma_f64 v[8:9], -v[66:67], v[112:113], v[8:9]
	s_lshl_b32 s47, s47, 3
	v_fma_f64 v[6:7], -v[58:59], v[104:105], v[6:7]
	s_waitcnt lgkmcnt(2)
	v_fma_f64 v[8:9], -v[68:69], v[116:117], v[8:9]
	v_mov_b32_e32 v18, s47
	s_add_i32 s47, s46, s28
	v_fma_f64 v[6:7], -v[60:61], v[108:109], v[6:7]
	s_waitcnt lgkmcnt(1)
	v_fma_f64 v[8:9], -v[70:71], v[120:121], v[8:9]
	s_lshl_b32 s47, s47, 3
	s_add_i32 s46, s46, s27
	v_fma_f64 v[6:7], -v[62:63], v[22:23], v[6:7]
	s_waitcnt lgkmcnt(0)
	v_fma_f64 v[8:9], -v[72:73], v[124:125], v[8:9]
	ds_read2_b64 v[124:127], v18 offset1:1
	v_mov_b32_e32 v18, s47
	s_lshl_b32 s46, s46, 3
	v_fma_f64 v[6:7], -v[64:65], v[98:99], v[6:7]
	ds_read2_b64 v[128:131], v18 offset1:1
	v_mov_b32_e32 v18, s46
	v_fma_f64 v[6:7], -v[66:67], v[110:111], v[6:7]
	ds_read2_b64 v[132:135], v18 offset1:1
	s_add_i32 s46, s45, 0xfffff180
	v_fma_f64 v[6:7], -v[68:69], v[114:115], v[6:7]
	v_mov_b32_e32 v18, s46
	v_fma_f64 v[6:7], -v[70:71], v[118:119], v[6:7]
	s_sub_i32 s46, s30, 18
	v_fma_f64 v[6:7], -v[72:73], v[122:123], v[6:7]
	s_add_i32 s47, s46, s44
	s_waitcnt lgkmcnt(2)
	v_fma_f64 v[8:9], -v[74:75], v[126:127], v[8:9]
	v_fma_f64 v[6:7], -v[74:75], v[124:125], v[6:7]
	s_lshl_b32 s47, s47, 3
	s_waitcnt lgkmcnt(1)
	v_fma_f64 v[8:9], -v[76:77], v[130:131], v[8:9]
	v_fma_f64 v[20:21], -v[76:77], v[128:129], v[6:7]
	v_mov_b32_e32 v6, s47
	s_add_i32 s47, s46, s43
	s_waitcnt lgkmcnt(0)
	v_mul_f64 v[78:79], v[134:135], v[8:9]
	s_lshl_b32 s47, s47, 3
	ds_write_b64 v80, v[78:79] offset:6272
	v_mov_b32_e32 v16, s47
	ds_read_b64 v[24:25], v18
	ds_read2_b64 v[6:9], v6 offset1:1
	ds_read2_b64 v[16:19], v16 offset1:1
	s_add_i32 s47, s46, s42
	s_lshl_b32 s47, s47, 3
	v_fma_f64 v[20:21], -v[78:79], v[132:133], v[20:21]
	s_waitcnt lgkmcnt(1)
	v_fma_f64 v[4:5], -v[50:51], v[8:9], v[4:5]
	v_mov_b32_e32 v8, s47
	s_add_i32 s47, s46, s41
	s_lshl_b32 s47, s47, 3
	v_mul_f64 v[80:81], v[24:25], v[20:21]
	s_waitcnt lgkmcnt(0)
	v_fma_f64 v[4:5], -v[52:53], v[18:19], v[4:5]
	ds_read2_b64 v[18:21], v8 offset1:1
	v_mov_b32_e32 v8, s47
	s_add_i32 s47, s46, s40
	s_lshl_b32 s47, s47, 3
	ds_read2_b64 v[22:25], v8 offset1:1
	v_mov_b32_e32 v8, s47
	s_add_i32 s47, s46, s39
	s_lshl_b32 s47, s47, 3
	v_mov_b32_e32 v9, s47
	s_add_i32 s47, s46, s38
	ds_write_b64 v82, v[80:81] offset:6272
	s_lshl_b32 s47, s47, 3
	ds_read2_b64 v[36:39], v8 offset1:1
	ds_read2_b64 v[96:99], v9 offset1:1
	v_mov_b32_e32 v8, s47
	s_add_i32 s47, s46, s37
	s_lshl_b32 s47, s47, 3
	v_mov_b32_e32 v9, s47
	s_add_i32 s47, s46, s36
	s_waitcnt lgkmcnt(4)
	v_fma_f64 v[4:5], -v[54:55], v[20:21], v[4:5]
	ds_read2_b64 v[104:107], v8 offset1:1
	ds_read2_b64 v[108:111], v9 offset1:1
	s_lshl_b32 s47, s47, 3
	s_waitcnt lgkmcnt(5)
	v_fma_f64 v[4:5], -v[56:57], v[24:25], v[4:5]
	v_mov_b32_e32 v8, s47
	s_add_i32 s47, s46, s35
	s_waitcnt lgkmcnt(3)
	v_fma_f64 v[4:5], -v[58:59], v[38:39], v[4:5]
	s_lshl_b32 s47, s47, 3
	s_waitcnt lgkmcnt(2)
	v_fma_f64 v[4:5], -v[60:61], v[98:99], v[4:5]
	ds_read2_b64 v[98:101], v8 offset1:1
	v_mov_b32_e32 v8, s47
	s_add_i32 s47, s46, s34
	s_waitcnt lgkmcnt(2)
	v_fma_f64 v[4:5], -v[62:63], v[106:107], v[4:5]
	s_lshl_b32 s47, s47, 3
	s_waitcnt lgkmcnt(1)
	v_fma_f64 v[4:5], -v[64:65], v[110:111], v[4:5]
	ds_read2_b64 v[110:113], v8 offset1:1
	v_mov_b32_e32 v8, s47
	s_add_i32 s47, s46, s33
	s_lshl_b32 s47, s47, 3
	v_mov_b32_e32 v9, s47
	s_add_i32 s47, s46, s29
	s_lshl_b32 s47, s47, 3
	v_fma_f64 v[2:3], -v[50:51], v[6:7], v[2:3]
	ds_read2_b64 v[114:117], v8 offset1:1
	ds_read2_b64 v[118:121], v9 offset1:1
	v_mov_b32_e32 v8, s47
	s_add_i32 s47, s46, s28
	v_fma_f64 v[2:3], -v[52:53], v[16:17], v[2:3]
	s_lshl_b32 s47, s47, 3
	v_fma_f64 v[2:3], -v[54:55], v[18:19], v[2:3]
	s_waitcnt lgkmcnt(3)
	v_fma_f64 v[4:5], -v[66:67], v[100:101], v[4:5]
	v_mov_b32_e32 v9, s47
	ds_read2_b64 v[122:125], v8 offset1:1
	ds_read2_b64 v[126:129], v9 offset1:1
	v_fma_f64 v[2:3], -v[56:57], v[22:23], v[2:3]
	s_waitcnt lgkmcnt(4)
	v_fma_f64 v[4:5], -v[68:69], v[112:113], v[4:5]
	s_add_i32 s47, s46, s27
	v_fma_f64 v[2:3], -v[58:59], v[36:37], v[2:3]
	s_waitcnt lgkmcnt(3)
	v_fma_f64 v[4:5], -v[70:71], v[116:117], v[4:5]
	s_lshl_b32 s47, s47, 3
	v_fma_f64 v[2:3], -v[60:61], v[96:97], v[2:3]
	s_waitcnt lgkmcnt(2)
	v_fma_f64 v[4:5], -v[72:73], v[120:121], v[4:5]
	v_mov_b32_e32 v8, s47
	s_add_i32 s47, s46, s26
	v_fma_f64 v[2:3], -v[62:63], v[104:105], v[2:3]
	s_waitcnt lgkmcnt(1)
	v_fma_f64 v[4:5], -v[74:75], v[124:125], v[4:5]
	s_lshl_b32 s47, s47, 3
	s_add_i32 s46, s46, s25
	v_fma_f64 v[2:3], -v[64:65], v[108:109], v[2:3]
	s_waitcnt lgkmcnt(0)
	v_fma_f64 v[4:5], -v[76:77], v[128:129], v[4:5]
	ds_read2_b64 v[128:131], v8 offset1:1
	v_mov_b32_e32 v8, s47
	s_lshl_b32 s46, s46, 3
	v_fma_f64 v[2:3], -v[66:67], v[98:99], v[2:3]
	ds_read2_b64 v[132:135], v8 offset1:1
	v_mov_b32_e32 v8, s46
	v_fma_f64 v[2:3], -v[68:69], v[110:111], v[2:3]
	ds_read2_b64 v[136:139], v8 offset1:1
	s_add_i32 s46, s45, 0xffffefb0
	v_fma_f64 v[2:3], -v[70:71], v[114:115], v[2:3]
	v_mov_b32_e32 v8, s46
	v_fma_f64 v[2:3], -v[72:73], v[118:119], v[2:3]
	ds_read_b64 v[8:9], v8
	v_fma_f64 v[2:3], -v[74:75], v[122:123], v[2:3]
	s_waitcnt lgkmcnt(3)
	v_fma_f64 v[4:5], -v[78:79], v[130:131], v[4:5]
	v_fma_f64 v[2:3], -v[76:77], v[126:127], v[2:3]
	s_waitcnt lgkmcnt(2)
	v_fma_f64 v[4:5], -v[80:81], v[134:135], v[4:5]
	v_fma_f64 v[2:3], -v[78:79], v[128:129], v[2:3]
	s_sub_i32 s46, s30, 20
	s_waitcnt lgkmcnt(1)
	v_mul_f64 v[82:83], v[138:139], v[4:5]
	v_fma_f64 v[2:3], -v[80:81], v[132:133], v[2:3]
	s_add_i32 s47, s46, s44
	v_fma_f64 v[2:3], -v[82:83], v[136:137], v[2:3]
	s_lshl_b32 s47, s47, 3
	ds_write_b64 v84, v[82:83] offset:6272
	s_waitcnt lgkmcnt(1)
	v_mul_f64 v[84:85], v[8:9], v[2:3]
	v_mov_b32_e32 v2, s47
	s_add_i32 s47, s46, s43
	s_lshl_b32 s47, s47, 3
	v_mov_b32_e32 v6, s47
	s_add_i32 s47, s46, s42
	s_lshl_b32 s47, s47, 3
	v_mov_b32_e32 v16, s47
	s_add_i32 s47, s46, s41
	ds_read2_b64 v[2:5], v2 offset1:1
	ds_read2_b64 v[6:9], v6 offset1:1
	s_lshl_b32 s47, s47, 3
	v_mov_b32_e32 v20, s47
	ds_read2_b64 v[16:19], v16 offset1:1
	ds_read2_b64 v[20:23], v20 offset1:1
	s_add_i32 s47, s46, s40
	s_waitcnt lgkmcnt(3)
	v_fma_f64 v[4:5], -v[50:51], v[4:5], v[14:15]
	s_lshl_b32 s47, s47, 3
	s_waitcnt lgkmcnt(2)
	v_fma_f64 v[4:5], -v[52:53], v[8:9], v[4:5]
	v_mov_b32_e32 v8, s47
	s_add_i32 s47, s46, s39
	s_waitcnt lgkmcnt(1)
	v_fma_f64 v[4:5], -v[54:55], v[18:19], v[4:5]
	s_lshl_b32 s47, s47, 3
	s_waitcnt lgkmcnt(0)
	v_fma_f64 v[4:5], -v[56:57], v[22:23], v[4:5]
	ds_read2_b64 v[22:25], v8 offset1:1
	v_mov_b32_e32 v8, s47
	s_add_i32 s47, s46, s38
	s_lshl_b32 s47, s47, 3
	ds_read2_b64 v[36:39], v8 offset1:1
	v_mov_b32_e32 v8, s47
	s_add_i32 s47, s46, s37
	s_lshl_b32 s47, s47, 3
	v_mov_b32_e32 v9, s47
	s_add_i32 s47, s46, s36
	ds_write_b64 v86, v[84:85] offset:6272
	s_lshl_b32 s47, s47, 3
	ds_read2_b64 v[96:99], v8 offset1:1
	ds_read2_b64 v[104:107], v9 offset1:1
	v_mov_b32_e32 v8, s47
	s_add_i32 s47, s46, s35
	s_lshl_b32 s47, s47, 3
	v_mov_b32_e32 v9, s47
	s_add_i32 s47, s46, s34
	s_waitcnt lgkmcnt(4)
	v_fma_f64 v[4:5], -v[58:59], v[24:25], v[4:5]
	ds_read2_b64 v[108:111], v8 offset1:1
	ds_read2_b64 v[112:115], v9 offset1:1
	s_lshl_b32 s47, s47, 3
	s_waitcnt lgkmcnt(5)
	v_fma_f64 v[4:5], -v[60:61], v[38:39], v[4:5]
	v_mov_b32_e32 v8, s47
	s_add_i32 s47, s46, s33
	s_waitcnt lgkmcnt(3)
	v_fma_f64 v[4:5], -v[62:63], v[98:99], v[4:5]
	s_lshl_b32 s47, s47, 3
	s_waitcnt lgkmcnt(2)
	v_fma_f64 v[4:5], -v[64:65], v[106:107], v[4:5]
	ds_read2_b64 v[98:101], v8 offset1:1
	v_mov_b32_e32 v8, s47
	s_add_i32 s47, s46, s29
	s_waitcnt lgkmcnt(2)
	v_fma_f64 v[4:5], -v[66:67], v[110:111], v[4:5]
	s_lshl_b32 s47, s47, 3
	s_waitcnt lgkmcnt(1)
	v_fma_f64 v[4:5], -v[68:69], v[114:115], v[4:5]
	ds_read2_b64 v[114:117], v8 offset1:1
	v_mov_b32_e32 v8, s47
	s_add_i32 s47, s46, s28
	s_lshl_b32 s47, s47, 3
	v_fma_f64 v[2:3], -v[50:51], v[2:3], v[12:13]
	v_mov_b32_e32 v9, s47
	s_add_i32 s47, s46, s27
	v_fma_f64 v[2:3], -v[52:53], v[6:7], v[2:3]
	s_lshl_b32 s47, s47, 3
	v_fma_f64 v[2:3], -v[54:55], v[16:17], v[2:3]
	ds_read2_b64 v[118:121], v8 offset1:1
	ds_read2_b64 v[122:125], v9 offset1:1
	v_mov_b32_e32 v8, s47
	s_add_i32 s47, s46, s26
	v_fma_f64 v[2:3], -v[56:57], v[20:21], v[2:3]
	s_lshl_b32 s47, s47, 3
	v_fma_f64 v[2:3], -v[58:59], v[22:23], v[2:3]
	s_waitcnt lgkmcnt(3)
	v_fma_f64 v[4:5], -v[70:71], v[100:101], v[4:5]
	v_mov_b32_e32 v9, s47
	ds_read2_b64 v[126:129], v8 offset1:1
	ds_read2_b64 v[130:133], v9 offset1:1
	v_fma_f64 v[2:3], -v[60:61], v[36:37], v[2:3]
	s_waitcnt lgkmcnt(4)
	v_fma_f64 v[4:5], -v[72:73], v[116:117], v[4:5]
	s_add_i32 s47, s46, s25
	v_fma_f64 v[2:3], -v[62:63], v[96:97], v[2:3]
	s_waitcnt lgkmcnt(3)
	v_fma_f64 v[4:5], -v[74:75], v[120:121], v[4:5]
	s_lshl_b32 s47, s47, 3
	v_fma_f64 v[2:3], -v[64:65], v[104:105], v[2:3]
	s_waitcnt lgkmcnt(2)
	v_fma_f64 v[4:5], -v[76:77], v[124:125], v[4:5]
	v_mov_b32_e32 v8, s47
	s_add_i32 s47, s46, s21
	v_fma_f64 v[2:3], -v[66:67], v[108:109], v[2:3]
	s_waitcnt lgkmcnt(1)
	v_fma_f64 v[4:5], -v[78:79], v[128:129], v[4:5]
	s_lshl_b32 s47, s47, 3
	s_add_i32 s46, s46, s20
	v_fma_f64 v[2:3], -v[68:69], v[112:113], v[2:3]
	s_waitcnt lgkmcnt(0)
	v_fma_f64 v[4:5], -v[80:81], v[132:133], v[4:5]
	ds_read2_b64 v[132:135], v8 offset1:1
	v_mov_b32_e32 v8, s47
	s_lshl_b32 s46, s46, 3
	v_fma_f64 v[2:3], -v[70:71], v[98:99], v[2:3]
	ds_read2_b64 v[136:139], v8 offset1:1
	v_mov_b32_e32 v8, s46
	v_fma_f64 v[2:3], -v[72:73], v[114:115], v[2:3]
	ds_read2_b64 v[140:143], v8 offset1:1
	s_add_i32 s46, s45, 0xffffede0
	v_fma_f64 v[2:3], -v[74:75], v[118:119], v[2:3]
	v_mov_b32_e32 v8, s46
	v_fma_f64 v[2:3], -v[76:77], v[122:123], v[2:3]
	ds_read_b64 v[8:9], v8
	v_fma_f64 v[2:3], -v[78:79], v[126:127], v[2:3]
	s_waitcnt lgkmcnt(3)
	v_fma_f64 v[4:5], -v[82:83], v[134:135], v[4:5]
	v_fma_f64 v[2:3], -v[80:81], v[130:131], v[2:3]
	s_waitcnt lgkmcnt(2)
	v_fma_f64 v[4:5], -v[84:85], v[138:139], v[4:5]
	v_fma_f64 v[2:3], -v[82:83], v[132:133], v[2:3]
	s_sub_i32 s46, s30, 22
	s_waitcnt lgkmcnt(1)
	v_mul_f64 v[86:87], v[142:143], v[4:5]
	v_fma_f64 v[2:3], -v[84:85], v[136:137], v[2:3]
	s_add_i32 s47, s46, s44
	v_fma_f64 v[2:3], -v[86:87], v[140:141], v[2:3]
	s_lshl_b32 s47, s47, 3
	ds_write_b64 v88, v[86:87] offset:6272
	s_waitcnt lgkmcnt(1)
	v_mul_f64 v[88:89], v[8:9], v[2:3]
	v_mov_b32_e32 v2, s47
	ds_read2_b64 v[2:5], v2 offset1:1
	s_add_i32 s47, s46, s43
	s_lshl_b32 s47, s47, 3
	v_mov_b32_e32 v6, s47
	ds_read2_b64 v[6:9], v6 offset1:1
	s_add_i32 s47, s46, s42
	s_lshl_b32 s47, s47, 3
	s_waitcnt lgkmcnt(1)
	v_fma_f64 v[4:5], -v[50:51], v[4:5], v[10:11]
	v_mov_b32_e32 v10, s47
	s_add_i32 s47, s46, s41
	s_lshl_b32 s47, s47, 3
	v_mov_b32_e32 v14, s47
	s_add_i32 s47, s46, s40
	s_lshl_b32 s47, s47, 3
	v_mov_b32_e32 v18, s47
	s_add_i32 s47, s46, s39
	s_lshl_b32 s47, s47, 3
	v_mov_b32_e32 v22, s47
	s_add_i32 s47, s46, s38
	s_lshl_b32 s47, s47, 3
	s_waitcnt lgkmcnt(0)
	v_fma_f64 v[4:5], -v[52:53], v[8:9], v[4:5]
	v_mov_b32_e32 v8, s47
	s_add_i32 s47, s46, s37
	ds_write_b64 v90, v[88:89] offset:6272
	s_lshl_b32 s47, s47, 3
	ds_read2_b64 v[10:13], v10 offset1:1
	ds_read2_b64 v[14:17], v14 offset1:1
	;; [unrolled: 1-line block ×5, first 2 shown]
	v_mov_b32_e32 v8, s47
	s_add_i32 s47, s46, s36
	s_lshl_b32 s47, s47, 3
	ds_read2_b64 v[96:99], v8 offset1:1
	v_mov_b32_e32 v8, s47
	s_add_i32 s47, s46, s35
	s_lshl_b32 s47, s47, 3
	v_mov_b32_e32 v9, s47
	s_add_i32 s47, s46, s34
	s_waitcnt lgkmcnt(5)
	v_fma_f64 v[4:5], -v[54:55], v[12:13], v[4:5]
	s_lshl_b32 s47, s47, 3
	s_waitcnt lgkmcnt(4)
	v_fma_f64 v[4:5], -v[56:57], v[16:17], v[4:5]
	ds_read2_b64 v[104:107], v8 offset1:1
	ds_read2_b64 v[108:111], v9 offset1:1
	v_mov_b32_e32 v8, s47
	s_add_i32 s47, s46, s33
	s_waitcnt lgkmcnt(5)
	v_fma_f64 v[4:5], -v[58:59], v[20:21], v[4:5]
	s_lshl_b32 s47, s47, 3
	s_waitcnt lgkmcnt(4)
	v_fma_f64 v[4:5], -v[60:61], v[24:25], v[4:5]
	v_mov_b32_e32 v9, s47
	s_add_i32 s47, s46, s29
	s_waitcnt lgkmcnt(3)
	v_fma_f64 v[4:5], -v[62:63], v[38:39], v[4:5]
	ds_read2_b64 v[112:115], v8 offset1:1
	ds_read2_b64 v[116:119], v9 offset1:1
	s_lshl_b32 s47, s47, 3
	s_waitcnt lgkmcnt(4)
	v_fma_f64 v[4:5], -v[64:65], v[98:99], v[4:5]
	v_mov_b32_e32 v8, s47
	s_add_i32 s47, s46, s28
	s_waitcnt lgkmcnt(3)
	v_fma_f64 v[4:5], -v[66:67], v[106:107], v[4:5]
	s_lshl_b32 s47, s47, 3
	s_waitcnt lgkmcnt(2)
	v_fma_f64 v[4:5], -v[68:69], v[110:111], v[4:5]
	ds_read2_b64 v[98:101], v8 offset1:1
	v_mov_b32_e32 v8, s47
	s_add_i32 s47, s46, s27
	v_fma_f64 v[2:3], -v[50:51], v[2:3], v[28:29]
	s_waitcnt lgkmcnt(2)
	v_fma_f64 v[4:5], -v[70:71], v[114:115], v[4:5]
	s_lshl_b32 s47, s47, 3
	v_fma_f64 v[2:3], -v[52:53], v[6:7], v[2:3]
	s_waitcnt lgkmcnt(1)
	v_fma_f64 v[4:5], -v[72:73], v[118:119], v[4:5]
	ds_read2_b64 v[118:121], v8 offset1:1
	v_mov_b32_e32 v8, s47
	s_add_i32 s47, s46, s26
	v_fma_f64 v[2:3], -v[54:55], v[10:11], v[2:3]
	s_lshl_b32 s47, s47, 3
	v_fma_f64 v[2:3], -v[56:57], v[14:15], v[2:3]
	v_mov_b32_e32 v9, s47
	s_add_i32 s47, s46, s25
	v_fma_f64 v[2:3], -v[58:59], v[18:19], v[2:3]
	s_lshl_b32 s47, s47, 3
	v_fma_f64 v[2:3], -v[60:61], v[22:23], v[2:3]
	ds_read2_b64 v[122:125], v8 offset1:1
	ds_read2_b64 v[126:129], v9 offset1:1
	v_mov_b32_e32 v8, s47
	s_add_i32 s47, s46, s21
	v_fma_f64 v[2:3], -v[62:63], v[36:37], v[2:3]
	s_lshl_b32 s47, s47, 3
	v_fma_f64 v[2:3], -v[64:65], v[96:97], v[2:3]
	s_waitcnt lgkmcnt(3)
	v_fma_f64 v[4:5], -v[74:75], v[100:101], v[4:5]
	v_mov_b32_e32 v9, s47
	ds_read2_b64 v[130:133], v8 offset1:1
	ds_read2_b64 v[134:137], v9 offset1:1
	v_fma_f64 v[2:3], -v[66:67], v[104:105], v[2:3]
	s_waitcnt lgkmcnt(4)
	v_fma_f64 v[4:5], -v[76:77], v[120:121], v[4:5]
	s_add_i32 s47, s46, s20
	v_fma_f64 v[2:3], -v[68:69], v[108:109], v[2:3]
	s_waitcnt lgkmcnt(3)
	v_fma_f64 v[4:5], -v[78:79], v[124:125], v[4:5]
	s_lshl_b32 s47, s47, 3
	v_fma_f64 v[2:3], -v[70:71], v[112:113], v[2:3]
	s_waitcnt lgkmcnt(2)
	v_fma_f64 v[4:5], -v[80:81], v[128:129], v[4:5]
	v_mov_b32_e32 v8, s47
	s_add_i32 s47, s46, s19
	v_fma_f64 v[2:3], -v[72:73], v[116:117], v[2:3]
	s_waitcnt lgkmcnt(1)
	v_fma_f64 v[4:5], -v[82:83], v[132:133], v[4:5]
	s_lshl_b32 s47, s47, 3
	s_add_i32 s46, s46, s18
	v_fma_f64 v[2:3], -v[74:75], v[98:99], v[2:3]
	s_waitcnt lgkmcnt(0)
	v_fma_f64 v[4:5], -v[84:85], v[136:137], v[4:5]
	ds_read2_b64 v[136:139], v8 offset1:1
	v_mov_b32_e32 v8, s47
	s_lshl_b32 s46, s46, 3
	v_fma_f64 v[2:3], -v[76:77], v[118:119], v[2:3]
	ds_read2_b64 v[140:143], v8 offset1:1
	v_mov_b32_e32 v8, s46
	v_fma_f64 v[2:3], -v[78:79], v[122:123], v[2:3]
	ds_read2_b64 v[144:147], v8 offset1:1
	s_add_i32 s46, s45, 0xffffec10
	v_fma_f64 v[2:3], -v[80:81], v[126:127], v[2:3]
	v_mov_b32_e32 v8, s46
	v_fma_f64 v[2:3], -v[82:83], v[130:131], v[2:3]
	s_sub_i32 s46, s30, 24
	v_fma_f64 v[2:3], -v[84:85], v[134:135], v[2:3]
	s_add_i32 s47, s46, s44
	s_waitcnt lgkmcnt(2)
	v_fma_f64 v[4:5], -v[86:87], v[138:139], v[4:5]
	v_fma_f64 v[2:3], -v[86:87], v[136:137], v[2:3]
	s_lshl_b32 s47, s47, 3
	s_waitcnt lgkmcnt(1)
	v_fma_f64 v[4:5], -v[88:89], v[142:143], v[4:5]
	v_fma_f64 v[10:11], -v[88:89], v[140:141], v[2:3]
	v_mov_b32_e32 v2, s47
	s_add_i32 s47, s46, s43
	s_waitcnt lgkmcnt(0)
	v_mul_f64 v[90:91], v[146:147], v[4:5]
	s_lshl_b32 s47, s47, 3
	ds_write_b64 v92, v[90:91] offset:6272
	v_mov_b32_e32 v6, s47
	ds_read_b64 v[12:13], v8
	ds_read2_b64 v[2:5], v2 offset1:1
	ds_read2_b64 v[6:9], v6 offset1:1
	s_add_i32 s47, s46, s42
	s_lshl_b32 s47, s47, 3
	v_fma_f64 v[10:11], -v[90:91], v[144:145], v[10:11]
	s_waitcnt lgkmcnt(1)
	v_fma_f64 v[4:5], -v[50:51], v[4:5], v[26:27]
	s_waitcnt lgkmcnt(0)
	v_fma_f64 v[4:5], -v[52:53], v[8:9], v[4:5]
	v_mov_b32_e32 v8, s47
	v_mul_f64 v[92:93], v[12:13], v[10:11]
	ds_read2_b64 v[8:11], v8 offset1:1
	s_add_i32 s47, s46, s41
	s_lshl_b32 s47, s47, 3
	v_mov_b32_e32 v12, s47
	ds_read2_b64 v[12:15], v12 offset1:1
	s_add_i32 s47, s46, s40
	s_lshl_b32 s47, s47, 3
	s_waitcnt lgkmcnt(1)
	v_fma_f64 v[4:5], -v[54:55], v[10:11], v[4:5]
	v_mov_b32_e32 v10, s47
	s_add_i32 s47, s46, s39
	s_lshl_b32 s47, s47, 3
	v_mov_b32_e32 v11, s47
	s_add_i32 s47, s46, s38
	ds_write_b64 v94, v[92:93] offset:6272
	s_lshl_b32 s47, s47, 3
	ds_read2_b64 v[16:19], v10 offset1:1
	ds_read2_b64 v[20:23], v11 offset1:1
	v_mov_b32_e32 v10, s47
	s_add_i32 s47, s46, s37
	s_lshl_b32 s47, s47, 3
	v_mov_b32_e32 v11, s47
	s_add_i32 s47, s46, s36
	s_lshl_b32 s47, s47, 3
	ds_read2_b64 v[24:27], v10 offset1:1
	ds_read2_b64 v[28:31], v11 offset1:1
	v_mov_b32_e32 v10, s47
	s_add_i32 s47, s46, s35
	s_lshl_b32 s47, s47, 3
	ds_read2_b64 v[36:39], v10 offset1:1
	v_mov_b32_e32 v10, s47
	s_add_i32 s47, s46, s34
	s_lshl_b32 s47, s47, 3
	;; [unrolled: 4-line block ×3, first 2 shown]
	s_waitcnt lgkmcnt(7)
	v_fma_f64 v[4:5], -v[56:57], v[14:15], v[4:5]
	v_mov_b32_e32 v11, s47
	s_add_i32 s47, s46, s29
	s_waitcnt lgkmcnt(5)
	v_fma_f64 v[4:5], -v[58:59], v[18:19], v[4:5]
	s_lshl_b32 s47, s47, 3
	s_waitcnt lgkmcnt(4)
	v_fma_f64 v[4:5], -v[60:61], v[22:23], v[4:5]
	ds_read2_b64 v[104:107], v10 offset1:1
	ds_read2_b64 v[108:111], v11 offset1:1
	v_mov_b32_e32 v10, s47
	s_add_i32 s47, s46, s28
	s_waitcnt lgkmcnt(5)
	v_fma_f64 v[4:5], -v[62:63], v[26:27], v[4:5]
	s_lshl_b32 s47, s47, 3
	s_waitcnt lgkmcnt(4)
	v_fma_f64 v[4:5], -v[64:65], v[30:31], v[4:5]
	v_mov_b32_e32 v11, s47
	s_add_i32 s47, s46, s27
	s_waitcnt lgkmcnt(3)
	v_fma_f64 v[4:5], -v[66:67], v[38:39], v[4:5]
	ds_read2_b64 v[112:115], v10 offset1:1
	ds_read2_b64 v[116:119], v11 offset1:1
	s_lshl_b32 s47, s47, 3
	s_waitcnt lgkmcnt(4)
	v_fma_f64 v[4:5], -v[68:69], v[98:99], v[4:5]
	v_mov_b32_e32 v10, s47
	s_add_i32 s47, s46, s26
	s_waitcnt lgkmcnt(3)
	v_fma_f64 v[4:5], -v[70:71], v[106:107], v[4:5]
	s_lshl_b32 s47, s47, 3
	v_fma_f64 v[2:3], -v[50:51], v[2:3], v[34:35]
	s_waitcnt lgkmcnt(2)
	v_fma_f64 v[4:5], -v[72:73], v[110:111], v[4:5]
	ds_read2_b64 v[98:101], v10 offset1:1
	v_mov_b32_e32 v10, s47
	s_add_i32 s47, s46, s25
	v_fma_f64 v[2:3], -v[52:53], v[6:7], v[2:3]
	s_waitcnt lgkmcnt(2)
	v_fma_f64 v[4:5], -v[74:75], v[114:115], v[4:5]
	s_lshl_b32 s47, s47, 3
	v_fma_f64 v[2:3], -v[54:55], v[8:9], v[2:3]
	s_waitcnt lgkmcnt(1)
	v_fma_f64 v[4:5], -v[76:77], v[118:119], v[4:5]
	ds_read2_b64 v[118:121], v10 offset1:1
	v_mov_b32_e32 v10, s47
	s_add_i32 s47, s46, s21
	v_fma_f64 v[2:3], -v[56:57], v[12:13], v[2:3]
	s_lshl_b32 s47, s47, 3
	v_fma_f64 v[2:3], -v[58:59], v[16:17], v[2:3]
	v_mov_b32_e32 v11, s47
	s_add_i32 s47, s46, s20
	v_fma_f64 v[2:3], -v[60:61], v[20:21], v[2:3]
	s_lshl_b32 s47, s47, 3
	v_fma_f64 v[2:3], -v[62:63], v[24:25], v[2:3]
	ds_read2_b64 v[122:125], v10 offset1:1
	ds_read2_b64 v[126:129], v11 offset1:1
	v_mov_b32_e32 v10, s47
	s_add_i32 s47, s46, s19
	v_fma_f64 v[2:3], -v[64:65], v[28:29], v[2:3]
	s_lshl_b32 s47, s47, 3
	v_fma_f64 v[2:3], -v[66:67], v[36:37], v[2:3]
	s_waitcnt lgkmcnt(3)
	v_fma_f64 v[4:5], -v[78:79], v[100:101], v[4:5]
	v_mov_b32_e32 v11, s47
	ds_read2_b64 v[130:133], v10 offset1:1
	ds_read2_b64 v[134:137], v11 offset1:1
	v_fma_f64 v[2:3], -v[68:69], v[96:97], v[2:3]
	s_waitcnt lgkmcnt(4)
	v_fma_f64 v[4:5], -v[80:81], v[120:121], v[4:5]
	s_add_i32 s47, s46, s18
	v_fma_f64 v[2:3], -v[70:71], v[104:105], v[2:3]
	s_waitcnt lgkmcnt(3)
	v_fma_f64 v[4:5], -v[82:83], v[124:125], v[4:5]
	s_lshl_b32 s47, s47, 3
	v_fma_f64 v[2:3], -v[72:73], v[108:109], v[2:3]
	s_waitcnt lgkmcnt(2)
	v_fma_f64 v[4:5], -v[84:85], v[128:129], v[4:5]
	v_mov_b32_e32 v10, s47
	s_add_i32 s47, s46, s17
	v_fma_f64 v[2:3], -v[74:75], v[112:113], v[2:3]
	s_waitcnt lgkmcnt(1)
	v_fma_f64 v[4:5], -v[86:87], v[132:133], v[4:5]
	s_lshl_b32 s47, s47, 3
	s_add_i32 s46, s46, s16
	v_fma_f64 v[2:3], -v[76:77], v[116:117], v[2:3]
	s_waitcnt lgkmcnt(0)
	v_fma_f64 v[4:5], -v[88:89], v[136:137], v[4:5]
	ds_read2_b64 v[136:139], v10 offset1:1
	v_mov_b32_e32 v10, s47
	s_lshl_b32 s46, s46, 3
	v_fma_f64 v[2:3], -v[78:79], v[98:99], v[2:3]
	ds_read2_b64 v[140:143], v10 offset1:1
	v_mov_b32_e32 v10, s46
	v_fma_f64 v[2:3], -v[80:81], v[118:119], v[2:3]
	ds_read2_b64 v[144:147], v10 offset1:1
	s_add_i32 s46, s45, 0xffffea40
	v_fma_f64 v[2:3], -v[82:83], v[122:123], v[2:3]
	v_mov_b32_e32 v10, s46
	v_fma_f64 v[2:3], -v[84:85], v[126:127], v[2:3]
	ds_read_b64 v[10:11], v10
	v_fma_f64 v[2:3], -v[86:87], v[130:131], v[2:3]
	s_waitcnt lgkmcnt(3)
	v_fma_f64 v[4:5], -v[90:91], v[138:139], v[4:5]
	v_fma_f64 v[2:3], -v[88:89], v[134:135], v[2:3]
	s_waitcnt lgkmcnt(2)
	v_fma_f64 v[4:5], -v[92:93], v[142:143], v[4:5]
	v_fma_f64 v[2:3], -v[90:91], v[136:137], v[2:3]
	s_sub_i32 s46, s30, 26
	s_waitcnt lgkmcnt(1)
	v_mul_f64 v[94:95], v[146:147], v[4:5]
	v_fma_f64 v[2:3], -v[92:93], v[140:141], v[2:3]
	s_add_i32 s47, s46, s44
	v_fma_f64 v[2:3], -v[94:95], v[144:145], v[2:3]
	s_lshl_b32 s47, s47, 3
	s_waitcnt lgkmcnt(0)
	v_mul_f64 v[96:97], v[10:11], v[2:3]
	v_mov_b32_e32 v2, s47
	s_add_i32 s47, s46, s43
	s_lshl_b32 s47, s47, 3
	v_mov_b32_e32 v6, s47
	s_add_i32 s47, s46, s42
	s_lshl_b32 s47, s47, 3
	ds_write_b64 v47, v[94:95] offset:6272
	v_mov_b32_e32 v10, s47
	s_add_i32 s47, s46, s41
	ds_read2_b64 v[2:5], v2 offset1:1
	ds_read2_b64 v[6:9], v6 offset1:1
	s_lshl_b32 s47, s47, 3
	v_mov_b32_e32 v14, s47
	ds_read2_b64 v[10:13], v10 offset1:1
	ds_read2_b64 v[14:17], v14 offset1:1
	s_add_i32 s47, s46, s40
	s_waitcnt lgkmcnt(3)
	v_fma_f64 v[4:5], -v[50:51], v[4:5], v[32:33]
	s_lshl_b32 s47, s47, 3
	s_waitcnt lgkmcnt(2)
	v_fma_f64 v[4:5], -v[52:53], v[8:9], v[4:5]
	v_mov_b32_e32 v8, s47
	s_add_i32 s47, s46, s39
	s_waitcnt lgkmcnt(1)
	v_fma_f64 v[4:5], -v[54:55], v[12:13], v[4:5]
	s_lshl_b32 s47, s47, 3
	s_waitcnt lgkmcnt(0)
	v_fma_f64 v[4:5], -v[56:57], v[16:17], v[4:5]
	ds_read2_b64 v[16:19], v8 offset1:1
	v_mov_b32_e32 v8, s47
	s_add_i32 s47, s46, s38
	s_lshl_b32 s47, s47, 3
	ds_read2_b64 v[20:23], v8 offset1:1
	v_mov_b32_e32 v8, s47
	s_add_i32 s47, s46, s37
	s_lshl_b32 s47, s47, 3
	v_mov_b32_e32 v9, s47
	s_add_i32 s47, s46, s36
	ds_write_b64 v46, v[96:97] offset:6272
	s_lshl_b32 s47, s47, 3
	ds_read2_b64 v[24:27], v8 offset1:1
	ds_read2_b64 v[28:31], v9 offset1:1
	v_mov_b32_e32 v8, s47
	s_add_i32 s47, s46, s35
	s_lshl_b32 s47, s47, 3
	v_mov_b32_e32 v9, s47
	s_add_i32 s47, s46, s34
	s_lshl_b32 s47, s47, 3
	ds_read2_b64 v[32:35], v8 offset1:1
	ds_read2_b64 v[36:39], v9 offset1:1
	v_mov_b32_e32 v8, s47
	s_add_i32 s47, s46, s33
	s_lshl_b32 s47, s47, 3
	ds_read2_b64 v[104:107], v8 offset1:1
	v_mov_b32_e32 v8, s47
	s_add_i32 s47, s46, s29
	s_lshl_b32 s47, s47, 3
	s_waitcnt lgkmcnt(7)
	v_fma_f64 v[4:5], -v[58:59], v[18:19], v[4:5]
	ds_read2_b64 v[108:111], v8 offset1:1
	v_mov_b32_e32 v8, s47
	s_add_i32 s47, s46, s28
	s_waitcnt lgkmcnt(7)
	v_fma_f64 v[4:5], -v[60:61], v[22:23], v[4:5]
	s_lshl_b32 s47, s47, 3
	s_waitcnt lgkmcnt(5)
	v_fma_f64 v[4:5], -v[62:63], v[26:27], v[4:5]
	v_mov_b32_e32 v9, s47
	s_add_i32 s47, s46, s27
	s_waitcnt lgkmcnt(4)
	v_fma_f64 v[4:5], -v[64:65], v[30:31], v[4:5]
	s_lshl_b32 s47, s47, 3
	s_waitcnt lgkmcnt(3)
	v_fma_f64 v[4:5], -v[66:67], v[34:35], v[4:5]
	ds_read2_b64 v[112:115], v8 offset1:1
	ds_read2_b64 v[116:119], v9 offset1:1
	v_mov_b32_e32 v8, s47
	s_add_i32 s47, s46, s26
	s_waitcnt lgkmcnt(4)
	v_fma_f64 v[4:5], -v[68:69], v[38:39], v[4:5]
	s_lshl_b32 s47, s47, 3
	s_waitcnt lgkmcnt(3)
	v_fma_f64 v[4:5], -v[70:71], v[106:107], v[4:5]
	v_mov_b32_e32 v9, s47
	ds_read2_b64 v[120:123], v8 offset1:1
	ds_read2_b64 v[124:127], v9 offset1:1
	s_waitcnt lgkmcnt(4)
	v_fma_f64 v[4:5], -v[72:73], v[110:111], v[4:5]
	s_add_i32 s47, s46, s25
	s_waitcnt lgkmcnt(3)
	v_fma_f64 v[4:5], -v[74:75], v[114:115], v[4:5]
	s_lshl_b32 s47, s47, 3
	v_fma_f64 v[2:3], -v[50:51], v[2:3], v[42:43]
	s_waitcnt lgkmcnt(2)
	v_fma_f64 v[4:5], -v[76:77], v[118:119], v[4:5]
	v_mov_b32_e32 v8, s47
	s_add_i32 s47, s46, s21
	v_fma_f64 v[2:3], -v[52:53], v[6:7], v[2:3]
	s_waitcnt lgkmcnt(1)
	v_fma_f64 v[4:5], -v[78:79], v[122:123], v[4:5]
	s_lshl_b32 s47, s47, 3
	v_fma_f64 v[2:3], -v[54:55], v[10:11], v[2:3]
	s_waitcnt lgkmcnt(0)
	v_fma_f64 v[4:5], -v[80:81], v[126:127], v[4:5]
	ds_read2_b64 v[126:129], v8 offset1:1
	v_mov_b32_e32 v8, s47
	s_add_i32 s47, s46, s20
	v_fma_f64 v[2:3], -v[56:57], v[14:15], v[2:3]
	s_lshl_b32 s47, s47, 3
	v_fma_f64 v[2:3], -v[58:59], v[16:17], v[2:3]
	ds_read2_b64 v[130:133], v8 offset1:1
	v_mov_b32_e32 v8, s47
	s_add_i32 s47, s46, s19
	v_fma_f64 v[2:3], -v[60:61], v[20:21], v[2:3]
	s_lshl_b32 s47, s47, 3
	v_fma_f64 v[2:3], -v[62:63], v[24:25], v[2:3]
	v_mov_b32_e32 v9, s47
	s_add_i32 s47, s46, s18
	v_fma_f64 v[2:3], -v[64:65], v[28:29], v[2:3]
	s_lshl_b32 s47, s47, 3
	v_fma_f64 v[2:3], -v[66:67], v[32:33], v[2:3]
	ds_read2_b64 v[134:137], v8 offset1:1
	ds_read2_b64 v[138:141], v9 offset1:1
	v_mov_b32_e32 v8, s47
	s_add_i32 s47, s46, s17
	v_fma_f64 v[2:3], -v[68:69], v[36:37], v[2:3]
	s_lshl_b32 s47, s47, 3
	v_fma_f64 v[2:3], -v[70:71], v[104:105], v[2:3]
	s_waitcnt lgkmcnt(3)
	v_fma_f64 v[4:5], -v[82:83], v[128:129], v[4:5]
	v_mov_b32_e32 v9, s47
	ds_read2_b64 v[142:145], v8 offset1:1
	ds_read2_b64 v[146:149], v9 offset1:1
	v_fma_f64 v[2:3], -v[72:73], v[108:109], v[2:3]
	s_waitcnt lgkmcnt(4)
	v_fma_f64 v[4:5], -v[84:85], v[132:133], v[4:5]
	s_add_i32 s47, s46, s16
	v_fma_f64 v[2:3], -v[74:75], v[112:113], v[2:3]
	s_waitcnt lgkmcnt(3)
	v_fma_f64 v[4:5], -v[86:87], v[136:137], v[4:5]
	s_lshl_b32 s47, s47, 3
	v_fma_f64 v[2:3], -v[76:77], v[116:117], v[2:3]
	s_waitcnt lgkmcnt(2)
	v_fma_f64 v[4:5], -v[88:89], v[140:141], v[4:5]
	v_mov_b32_e32 v8, s47
	s_add_i32 s47, s46, s13
	v_fma_f64 v[2:3], -v[78:79], v[120:121], v[2:3]
	s_waitcnt lgkmcnt(1)
	v_fma_f64 v[4:5], -v[90:91], v[144:145], v[4:5]
	s_lshl_b32 s47, s47, 3
	s_add_i32 s46, s46, s12
	v_fma_f64 v[2:3], -v[80:81], v[124:125], v[2:3]
	s_waitcnt lgkmcnt(0)
	v_fma_f64 v[4:5], -v[92:93], v[148:149], v[4:5]
	ds_read2_b64 v[148:151], v8 offset1:1
	v_mov_b32_e32 v8, s47
	s_lshl_b32 s46, s46, 3
	v_fma_f64 v[2:3], -v[82:83], v[126:127], v[2:3]
	ds_read2_b64 v[152:155], v8 offset1:1
	v_mov_b32_e32 v8, s46
	v_fma_f64 v[2:3], -v[84:85], v[130:131], v[2:3]
	ds_read2_b64 v[156:159], v8 offset1:1
	s_add_i32 s46, s45, 0xffffe870
	v_fma_f64 v[2:3], -v[86:87], v[134:135], v[2:3]
	v_mov_b32_e32 v8, s46
	v_fma_f64 v[2:3], -v[88:89], v[138:139], v[2:3]
	ds_read_b64 v[8:9], v8
	v_fma_f64 v[2:3], -v[90:91], v[142:143], v[2:3]
	s_waitcnt lgkmcnt(3)
	v_fma_f64 v[4:5], -v[94:95], v[150:151], v[4:5]
	v_fma_f64 v[2:3], -v[92:93], v[146:147], v[2:3]
	s_waitcnt lgkmcnt(2)
	v_fma_f64 v[4:5], -v[96:97], v[154:155], v[4:5]
	v_fma_f64 v[2:3], -v[94:95], v[148:149], v[2:3]
	s_sub_i32 s46, s30, 28
	s_waitcnt lgkmcnt(1)
	v_mul_f64 v[98:99], v[158:159], v[4:5]
	v_fma_f64 v[2:3], -v[96:97], v[152:153], v[2:3]
	s_add_i32 s44, s46, s44
	v_fma_f64 v[2:3], -v[98:99], v[156:157], v[2:3]
	s_lshl_b32 s44, s44, 3
	s_add_i32 s43, s46, s43
	s_waitcnt lgkmcnt(0)
	v_mul_f64 v[100:101], v[8:9], v[2:3]
	v_mov_b32_e32 v2, s44
	s_lshl_b32 s43, s43, 3
	ds_read2_b64 v[2:5], v2 offset1:1
	v_mov_b32_e32 v6, s43
	ds_read2_b64 v[6:9], v6 offset1:1
	s_add_i32 s42, s46, s42
	s_add_i32 s41, s46, s41
	s_lshl_b32 s42, s42, 3
	s_lshl_b32 s41, s41, 3
	ds_write_b64 v45, v[98:99] offset:6272
	ds_write_b64 v44, v[100:101] offset:6272
	v_mov_b32_e32 v10, s42
	v_mov_b32_e32 v14, s41
	s_add_i32 s40, s46, s40
	s_add_i32 s39, s46, s39
	ds_read2_b64 v[10:13], v10 offset1:1
	ds_read2_b64 v[14:17], v14 offset1:1
	s_lshl_b32 s40, s40, 3
	s_lshl_b32 s39, s39, 3
	v_mov_b32_e32 v18, s40
	v_mov_b32_e32 v22, s39
	s_waitcnt lgkmcnt(5)
	v_fma_f64 v[4:5], -v[50:51], v[4:5], v[40:41]
	ds_read2_b64 v[18:21], v18 offset1:1
	ds_read2_b64 v[22:25], v22 offset1:1
	s_waitcnt lgkmcnt(6)
	v_fma_f64 v[4:5], -v[52:53], v[8:9], v[4:5]
	s_waitcnt lgkmcnt(3)
	v_fma_f64 v[4:5], -v[54:55], v[12:13], v[4:5]
	s_add_i32 s38, s46, s38
	s_waitcnt lgkmcnt(2)
	v_fma_f64 v[4:5], -v[56:57], v[16:17], v[4:5]
	s_lshl_b32 s38, s38, 3
	s_add_i32 s37, s46, s37
	s_waitcnt lgkmcnt(1)
	v_fma_f64 v[4:5], -v[58:59], v[20:21], v[4:5]
	v_mov_b32_e32 v8, s38
	s_lshl_b32 s37, s37, 3
	s_waitcnt lgkmcnt(0)
	v_fma_f64 v[4:5], -v[60:61], v[24:25], v[4:5]
	ds_read2_b64 v[24:27], v8 offset1:1
	v_mov_b32_e32 v8, s37
	s_add_i32 s36, s46, s36
	ds_read2_b64 v[28:31], v8 offset1:1
	s_lshl_b32 s36, s36, 3
	s_add_i32 s35, s46, s35
	v_mov_b32_e32 v8, s36
	s_lshl_b32 s35, s35, 3
	s_add_i32 s34, s46, s34
	v_mov_b32_e32 v9, s35
	ds_read2_b64 v[32:35], v8 offset1:1
	ds_read2_b64 v[36:39], v9 offset1:1
	s_lshl_b32 s34, s34, 3
	s_add_i32 s33, s46, s33
	s_add_i32 s29, s46, s29
	v_mov_b32_e32 v8, s34
	s_lshl_b32 s33, s33, 3
	s_lshl_b32 s29, s29, 3
	s_add_i32 s28, s46, s28
	s_waitcnt lgkmcnt(3)
	v_fma_f64 v[4:5], -v[62:63], v[26:27], v[4:5]
	v_mov_b32_e32 v9, s33
	ds_read2_b64 v[40:43], v8 offset1:1
	ds_read2_b64 v[44:47], v9 offset1:1
	v_mov_b32_e32 v8, s29
	s_lshl_b32 s28, s28, 3
	s_waitcnt lgkmcnt(4)
	v_fma_f64 v[4:5], -v[64:65], v[30:31], v[4:5]
	ds_read2_b64 v[104:107], v8 offset1:1
	v_mov_b32_e32 v8, s28
	s_add_i32 s27, s46, s27
	s_waitcnt lgkmcnt(4)
	v_fma_f64 v[4:5], -v[66:67], v[34:35], v[4:5]
	ds_read2_b64 v[108:111], v8 offset1:1
	s_lshl_b32 s27, s27, 3
	s_add_i32 s26, s46, s26
	s_waitcnt lgkmcnt(4)
	v_fma_f64 v[4:5], -v[68:69], v[38:39], v[4:5]
	v_mov_b32_e32 v8, s27
	s_lshl_b32 s26, s26, 3
	s_add_i32 s25, s46, s25
	v_fma_f64 v[2:3], -v[50:51], v[2:3], v[48:49]
	s_waitcnt lgkmcnt(3)
	v_fma_f64 v[4:5], -v[70:71], v[42:43], v[4:5]
	v_mov_b32_e32 v9, s26
	ds_read2_b64 v[112:115], v8 offset1:1
	ds_read2_b64 v[116:119], v9 offset1:1
	s_lshl_b32 s25, s25, 3
	s_add_i32 s21, s46, s21
	v_fma_f64 v[2:3], -v[52:53], v[6:7], v[2:3]
	s_waitcnt lgkmcnt(4)
	v_fma_f64 v[4:5], -v[72:73], v[46:47], v[4:5]
	v_mov_b32_e32 v8, s25
	s_lshl_b32 s21, s21, 3
	v_fma_f64 v[2:3], -v[54:55], v[10:11], v[2:3]
	s_waitcnt lgkmcnt(3)
	v_fma_f64 v[4:5], -v[74:75], v[106:107], v[4:5]
	v_mov_b32_e32 v9, s21
	ds_read2_b64 v[120:123], v8 offset1:1
	ds_read2_b64 v[124:127], v9 offset1:1
	v_fma_f64 v[2:3], -v[56:57], v[14:15], v[2:3]
	s_waitcnt lgkmcnt(4)
	v_fma_f64 v[4:5], -v[76:77], v[110:111], v[4:5]
	v_fma_f64 v[2:3], -v[58:59], v[18:19], v[2:3]
	s_waitcnt lgkmcnt(3)
	v_fma_f64 v[4:5], -v[78:79], v[114:115], v[4:5]
	s_add_i32 s20, s46, s20
	v_fma_f64 v[2:3], -v[60:61], v[22:23], v[2:3]
	s_waitcnt lgkmcnt(2)
	v_fma_f64 v[4:5], -v[80:81], v[118:119], v[4:5]
	s_lshl_b32 s20, s20, 3
	s_add_i32 s19, s46, s19
	v_fma_f64 v[2:3], -v[62:63], v[24:25], v[2:3]
	s_waitcnt lgkmcnt(1)
	v_fma_f64 v[4:5], -v[82:83], v[122:123], v[4:5]
	v_mov_b32_e32 v8, s20
	s_lshl_b32 s19, s19, 3
	v_fma_f64 v[2:3], -v[64:65], v[28:29], v[2:3]
	s_waitcnt lgkmcnt(0)
	v_fma_f64 v[4:5], -v[84:85], v[126:127], v[4:5]
	ds_read2_b64 v[126:129], v8 offset1:1
	v_mov_b32_e32 v8, s19
	s_add_i32 s18, s46, s18
	v_fma_f64 v[2:3], -v[66:67], v[32:33], v[2:3]
	ds_read2_b64 v[130:133], v8 offset1:1
	s_lshl_b32 s18, s18, 3
	s_add_i32 s17, s46, s17
	v_fma_f64 v[2:3], -v[68:69], v[36:37], v[2:3]
	v_mov_b32_e32 v8, s18
	s_lshl_b32 s17, s17, 3
	s_add_i32 s16, s46, s16
	v_fma_f64 v[2:3], -v[70:71], v[40:41], v[2:3]
	v_mov_b32_e32 v9, s17
	ds_read2_b64 v[134:137], v8 offset1:1
	ds_read2_b64 v[138:141], v9 offset1:1
	s_lshl_b32 s16, s16, 3
	s_add_i32 s13, s46, s13
	v_fma_f64 v[2:3], -v[72:73], v[44:45], v[2:3]
	v_mov_b32_e32 v8, s16
	s_lshl_b32 s13, s13, 3
	v_fma_f64 v[2:3], -v[74:75], v[104:105], v[2:3]
	s_waitcnt lgkmcnt(3)
	v_fma_f64 v[4:5], -v[86:87], v[128:129], v[4:5]
	v_mov_b32_e32 v9, s13
	ds_read2_b64 v[142:145], v8 offset1:1
	ds_read2_b64 v[146:149], v9 offset1:1
	v_fma_f64 v[2:3], -v[76:77], v[108:109], v[2:3]
	s_waitcnt lgkmcnt(4)
	v_fma_f64 v[4:5], -v[88:89], v[132:133], v[4:5]
	v_fma_f64 v[2:3], -v[78:79], v[112:113], v[2:3]
	s_waitcnt lgkmcnt(3)
	v_fma_f64 v[4:5], -v[90:91], v[136:137], v[4:5]
	s_add_i32 s12, s46, s12
	v_fma_f64 v[2:3], -v[80:81], v[116:117], v[2:3]
	s_waitcnt lgkmcnt(2)
	v_fma_f64 v[4:5], -v[92:93], v[140:141], v[4:5]
	s_lshl_b32 s12, s12, 3
	s_add_i32 s9, s46, s9
	v_fma_f64 v[2:3], -v[82:83], v[120:121], v[2:3]
	s_waitcnt lgkmcnt(1)
	v_fma_f64 v[4:5], -v[94:95], v[144:145], v[4:5]
	v_mov_b32_e32 v8, s12
	s_lshl_b32 s9, s9, 3
	s_add_i32 s46, s46, s8
	v_fma_f64 v[2:3], -v[84:85], v[124:125], v[2:3]
	s_waitcnt lgkmcnt(0)
	v_fma_f64 v[4:5], -v[96:97], v[148:149], v[4:5]
	ds_read2_b64 v[148:151], v8 offset1:1
	v_mov_b32_e32 v8, s9
	s_lshl_b32 s8, s46, 3
	v_fma_f64 v[2:3], -v[86:87], v[126:127], v[2:3]
	ds_read2_b64 v[152:155], v8 offset1:1
	v_mov_b32_e32 v8, s8
	v_fma_f64 v[2:3], -v[88:89], v[130:131], v[2:3]
	ds_read2_b64 v[156:159], v8 offset1:1
	s_add_i32 s8, s45, 0xffffe6a0
	v_fma_f64 v[2:3], -v[90:91], v[134:135], v[2:3]
	v_mov_b32_e32 v8, s8
	v_fma_f64 v[2:3], -v[92:93], v[138:139], v[2:3]
	ds_read_b64 v[8:9], v8
	v_fma_f64 v[2:3], -v[94:95], v[142:143], v[2:3]
	s_waitcnt lgkmcnt(3)
	v_fma_f64 v[4:5], -v[98:99], v[150:151], v[4:5]
	v_fma_f64 v[2:3], -v[96:97], v[146:147], v[2:3]
	s_waitcnt lgkmcnt(2)
	v_fma_f64 v[4:5], -v[100:101], v[154:155], v[4:5]
	v_fma_f64 v[2:3], -v[98:99], v[148:149], v[2:3]
	s_waitcnt lgkmcnt(1)
	v_mul_f64 v[4:5], v[158:159], v[4:5]
	v_fma_f64 v[2:3], -v[100:101], v[152:153], v[2:3]
	v_fma_f64 v[2:3], -v[4:5], v[156:157], v[2:3]
	s_waitcnt lgkmcnt(0)
	v_mul_f64 v[2:3], v[8:9], v[2:3]
	s_sub_i32 s8, s30, 29
	ds_write_b64 v102, v[4:5] offset:6272
	ds_write_b64 v1, v[2:3] offset:6272
.LBB97_41:
	s_cmp_gt_i32 s8, -1
	s_cbranch_scc0 .LBB97_60
; %bb.42:
	s_cmp_lt_u32 s8, 23
	s_cbranch_scc1 .LBB97_47
; %bb.43:
	s_mul_i32 s9, s8, 28
	v_add_lshl_u32 v1, s9, v0, 3
	s_sub_i32 s12, s9, 28
	v_add_u32_e32 v2, 0x1000, v1
	v_add_lshl_u32 v50, s12, v0, 3
	ds_read_b64 v[46:47], v1 offset:6272
	ds_read_b64 v[48:49], v50 offset:6272
	ds_read2_b64 v[42:45], v2 offset0:188 offset1:216
	ds_read2_b64 v[38:41], v2 offset0:132 offset1:160
	;; [unrolled: 1-line block ×4, first 2 shown]
	v_add_u32_e32 v2, 0x800, v1
	ds_read2_b64 v[26:29], v2 offset0:220 offset1:248
	ds_read2_b64 v[22:25], v2 offset0:164 offset1:192
	ds_read2_b64 v[18:21], v2 offset0:108 offset1:136
	ds_read2_b64 v[14:17], v2 offset0:52 offset1:80
	v_add_u32_e32 v2, 0x400, v1
	ds_read2_b64 v[10:13], v2 offset0:124 offset1:152
	ds_read2_b64 v[6:9], v1 offset0:196 offset1:224
	;; [unrolled: 1-line block ×3, first 2 shown]
	s_cmp_le_i32 s31, s8
	s_cbranch_scc1 .LBB97_46
; %bb.44:
	s_mul_i32 s16, s30, 0xe0
	s_lshl_b32 s13, s8, 3
	s_add_i32 s13, s16, s13
	v_lshl_add_u32 v51, v0, 3, s16
	s_addk_i32 s13, 0xfe68
	v_add_u32_e32 v51, 0x17a0, v51
	s_mov_b32 s16, s31
.LBB97_45:                              ; =>This Inner Loop Header: Depth=1
	v_mov_b32_e32 v96, s13
	ds_read_b64 v[100:101], v51
	ds_read2_b64 v[52:55], v96 offset0:22 offset1:23
	ds_read2_b64 v[56:59], v96 offset0:20 offset1:21
	;; [unrolled: 1-line block ×11, first 2 shown]
	ds_read2_b64 v[96:99], v96 offset1:1
	s_add_i32 s16, s16, -1
	s_addk_i32 s13, 0xff20
	v_add_u32_e32 v51, 0xffffff20, v51
	s_cmp_gt_i32 s16, s8
	s_waitcnt lgkmcnt(11)
	v_fma_f64 v[46:47], -v[100:101], v[54:55], v[46:47]
	v_fma_f64 v[48:49], -v[100:101], v[52:53], v[48:49]
	s_waitcnt lgkmcnt(10)
	v_fma_f64 v[44:45], -v[100:101], v[58:59], v[44:45]
	v_fma_f64 v[42:43], -v[100:101], v[56:57], v[42:43]
	;; [unrolled: 3-line block ×12, first 2 shown]
	s_cbranch_scc1 .LBB97_45
.LBB97_46:
	s_mul_i32 s13, s8, 0xe8
	s_add_i32 s16, s13, -8
	v_add_u32_e32 v51, 0x1880, v1
	v_add_u32_e32 v1, 0x1880, v50
	v_mov_b32_e32 v50, s16
	ds_read2_b64 v[52:55], v50 offset1:1
	s_add_i32 s16, s13, 0xffffff18
	v_mov_b32_e32 v50, s16
	ds_read_b64 v[56:57], v50
	s_add_i32 s17, s8, -3
	s_waitcnt lgkmcnt(1)
	v_mul_f64 v[46:47], v[54:55], v[46:47]
	v_fma_f64 v[48:49], -v[46:47], v[52:53], v[48:49]
	s_add_i32 s16, s17, s9
	s_waitcnt lgkmcnt(0)
	v_mul_f64 v[48:49], v[56:57], v[48:49]
	s_lshl_b32 s16, s16, 3
	ds_write_b64 v1, v[48:49]
	v_mov_b32_e32 v1, s16
	s_add_i32 s16, s17, s12
	s_lshl_b32 s16, s16, 3
	ds_write_b64 v51, v[46:47]
	ds_read2_b64 v[50:53], v1 offset1:1
	v_mov_b32_e32 v1, s16
	s_sub_i32 s16, s12, 28
	s_add_i32 s17, s17, s16
	s_lshl_b32 s17, s17, 3
	ds_read2_b64 v[54:57], v1 offset1:1
	v_mov_b32_e32 v1, s17
	ds_read2_b64 v[58:61], v1 offset1:1
	s_waitcnt lgkmcnt(2)
	v_fma_f64 v[44:45], -v[46:47], v[52:53], v[44:45]
	s_add_i32 s17, s13, 0xfffffd48
	s_add_i32 s19, s8, -5
	s_waitcnt lgkmcnt(1)
	v_fma_f64 v[44:45], -v[48:49], v[56:57], v[44:45]
	v_mov_b32_e32 v1, s17
	s_add_i32 s18, s19, s9
	ds_read_b64 v[62:63], v1
	s_waitcnt lgkmcnt(1)
	v_mul_f64 v[44:45], v[60:61], v[44:45]
	v_add_lshl_u32 v1, s16, v0, 3
	s_lshl_b32 s18, s18, 3
	ds_write_b64 v1, v[44:45] offset:6272
	v_mov_b32_e32 v1, s18
	s_add_i32 s18, s19, s12
	v_fma_f64 v[42:43], -v[46:47], v[50:51], v[42:43]
	s_lshl_b32 s18, s18, 3
	v_fma_f64 v[42:43], -v[48:49], v[54:55], v[42:43]
	v_mov_b32_e32 v54, s18
	ds_read2_b64 v[50:53], v1 offset1:1
	ds_read2_b64 v[54:57], v54 offset1:1
	v_fma_f64 v[42:43], -v[44:45], v[58:59], v[42:43]
	s_sub_i32 s17, s12, 56
	s_add_i32 s18, s19, s16
	s_waitcnt lgkmcnt(3)
	v_mul_f64 v[42:43], v[62:63], v[42:43]
	v_add_lshl_u32 v1, s17, v0, 3
	s_lshl_b32 s18, s18, 3
	ds_write_b64 v1, v[42:43] offset:6272
	v_mov_b32_e32 v1, s18
	s_add_i32 s18, s19, s17
	s_waitcnt lgkmcnt(2)
	v_fma_f64 v[40:41], -v[46:47], v[52:53], v[40:41]
	s_lshl_b32 s18, s18, 3
	s_waitcnt lgkmcnt(1)
	v_fma_f64 v[40:41], -v[48:49], v[56:57], v[40:41]
	ds_read2_b64 v[56:59], v1 offset1:1
	v_mov_b32_e32 v1, s18
	s_add_i32 s18, s12, 0xffffffac
	s_add_i32 s19, s19, s18
	s_lshl_b32 s19, s19, 3
	ds_read2_b64 v[60:63], v1 offset1:1
	v_mov_b32_e32 v1, s19
	ds_read2_b64 v[64:67], v1 offset1:1
	s_waitcnt lgkmcnt(2)
	v_fma_f64 v[40:41], -v[44:45], v[58:59], v[40:41]
	s_add_i32 s19, s13, 0xfffffb78
	s_add_i32 s21, s8, -7
	s_waitcnt lgkmcnt(1)
	v_fma_f64 v[40:41], -v[42:43], v[62:63], v[40:41]
	v_mov_b32_e32 v1, s19
	s_add_i32 s20, s21, s9
	ds_read_b64 v[58:59], v1
	s_waitcnt lgkmcnt(1)
	v_mul_f64 v[40:41], v[66:67], v[40:41]
	v_add_lshl_u32 v1, s18, v0, 3
	s_lshl_b32 s20, s20, 3
	ds_write_b64 v1, v[40:41] offset:6272
	v_fma_f64 v[38:39], -v[46:47], v[50:51], v[38:39]
	v_mov_b32_e32 v1, s20
	s_add_i32 s20, s21, s12
	v_fma_f64 v[38:39], -v[48:49], v[54:55], v[38:39]
	s_lshl_b32 s20, s20, 3
	v_fma_f64 v[38:39], -v[44:45], v[56:57], v[38:39]
	v_mov_b32_e32 v54, s20
	v_fma_f64 v[38:39], -v[42:43], v[60:61], v[38:39]
	ds_read2_b64 v[50:53], v1 offset1:1
	ds_read2_b64 v[54:57], v54 offset1:1
	v_fma_f64 v[38:39], -v[40:41], v[64:65], v[38:39]
	s_add_i32 s19, s12, 0xffffff90
	s_add_i32 s20, s21, s16
	s_waitcnt lgkmcnt(3)
	v_mul_f64 v[38:39], v[58:59], v[38:39]
	v_add_lshl_u32 v1, s19, v0, 3
	s_lshl_b32 s20, s20, 3
	ds_write_b64 v1, v[38:39] offset:6272
	v_mov_b32_e32 v1, s20
	s_add_i32 s20, s21, s17
	s_waitcnt lgkmcnt(2)
	v_fma_f64 v[36:37], -v[46:47], v[52:53], v[36:37]
	s_lshl_b32 s20, s20, 3
	s_waitcnt lgkmcnt(1)
	v_fma_f64 v[36:37], -v[48:49], v[56:57], v[36:37]
	ds_read2_b64 v[56:59], v1 offset1:1
	v_mov_b32_e32 v1, s20
	s_add_i32 s20, s21, s18
	s_lshl_b32 s20, s20, 3
	ds_read2_b64 v[60:63], v1 offset1:1
	v_mov_b32_e32 v1, s20
	s_add_i32 s20, s21, s19
	s_lshl_b32 s20, s20, 3
	v_mov_b32_e32 v52, s20
	s_add_i32 s20, s13, 0xfffffa90
	ds_read2_b64 v[64:67], v1 offset1:1
	ds_read2_b64 v[68:71], v52 offset1:1
	v_mov_b32_e32 v1, s20
	ds_read_b64 v[52:53], v1
	s_waitcnt lgkmcnt(4)
	v_fma_f64 v[36:37], -v[44:45], v[58:59], v[36:37]
	s_waitcnt lgkmcnt(3)
	v_fma_f64 v[36:37], -v[42:43], v[62:63], v[36:37]
	;; [unrolled: 2-line block ×3, first 2 shown]
	s_add_i32 s20, s12, 0xffffff74
	s_waitcnt lgkmcnt(1)
	v_fma_f64 v[36:37], -v[38:39], v[70:71], v[36:37]
	s_add_i32 s21, s21, s20
	s_waitcnt lgkmcnt(0)
	v_mul_f64 v[36:37], v[52:53], v[36:37]
	v_add_lshl_u32 v1, s20, v0, 3
	s_lshl_b32 s21, s21, 3
	ds_write_b64 v1, v[36:37] offset:6272
	v_fma_f64 v[34:35], -v[46:47], v[50:51], v[34:35]
	v_mov_b32_e32 v1, s21
	s_add_i32 s21, s13, 0xfffff9a8
	v_fma_f64 v[34:35], -v[48:49], v[54:55], v[34:35]
	ds_read_b64 v[50:51], v1
	v_mov_b32_e32 v1, s21
	v_fma_f64 v[34:35], -v[44:45], v[56:57], v[34:35]
	ds_read_b64 v[52:53], v1
	v_fma_f64 v[34:35], -v[42:43], v[60:61], v[34:35]
	v_fma_f64 v[34:35], -v[40:41], v[64:65], v[34:35]
	s_add_i32 s26, s8, -9
	v_fma_f64 v[34:35], -v[38:39], v[68:69], v[34:35]
	s_add_i32 s25, s26, s9
	s_waitcnt lgkmcnt(1)
	v_fma_f64 v[34:35], -v[36:37], v[50:51], v[34:35]
	s_lshl_b32 s25, s25, 3
	s_waitcnt lgkmcnt(0)
	v_mul_f64 v[50:51], v[52:53], v[34:35]
	v_mov_b32_e32 v34, s25
	s_add_i32 s25, s26, s12
	s_lshl_b32 s25, s25, 3
	v_mov_b32_e32 v35, s25
	s_add_i32 s25, s26, s16
	s_lshl_b32 s25, s25, 3
	ds_read2_b64 v[54:57], v34 offset1:1
	ds_read2_b64 v[58:61], v35 offset1:1
	v_mov_b32_e32 v34, s25
	s_add_i32 s25, s26, s17
	s_lshl_b32 s25, s25, 3
	v_mov_b32_e32 v35, s25
	ds_read2_b64 v[62:65], v34 offset1:1
	ds_read2_b64 v[66:69], v35 offset1:1
	s_add_i32 s21, s12, 0xffffff58
	s_waitcnt lgkmcnt(3)
	v_fma_f64 v[32:33], -v[46:47], v[56:57], v[32:33]
	s_add_i32 s25, s26, s18
	v_add_lshl_u32 v1, s21, v0, 3
	s_waitcnt lgkmcnt(2)
	v_fma_f64 v[32:33], -v[48:49], v[60:61], v[32:33]
	s_lshl_b32 s25, s25, 3
	ds_write_b64 v1, v[50:51] offset:6272
	s_waitcnt lgkmcnt(2)
	v_fma_f64 v[32:33], -v[44:45], v[64:65], v[32:33]
	v_mov_b32_e32 v1, s25
	s_add_i32 s25, s26, s19
	s_waitcnt lgkmcnt(1)
	v_fma_f64 v[52:53], -v[42:43], v[68:69], v[32:33]
	ds_read2_b64 v[32:35], v1 offset1:1
	s_lshl_b32 s25, s25, 3
	v_mov_b32_e32 v1, s25
	s_add_i32 s25, s26, s20
	s_lshl_b32 s25, s25, 3
	ds_read2_b64 v[68:71], v1 offset1:1
	v_mov_b32_e32 v1, s25
	s_add_i32 s25, s26, s21
	s_lshl_b32 s25, s25, 3
	s_waitcnt lgkmcnt(1)
	v_fma_f64 v[34:35], -v[40:41], v[34:35], v[52:53]
	v_mov_b32_e32 v52, s25
	s_add_i32 s25, s13, 0xfffff8c0
	ds_read2_b64 v[72:75], v1 offset1:1
	ds_read2_b64 v[76:79], v52 offset1:1
	v_mov_b32_e32 v1, s25
	ds_read_b64 v[52:53], v1
	s_waitcnt lgkmcnt(3)
	v_fma_f64 v[34:35], -v[38:39], v[70:71], v[34:35]
	s_waitcnt lgkmcnt(2)
	v_fma_f64 v[34:35], -v[36:37], v[74:75], v[34:35]
	s_add_i32 s25, s12, 0xffffff3c
	s_waitcnt lgkmcnt(1)
	v_fma_f64 v[34:35], -v[50:51], v[78:79], v[34:35]
	v_fma_f64 v[30:31], -v[46:47], v[54:55], v[30:31]
	s_add_i32 s26, s26, s25
	s_waitcnt lgkmcnt(0)
	v_mul_f64 v[52:53], v[52:53], v[34:35]
	v_add_lshl_u32 v1, s25, v0, 3
	v_fma_f64 v[30:31], -v[48:49], v[58:59], v[30:31]
	s_lshl_b32 s26, s26, 3
	ds_write_b64 v1, v[52:53] offset:6272
	v_fma_f64 v[30:31], -v[44:45], v[62:63], v[30:31]
	v_mov_b32_e32 v1, s26
	v_fma_f64 v[30:31], -v[42:43], v[66:67], v[30:31]
	ds_read_b64 v[34:35], v1
	s_add_i32 s27, s13, 0xfffff7d8
	s_add_i32 s28, s8, -11
	v_fma_f64 v[30:31], -v[40:41], v[32:33], v[30:31]
	v_mov_b32_e32 v1, s27
	s_add_i32 s27, s28, s9
	v_fma_f64 v[30:31], -v[38:39], v[68:69], v[30:31]
	ds_read_b64 v[54:55], v1
	s_lshl_b32 s27, s27, 3
	v_fma_f64 v[30:31], -v[36:37], v[72:73], v[30:31]
	v_mov_b32_e32 v1, s27
	s_add_i32 s27, s28, s12
	v_fma_f64 v[30:31], -v[50:51], v[76:77], v[30:31]
	s_lshl_b32 s27, s27, 3
	s_waitcnt lgkmcnt(1)
	v_fma_f64 v[34:35], -v[52:53], v[34:35], v[30:31]
	v_mov_b32_e32 v56, s27
	ds_read2_b64 v[30:33], v1 offset1:1
	ds_read2_b64 v[58:61], v56 offset1:1
	s_add_i32 s26, s12, 0xffffff20
	s_add_i32 s27, s28, s16
	s_waitcnt lgkmcnt(2)
	v_mul_f64 v[54:55], v[54:55], v[34:35]
	v_add_lshl_u32 v1, s26, v0, 3
	s_lshl_b32 s27, s27, 3
	ds_write_b64 v1, v[54:55] offset:6272
	v_mov_b32_e32 v1, s27
	s_add_i32 s27, s28, s17
	s_waitcnt lgkmcnt(2)
	v_fma_f64 v[28:29], -v[46:47], v[32:33], v[28:29]
	ds_read2_b64 v[32:35], v1 offset1:1
	s_lshl_b32 s27, s27, 3
	v_mov_b32_e32 v1, s27
	s_add_i32 s27, s28, s18
	s_lshl_b32 s27, s27, 3
	s_waitcnt lgkmcnt(2)
	v_fma_f64 v[28:29], -v[48:49], v[60:61], v[28:29]
	ds_read2_b64 v[60:63], v1 offset1:1
	v_mov_b32_e32 v1, s27
	s_add_i32 s27, s28, s19
	s_lshl_b32 s27, s27, 3
	s_waitcnt lgkmcnt(1)
	v_fma_f64 v[28:29], -v[44:45], v[34:35], v[28:29]
	v_mov_b32_e32 v34, s27
	s_add_i32 s27, s28, s20
	s_lshl_b32 s27, s27, 3
	ds_read2_b64 v[64:67], v1 offset1:1
	ds_read2_b64 v[68:71], v34 offset1:1
	v_mov_b32_e32 v1, s27
	s_add_i32 s27, s28, s21
	s_lshl_b32 s27, s27, 3
	v_mov_b32_e32 v34, s27
	ds_read2_b64 v[72:75], v1 offset1:1
	ds_read2_b64 v[76:79], v34 offset1:1
	s_waitcnt lgkmcnt(4)
	v_fma_f64 v[28:29], -v[42:43], v[62:63], v[28:29]
	s_add_i32 s27, s28, s25
	s_waitcnt lgkmcnt(3)
	v_fma_f64 v[28:29], -v[40:41], v[66:67], v[28:29]
	s_lshl_b32 s27, s27, 3
	s_waitcnt lgkmcnt(2)
	v_fma_f64 v[28:29], -v[38:39], v[70:71], v[28:29]
	v_mov_b32_e32 v1, s27
	s_add_i32 s27, s28, s26
	s_waitcnt lgkmcnt(1)
	v_fma_f64 v[28:29], -v[36:37], v[74:75], v[28:29]
	s_lshl_b32 s27, s27, 3
	s_waitcnt lgkmcnt(0)
	v_fma_f64 v[28:29], -v[50:51], v[78:79], v[28:29]
	ds_read2_b64 v[78:81], v1 offset1:1
	v_mov_b32_e32 v1, s27
	s_add_i32 s27, s9, 0xfffffee8
	v_fma_f64 v[26:27], -v[46:47], v[30:31], v[26:27]
	s_add_i32 s28, s28, s27
	v_fma_f64 v[26:27], -v[48:49], v[58:59], v[26:27]
	s_lshl_b32 s28, s28, 3
	v_fma_f64 v[26:27], -v[44:45], v[32:33], v[26:27]
	ds_read2_b64 v[82:85], v1 offset1:1
	v_mov_b32_e32 v1, s28
	v_fma_f64 v[26:27], -v[42:43], v[60:61], v[26:27]
	ds_read2_b64 v[86:89], v1 offset1:1
	s_add_i32 s28, s13, 0xfffff608
	v_fma_f64 v[26:27], -v[40:41], v[64:65], v[26:27]
	v_mov_b32_e32 v1, s28
	v_fma_f64 v[26:27], -v[38:39], v[68:69], v[26:27]
	ds_read_b64 v[34:35], v1
	v_fma_f64 v[26:27], -v[36:37], v[72:73], v[26:27]
	s_waitcnt lgkmcnt(3)
	v_fma_f64 v[28:29], -v[52:53], v[80:81], v[28:29]
	v_fma_f64 v[26:27], -v[50:51], v[76:77], v[26:27]
	s_waitcnt lgkmcnt(2)
	v_fma_f64 v[28:29], -v[54:55], v[84:85], v[28:29]
	v_fma_f64 v[26:27], -v[52:53], v[78:79], v[26:27]
	s_add_i32 s33, s8, -13
	s_waitcnt lgkmcnt(1)
	v_mul_f64 v[56:57], v[88:89], v[28:29]
	v_fma_f64 v[26:27], -v[54:55], v[82:83], v[26:27]
	s_add_i32 s29, s33, s9
	v_fma_f64 v[26:27], -v[56:57], v[86:87], v[26:27]
	s_lshl_b32 s29, s29, 3
	s_waitcnt lgkmcnt(0)
	v_mul_f64 v[58:59], v[34:35], v[26:27]
	v_mov_b32_e32 v26, s29
	s_add_i32 s29, s33, s12
	s_lshl_b32 s29, s29, 3
	v_mov_b32_e32 v30, s29
	s_add_i32 s29, s33, s16
	v_add_lshl_u32 v1, s27, v0, 3
	s_lshl_b32 s29, s29, 3
	ds_write_b64 v1, v[56:57] offset:6272
	v_mov_b32_e32 v34, s29
	s_add_i32 s29, s33, s17
	ds_read2_b64 v[26:29], v26 offset1:1
	ds_read2_b64 v[30:33], v30 offset1:1
	s_lshl_b32 s29, s29, 3
	s_add_i32 s28, s9, 0xfffffecc
	v_mov_b32_e32 v35, s29
	s_add_i32 s29, s33, s18
	v_add_lshl_u32 v1, s28, v0, 3
	ds_read2_b64 v[62:65], v34 offset1:1
	ds_read2_b64 v[66:69], v35 offset1:1
	s_lshl_b32 s29, s29, 3
	ds_write_b64 v1, v[58:59] offset:6272
	v_mov_b32_e32 v1, s29
	s_add_i32 s29, s33, s19
	s_waitcnt lgkmcnt(4)
	v_fma_f64 v[24:25], -v[46:47], v[28:29], v[24:25]
	s_lshl_b32 s29, s29, 3
	s_waitcnt lgkmcnt(3)
	v_fma_f64 v[24:25], -v[48:49], v[32:33], v[24:25]
	ds_read2_b64 v[32:35], v1 offset1:1
	v_mov_b32_e32 v1, s29
	s_add_i32 s29, s33, s20
	s_waitcnt lgkmcnt(3)
	v_fma_f64 v[24:25], -v[44:45], v[64:65], v[24:25]
	s_lshl_b32 s29, s29, 3
	s_waitcnt lgkmcnt(2)
	v_fma_f64 v[24:25], -v[42:43], v[68:69], v[24:25]
	ds_read2_b64 v[68:71], v1 offset1:1
	v_mov_b32_e32 v1, s29
	s_add_i32 s29, s33, s21
	s_lshl_b32 s29, s29, 3
	v_mov_b32_e32 v28, s29
	s_add_i32 s29, s33, s25
	s_lshl_b32 s29, s29, 3
	ds_read2_b64 v[72:75], v1 offset1:1
	ds_read2_b64 v[76:79], v28 offset1:1
	v_mov_b32_e32 v1, s29
	s_add_i32 s29, s33, s26
	s_lshl_b32 s29, s29, 3
	s_waitcnt lgkmcnt(3)
	v_fma_f64 v[24:25], -v[40:41], v[34:35], v[24:25]
	v_mov_b32_e32 v28, s29
	ds_read2_b64 v[80:83], v1 offset1:1
	ds_read2_b64 v[84:87], v28 offset1:1
	s_waitcnt lgkmcnt(4)
	v_fma_f64 v[24:25], -v[38:39], v[70:71], v[24:25]
	s_add_i32 s29, s33, s27
	s_waitcnt lgkmcnt(3)
	v_fma_f64 v[24:25], -v[36:37], v[74:75], v[24:25]
	s_lshl_b32 s29, s29, 3
	s_waitcnt lgkmcnt(2)
	v_fma_f64 v[24:25], -v[50:51], v[78:79], v[24:25]
	v_mov_b32_e32 v1, s29
	s_add_i32 s29, s33, s28
	v_fma_f64 v[22:23], -v[46:47], v[26:27], v[22:23]
	s_waitcnt lgkmcnt(1)
	v_fma_f64 v[24:25], -v[52:53], v[82:83], v[24:25]
	s_lshl_b32 s29, s29, 3
	v_fma_f64 v[22:23], -v[48:49], v[30:31], v[22:23]
	s_waitcnt lgkmcnt(0)
	v_fma_f64 v[24:25], -v[54:55], v[86:87], v[24:25]
	ds_read2_b64 v[86:89], v1 offset1:1
	v_mov_b32_e32 v1, s29
	s_add_i32 s29, s9, 0xfffffeb0
	v_fma_f64 v[22:23], -v[44:45], v[62:63], v[22:23]
	s_add_i32 s33, s33, s29
	v_fma_f64 v[22:23], -v[42:43], v[66:67], v[22:23]
	s_lshl_b32 s33, s33, 3
	v_fma_f64 v[22:23], -v[40:41], v[32:33], v[22:23]
	ds_read2_b64 v[90:93], v1 offset1:1
	v_mov_b32_e32 v1, s33
	v_fma_f64 v[22:23], -v[38:39], v[68:69], v[22:23]
	ds_read2_b64 v[94:97], v1 offset1:1
	s_add_i32 s33, s13, 0xfffff438
	v_fma_f64 v[22:23], -v[36:37], v[72:73], v[22:23]
	v_mov_b32_e32 v1, s33
	v_fma_f64 v[22:23], -v[50:51], v[76:77], v[22:23]
	ds_read_b64 v[28:29], v1
	v_fma_f64 v[22:23], -v[52:53], v[80:81], v[22:23]
	s_waitcnt lgkmcnt(3)
	v_fma_f64 v[24:25], -v[56:57], v[88:89], v[24:25]
	v_fma_f64 v[22:23], -v[54:55], v[84:85], v[22:23]
	s_waitcnt lgkmcnt(2)
	v_fma_f64 v[24:25], -v[58:59], v[92:93], v[24:25]
	v_fma_f64 v[22:23], -v[56:57], v[86:87], v[22:23]
	s_waitcnt lgkmcnt(1)
	v_mul_f64 v[60:61], v[96:97], v[24:25]
	v_fma_f64 v[22:23], -v[58:59], v[90:91], v[22:23]
	s_add_i32 s35, s8, -15
	v_add_lshl_u32 v1, s29, v0, 3
	v_fma_f64 v[22:23], -v[60:61], v[94:95], v[22:23]
	s_add_i32 s33, s9, 0xfffffe94
	s_add_i32 s34, s35, s9
	ds_write_b64 v1, v[60:61] offset:6272
	s_waitcnt lgkmcnt(1)
	v_mul_f64 v[62:63], v[28:29], v[22:23]
	v_add_lshl_u32 v1, s33, v0, 3
	s_lshl_b32 s34, s34, 3
	ds_write_b64 v1, v[62:63] offset:6272
	v_mov_b32_e32 v1, s34
	s_add_i32 s34, s35, s12
	ds_read2_b64 v[22:25], v1 offset1:1
	s_lshl_b32 s34, s34, 3
	v_mov_b32_e32 v1, s34
	s_add_i32 s34, s35, s16
	s_lshl_b32 s34, s34, 3
	ds_read2_b64 v[26:29], v1 offset1:1
	v_mov_b32_e32 v1, s34
	s_add_i32 s34, s35, s17
	s_lshl_b32 s34, s34, 3
	s_waitcnt lgkmcnt(1)
	v_fma_f64 v[20:21], -v[46:47], v[24:25], v[20:21]
	v_mov_b32_e32 v24, s34
	s_add_i32 s34, s35, s18
	s_lshl_b32 s34, s34, 3
	ds_read2_b64 v[30:33], v1 offset1:1
	ds_read2_b64 v[66:69], v24 offset1:1
	v_mov_b32_e32 v1, s34
	s_add_i32 s34, s35, s19
	s_lshl_b32 s34, s34, 3
	v_mov_b32_e32 v24, s34
	s_add_i32 s34, s35, s20
	ds_read2_b64 v[70:73], v1 offset1:1
	ds_read2_b64 v[74:77], v24 offset1:1
	s_lshl_b32 s34, s34, 3
	s_waitcnt lgkmcnt(4)
	v_fma_f64 v[20:21], -v[48:49], v[28:29], v[20:21]
	v_mov_b32_e32 v1, s34
	s_add_i32 s34, s35, s21
	s_waitcnt lgkmcnt(3)
	v_fma_f64 v[20:21], -v[44:45], v[32:33], v[20:21]
	s_lshl_b32 s34, s34, 3
	s_waitcnt lgkmcnt(2)
	v_fma_f64 v[20:21], -v[42:43], v[68:69], v[20:21]
	ds_read2_b64 v[32:35], v1 offset1:1
	v_mov_b32_e32 v1, s34
	s_add_i32 s34, s35, s25
	s_waitcnt lgkmcnt(2)
	v_fma_f64 v[20:21], -v[40:41], v[72:73], v[20:21]
	s_lshl_b32 s34, s34, 3
	s_waitcnt lgkmcnt(1)
	v_fma_f64 v[20:21], -v[38:39], v[76:77], v[20:21]
	ds_read2_b64 v[76:79], v1 offset1:1
	v_mov_b32_e32 v1, s34
	s_add_i32 s34, s35, s26
	s_lshl_b32 s34, s34, 3
	v_mov_b32_e32 v24, s34
	s_add_i32 s34, s35, s27
	s_lshl_b32 s34, s34, 3
	ds_read2_b64 v[80:83], v1 offset1:1
	ds_read2_b64 v[84:87], v24 offset1:1
	v_mov_b32_e32 v1, s34
	s_add_i32 s34, s35, s28
	s_lshl_b32 s34, s34, 3
	s_waitcnt lgkmcnt(3)
	v_fma_f64 v[20:21], -v[36:37], v[34:35], v[20:21]
	v_mov_b32_e32 v24, s34
	ds_read2_b64 v[88:91], v1 offset1:1
	ds_read2_b64 v[92:95], v24 offset1:1
	s_waitcnt lgkmcnt(4)
	v_fma_f64 v[20:21], -v[50:51], v[78:79], v[20:21]
	s_add_i32 s34, s35, s29
	s_waitcnt lgkmcnt(3)
	v_fma_f64 v[20:21], -v[52:53], v[82:83], v[20:21]
	s_lshl_b32 s34, s34, 3
	s_waitcnt lgkmcnt(2)
	v_fma_f64 v[20:21], -v[54:55], v[86:87], v[20:21]
	v_mov_b32_e32 v1, s34
	s_add_i32 s34, s35, s33
	s_waitcnt lgkmcnt(1)
	v_fma_f64 v[20:21], -v[56:57], v[90:91], v[20:21]
	s_lshl_b32 s34, s34, 3
	v_fma_f64 v[18:19], -v[46:47], v[22:23], v[18:19]
	s_waitcnt lgkmcnt(0)
	v_fma_f64 v[20:21], -v[58:59], v[94:95], v[20:21]
	ds_read2_b64 v[94:97], v1 offset1:1
	v_mov_b32_e32 v1, s34
	s_add_i32 s34, s9, 0xfffffe78
	v_fma_f64 v[18:19], -v[48:49], v[26:27], v[18:19]
	s_add_i32 s35, s35, s34
	v_fma_f64 v[18:19], -v[44:45], v[30:31], v[18:19]
	s_lshl_b32 s35, s35, 3
	v_fma_f64 v[18:19], -v[42:43], v[66:67], v[18:19]
	ds_read2_b64 v[98:101], v1 offset1:1
	v_mov_b32_e32 v1, s35
	v_fma_f64 v[18:19], -v[40:41], v[70:71], v[18:19]
	ds_read2_b64 v[102:105], v1 offset1:1
	v_fma_f64 v[18:19], -v[38:39], v[74:75], v[18:19]
	v_fma_f64 v[18:19], -v[36:37], v[32:33], v[18:19]
	;; [unrolled: 1-line block ×3, first 2 shown]
	s_waitcnt lgkmcnt(2)
	v_fma_f64 v[20:21], -v[60:61], v[96:97], v[20:21]
	s_add_i32 s35, s13, 0xfffff268
	v_fma_f64 v[18:19], -v[52:53], v[80:81], v[18:19]
	s_sub_i32 s37, s8, 17
	s_waitcnt lgkmcnt(1)
	v_fma_f64 v[20:21], -v[62:63], v[100:101], v[20:21]
	v_mov_b32_e32 v1, s35
	v_fma_f64 v[18:19], -v[54:55], v[84:85], v[18:19]
	s_add_i32 s36, s37, s9
	ds_read_b64 v[28:29], v1
	s_waitcnt lgkmcnt(1)
	v_mul_f64 v[64:65], v[104:105], v[20:21]
	v_add_lshl_u32 v1, s34, v0, 3
	v_fma_f64 v[18:19], -v[56:57], v[88:89], v[18:19]
	s_lshl_b32 s36, s36, 3
	ds_write_b64 v1, v[64:65] offset:6272
	v_fma_f64 v[18:19], -v[58:59], v[92:93], v[18:19]
	v_mov_b32_e32 v1, s36
	s_add_i32 s36, s37, s12
	v_fma_f64 v[18:19], -v[60:61], v[94:95], v[18:19]
	s_lshl_b32 s36, s36, 3
	v_fma_f64 v[18:19], -v[62:63], v[98:99], v[18:19]
	v_mov_b32_e32 v22, s36
	v_fma_f64 v[26:27], -v[64:65], v[102:103], v[18:19]
	ds_read2_b64 v[18:21], v1 offset1:1
	ds_read2_b64 v[22:25], v22 offset1:1
	s_add_i32 s35, s9, 0xfffffe5c
	s_add_i32 s36, s37, s16
	s_waitcnt lgkmcnt(3)
	v_mul_f64 v[66:67], v[28:29], v[26:27]
	v_add_lshl_u32 v1, s35, v0, 3
	s_lshl_b32 s36, s36, 3
	ds_write_b64 v1, v[66:67] offset:6272
	v_mov_b32_e32 v1, s36
	s_add_i32 s36, s37, s17
	s_waitcnt lgkmcnt(2)
	v_fma_f64 v[16:17], -v[46:47], v[20:21], v[16:17]
	s_lshl_b32 s36, s36, 3
	s_waitcnt lgkmcnt(1)
	v_fma_f64 v[16:17], -v[48:49], v[24:25], v[16:17]
	ds_read2_b64 v[24:27], v1 offset1:1
	v_mov_b32_e32 v1, s36
	s_add_i32 s36, s37, s18
	s_lshl_b32 s36, s36, 3
	ds_read2_b64 v[28:31], v1 offset1:1
	v_mov_b32_e32 v1, s36
	s_add_i32 s36, s37, s19
	s_lshl_b32 s36, s36, 3
	v_mov_b32_e32 v20, s36
	s_add_i32 s36, s37, s20
	s_lshl_b32 s36, s36, 3
	ds_read2_b64 v[32:35], v1 offset1:1
	ds_read2_b64 v[70:73], v20 offset1:1
	v_mov_b32_e32 v1, s36
	s_add_i32 s36, s37, s21
	s_lshl_b32 s36, s36, 3
	s_waitcnt lgkmcnt(3)
	v_fma_f64 v[16:17], -v[44:45], v[26:27], v[16:17]
	v_mov_b32_e32 v20, s36
	ds_read2_b64 v[74:77], v1 offset1:1
	ds_read2_b64 v[78:81], v20 offset1:1
	s_waitcnt lgkmcnt(4)
	v_fma_f64 v[16:17], -v[42:43], v[30:31], v[16:17]
	s_add_i32 s36, s37, s25
	s_waitcnt lgkmcnt(3)
	v_fma_f64 v[16:17], -v[40:41], v[34:35], v[16:17]
	s_lshl_b32 s36, s36, 3
	s_waitcnt lgkmcnt(2)
	v_fma_f64 v[16:17], -v[38:39], v[72:73], v[16:17]
	v_mov_b32_e32 v1, s36
	s_add_i32 s36, s37, s26
	s_waitcnt lgkmcnt(1)
	v_fma_f64 v[16:17], -v[36:37], v[76:77], v[16:17]
	s_lshl_b32 s36, s36, 3
	s_waitcnt lgkmcnt(0)
	v_fma_f64 v[16:17], -v[50:51], v[80:81], v[16:17]
	ds_read2_b64 v[80:83], v1 offset1:1
	v_mov_b32_e32 v1, s36
	s_add_i32 s36, s37, s27
	s_lshl_b32 s36, s36, 3
	ds_read2_b64 v[84:87], v1 offset1:1
	v_mov_b32_e32 v1, s36
	s_add_i32 s36, s37, s28
	s_lshl_b32 s36, s36, 3
	v_mov_b32_e32 v20, s36
	s_add_i32 s36, s37, s29
	s_lshl_b32 s36, s36, 3
	ds_read2_b64 v[88:91], v1 offset1:1
	ds_read2_b64 v[92:95], v20 offset1:1
	v_mov_b32_e32 v1, s36
	s_add_i32 s36, s37, s33
	s_lshl_b32 s36, s36, 3
	v_fma_f64 v[14:15], -v[46:47], v[18:19], v[14:15]
	s_waitcnt lgkmcnt(3)
	v_fma_f64 v[16:17], -v[52:53], v[82:83], v[16:17]
	v_mov_b32_e32 v20, s36
	ds_read2_b64 v[96:99], v1 offset1:1
	ds_read2_b64 v[100:103], v20 offset1:1
	v_fma_f64 v[14:15], -v[48:49], v[22:23], v[14:15]
	s_waitcnt lgkmcnt(4)
	v_fma_f64 v[16:17], -v[54:55], v[86:87], v[16:17]
	s_add_i32 s36, s37, s34
	v_fma_f64 v[14:15], -v[44:45], v[24:25], v[14:15]
	s_waitcnt lgkmcnt(3)
	v_fma_f64 v[16:17], -v[56:57], v[90:91], v[16:17]
	s_lshl_b32 s36, s36, 3
	v_fma_f64 v[14:15], -v[42:43], v[28:29], v[14:15]
	s_waitcnt lgkmcnt(2)
	v_fma_f64 v[16:17], -v[58:59], v[94:95], v[16:17]
	v_mov_b32_e32 v1, s36
	s_add_i32 s36, s37, s35
	v_fma_f64 v[14:15], -v[40:41], v[32:33], v[14:15]
	s_waitcnt lgkmcnt(1)
	v_fma_f64 v[16:17], -v[60:61], v[98:99], v[16:17]
	s_lshl_b32 s36, s36, 3
	v_fma_f64 v[14:15], -v[38:39], v[70:71], v[14:15]
	s_waitcnt lgkmcnt(0)
	v_fma_f64 v[16:17], -v[62:63], v[102:103], v[16:17]
	ds_read2_b64 v[102:105], v1 offset1:1
	v_mov_b32_e32 v1, s36
	s_add_i32 s36, s9, 0xfffffe40
	v_fma_f64 v[14:15], -v[36:37], v[74:75], v[14:15]
	s_add_i32 s37, s37, s36
	v_fma_f64 v[14:15], -v[50:51], v[78:79], v[14:15]
	s_lshl_b32 s37, s37, 3
	v_fma_f64 v[14:15], -v[52:53], v[80:81], v[14:15]
	ds_read2_b64 v[106:109], v1 offset1:1
	v_mov_b32_e32 v1, s37
	v_fma_f64 v[14:15], -v[54:55], v[84:85], v[14:15]
	ds_read2_b64 v[110:113], v1 offset1:1
	s_add_i32 s37, s13, 0xfffff098
	v_fma_f64 v[14:15], -v[56:57], v[88:89], v[14:15]
	v_mov_b32_e32 v1, s37
	v_fma_f64 v[14:15], -v[58:59], v[92:93], v[14:15]
	ds_read_b64 v[20:21], v1
	v_fma_f64 v[14:15], -v[60:61], v[96:97], v[14:15]
	s_waitcnt lgkmcnt(3)
	v_fma_f64 v[16:17], -v[64:65], v[104:105], v[16:17]
	v_fma_f64 v[14:15], -v[62:63], v[100:101], v[14:15]
	s_waitcnt lgkmcnt(2)
	v_fma_f64 v[16:17], -v[66:67], v[108:109], v[16:17]
	v_fma_f64 v[14:15], -v[64:65], v[102:103], v[14:15]
	s_sub_i32 s39, s8, 19
	s_waitcnt lgkmcnt(1)
	v_mul_f64 v[68:69], v[112:113], v[16:17]
	v_fma_f64 v[14:15], -v[66:67], v[106:107], v[14:15]
	s_add_i32 s38, s39, s9
	v_fma_f64 v[14:15], -v[68:69], v[110:111], v[14:15]
	s_lshl_b32 s38, s38, 3
	s_waitcnt lgkmcnt(0)
	v_mul_f64 v[70:71], v[20:21], v[14:15]
	v_mov_b32_e32 v14, s38
	s_add_i32 s38, s39, s12
	s_lshl_b32 s38, s38, 3
	v_mov_b32_e32 v18, s38
	s_add_i32 s38, s39, s16
	v_add_lshl_u32 v1, s36, v0, 3
	s_lshl_b32 s38, s38, 3
	ds_write_b64 v1, v[68:69] offset:6272
	v_mov_b32_e32 v22, s38
	s_add_i32 s38, s39, s17
	ds_read2_b64 v[14:17], v14 offset1:1
	ds_read2_b64 v[18:21], v18 offset1:1
	s_lshl_b32 s38, s38, 3
	v_mov_b32_e32 v26, s38
	ds_read2_b64 v[22:25], v22 offset1:1
	ds_read2_b64 v[26:29], v26 offset1:1
	s_add_i32 s37, s9, 0xfffffe24
	s_add_i32 s38, s39, s18
	v_add_lshl_u32 v1, s37, v0, 3
	s_waitcnt lgkmcnt(3)
	v_fma_f64 v[12:13], -v[46:47], v[16:17], v[12:13]
	s_lshl_b32 s38, s38, 3
	ds_write_b64 v1, v[70:71] offset:6272
	s_waitcnt lgkmcnt(3)
	v_fma_f64 v[12:13], -v[48:49], v[20:21], v[12:13]
	v_mov_b32_e32 v1, s38
	s_add_i32 s38, s39, s19
	s_waitcnt lgkmcnt(2)
	v_fma_f64 v[12:13], -v[44:45], v[24:25], v[12:13]
	s_lshl_b32 s38, s38, 3
	s_waitcnt lgkmcnt(1)
	v_fma_f64 v[12:13], -v[42:43], v[28:29], v[12:13]
	ds_read2_b64 v[28:31], v1 offset1:1
	v_mov_b32_e32 v1, s38
	s_add_i32 s38, s39, s20
	s_lshl_b32 s38, s38, 3
	ds_read2_b64 v[32:35], v1 offset1:1
	v_mov_b32_e32 v1, s38
	s_add_i32 s38, s39, s21
	s_lshl_b32 s38, s38, 3
	v_mov_b32_e32 v16, s38
	s_add_i32 s38, s39, s25
	s_lshl_b32 s38, s38, 3
	ds_read2_b64 v[74:77], v1 offset1:1
	ds_read2_b64 v[78:81], v16 offset1:1
	v_mov_b32_e32 v1, s38
	s_add_i32 s38, s39, s26
	s_lshl_b32 s38, s38, 3
	s_waitcnt lgkmcnt(3)
	v_fma_f64 v[12:13], -v[40:41], v[30:31], v[12:13]
	v_mov_b32_e32 v16, s38
	ds_read2_b64 v[82:85], v1 offset1:1
	ds_read2_b64 v[86:89], v16 offset1:1
	s_waitcnt lgkmcnt(4)
	v_fma_f64 v[12:13], -v[38:39], v[34:35], v[12:13]
	s_add_i32 s38, s39, s27
	s_waitcnt lgkmcnt(3)
	v_fma_f64 v[12:13], -v[36:37], v[76:77], v[12:13]
	s_lshl_b32 s38, s38, 3
	s_waitcnt lgkmcnt(2)
	v_fma_f64 v[12:13], -v[50:51], v[80:81], v[12:13]
	v_mov_b32_e32 v1, s38
	s_add_i32 s38, s39, s28
	s_waitcnt lgkmcnt(1)
	v_fma_f64 v[12:13], -v[52:53], v[84:85], v[12:13]
	s_lshl_b32 s38, s38, 3
	s_waitcnt lgkmcnt(0)
	v_fma_f64 v[12:13], -v[54:55], v[88:89], v[12:13]
	ds_read2_b64 v[88:91], v1 offset1:1
	v_mov_b32_e32 v1, s38
	s_add_i32 s38, s39, s29
	s_lshl_b32 s38, s38, 3
	ds_read2_b64 v[92:95], v1 offset1:1
	v_mov_b32_e32 v1, s38
	s_add_i32 s38, s39, s33
	s_lshl_b32 s38, s38, 3
	v_mov_b32_e32 v16, s38
	s_add_i32 s38, s39, s34
	s_lshl_b32 s38, s38, 3
	v_fma_f64 v[10:11], -v[46:47], v[14:15], v[10:11]
	ds_read2_b64 v[96:99], v1 offset1:1
	ds_read2_b64 v[100:103], v16 offset1:1
	v_mov_b32_e32 v1, s38
	s_add_i32 s38, s39, s35
	v_fma_f64 v[10:11], -v[48:49], v[18:19], v[10:11]
	s_lshl_b32 s38, s38, 3
	v_fma_f64 v[10:11], -v[44:45], v[22:23], v[10:11]
	s_waitcnt lgkmcnt(3)
	v_fma_f64 v[12:13], -v[56:57], v[90:91], v[12:13]
	v_mov_b32_e32 v16, s38
	ds_read2_b64 v[104:107], v1 offset1:1
	ds_read2_b64 v[108:111], v16 offset1:1
	v_fma_f64 v[10:11], -v[42:43], v[26:27], v[10:11]
	s_waitcnt lgkmcnt(4)
	v_fma_f64 v[12:13], -v[58:59], v[94:95], v[12:13]
	s_add_i32 s38, s39, s36
	v_fma_f64 v[10:11], -v[40:41], v[28:29], v[10:11]
	s_waitcnt lgkmcnt(3)
	v_fma_f64 v[12:13], -v[60:61], v[98:99], v[12:13]
	s_lshl_b32 s38, s38, 3
	v_fma_f64 v[10:11], -v[38:39], v[32:33], v[10:11]
	s_waitcnt lgkmcnt(2)
	v_fma_f64 v[12:13], -v[62:63], v[102:103], v[12:13]
	v_mov_b32_e32 v1, s38
	s_add_i32 s38, s39, s37
	v_fma_f64 v[10:11], -v[36:37], v[74:75], v[10:11]
	s_waitcnt lgkmcnt(1)
	v_fma_f64 v[12:13], -v[64:65], v[106:107], v[12:13]
	s_lshl_b32 s38, s38, 3
	v_fma_f64 v[10:11], -v[50:51], v[78:79], v[10:11]
	s_waitcnt lgkmcnt(0)
	v_fma_f64 v[12:13], -v[66:67], v[110:111], v[12:13]
	ds_read2_b64 v[110:113], v1 offset1:1
	v_mov_b32_e32 v1, s38
	s_add_i32 s38, s9, 0xfffffe08
	v_fma_f64 v[10:11], -v[52:53], v[82:83], v[10:11]
	s_add_i32 s39, s39, s38
	v_fma_f64 v[10:11], -v[54:55], v[86:87], v[10:11]
	s_lshl_b32 s39, s39, 3
	v_fma_f64 v[10:11], -v[56:57], v[88:89], v[10:11]
	ds_read2_b64 v[114:117], v1 offset1:1
	v_mov_b32_e32 v1, s39
	v_fma_f64 v[10:11], -v[58:59], v[92:93], v[10:11]
	ds_read2_b64 v[118:121], v1 offset1:1
	s_add_i32 s39, s13, 0xffffeec8
	v_fma_f64 v[10:11], -v[60:61], v[96:97], v[10:11]
	v_mov_b32_e32 v1, s39
	v_fma_f64 v[10:11], -v[62:63], v[100:101], v[10:11]
	ds_read_b64 v[16:17], v1
	v_fma_f64 v[10:11], -v[64:65], v[104:105], v[10:11]
	s_waitcnt lgkmcnt(3)
	v_fma_f64 v[12:13], -v[68:69], v[112:113], v[12:13]
	v_fma_f64 v[10:11], -v[66:67], v[108:109], v[10:11]
	s_waitcnt lgkmcnt(2)
	v_fma_f64 v[12:13], -v[70:71], v[116:117], v[12:13]
	v_fma_f64 v[10:11], -v[68:69], v[110:111], v[10:11]
	s_waitcnt lgkmcnt(1)
	v_mul_f64 v[72:73], v[120:121], v[12:13]
	v_fma_f64 v[10:11], -v[70:71], v[114:115], v[10:11]
	s_sub_i32 s41, s8, 21
	v_add_lshl_u32 v1, s38, v0, 3
	v_fma_f64 v[10:11], -v[72:73], v[118:119], v[10:11]
	s_add_i32 s39, s9, 0xfffffdec
	s_add_i32 s40, s41, s9
	ds_write_b64 v1, v[72:73] offset:6272
	s_waitcnt lgkmcnt(1)
	v_mul_f64 v[74:75], v[16:17], v[10:11]
	v_add_lshl_u32 v1, s39, v0, 3
	s_lshl_b32 s40, s40, 3
	ds_write_b64 v1, v[74:75] offset:6272
	v_mov_b32_e32 v1, s40
	s_add_i32 s40, s41, s12
	ds_read2_b64 v[10:13], v1 offset1:1
	s_lshl_b32 s40, s40, 3
	v_mov_b32_e32 v1, s40
	s_add_i32 s40, s41, s16
	s_lshl_b32 s40, s40, 3
	ds_read2_b64 v[14:17], v1 offset1:1
	v_mov_b32_e32 v1, s40
	s_add_i32 s40, s41, s17
	s_lshl_b32 s40, s40, 3
	s_waitcnt lgkmcnt(1)
	v_fma_f64 v[8:9], -v[46:47], v[12:13], v[8:9]
	v_mov_b32_e32 v12, s40
	s_add_i32 s40, s41, s18
	s_lshl_b32 s40, s40, 3
	ds_read2_b64 v[18:21], v1 offset1:1
	ds_read2_b64 v[22:25], v12 offset1:1
	v_mov_b32_e32 v1, s40
	s_add_i32 s40, s41, s19
	s_lshl_b32 s40, s40, 3
	v_mov_b32_e32 v12, s40
	ds_read2_b64 v[26:29], v1 offset1:1
	ds_read2_b64 v[30:33], v12 offset1:1
	s_waitcnt lgkmcnt(4)
	v_fma_f64 v[8:9], -v[48:49], v[16:17], v[8:9]
	s_add_i32 s40, s41, s20
	s_waitcnt lgkmcnt(3)
	v_fma_f64 v[8:9], -v[44:45], v[20:21], v[8:9]
	s_lshl_b32 s40, s40, 3
	s_waitcnt lgkmcnt(2)
	v_fma_f64 v[8:9], -v[42:43], v[24:25], v[8:9]
	v_mov_b32_e32 v1, s40
	s_add_i32 s40, s41, s21
	s_waitcnt lgkmcnt(1)
	v_fma_f64 v[8:9], -v[40:41], v[28:29], v[8:9]
	s_lshl_b32 s40, s40, 3
	s_waitcnt lgkmcnt(0)
	v_fma_f64 v[8:9], -v[38:39], v[32:33], v[8:9]
	ds_read2_b64 v[32:35], v1 offset1:1
	v_mov_b32_e32 v1, s40
	s_add_i32 s40, s41, s25
	s_lshl_b32 s40, s40, 3
	ds_read2_b64 v[78:81], v1 offset1:1
	v_mov_b32_e32 v1, s40
	s_add_i32 s40, s41, s26
	s_lshl_b32 s40, s40, 3
	v_mov_b32_e32 v12, s40
	s_add_i32 s40, s41, s27
	s_lshl_b32 s40, s40, 3
	ds_read2_b64 v[82:85], v1 offset1:1
	ds_read2_b64 v[86:89], v12 offset1:1
	v_mov_b32_e32 v1, s40
	s_add_i32 s40, s41, s28
	s_lshl_b32 s40, s40, 3
	s_waitcnt lgkmcnt(3)
	v_fma_f64 v[8:9], -v[36:37], v[34:35], v[8:9]
	v_mov_b32_e32 v12, s40
	ds_read2_b64 v[90:93], v1 offset1:1
	ds_read2_b64 v[94:97], v12 offset1:1
	s_waitcnt lgkmcnt(4)
	v_fma_f64 v[8:9], -v[50:51], v[80:81], v[8:9]
	s_add_i32 s40, s41, s29
	s_waitcnt lgkmcnt(3)
	v_fma_f64 v[8:9], -v[52:53], v[84:85], v[8:9]
	s_lshl_b32 s40, s40, 3
	s_waitcnt lgkmcnt(2)
	v_fma_f64 v[8:9], -v[54:55], v[88:89], v[8:9]
	v_mov_b32_e32 v1, s40
	s_add_i32 s40, s41, s33
	s_waitcnt lgkmcnt(1)
	v_fma_f64 v[8:9], -v[56:57], v[92:93], v[8:9]
	s_lshl_b32 s40, s40, 3
	s_waitcnt lgkmcnt(0)
	v_fma_f64 v[8:9], -v[58:59], v[96:97], v[8:9]
	ds_read2_b64 v[96:99], v1 offset1:1
	v_mov_b32_e32 v1, s40
	s_add_i32 s40, s41, s34
	s_lshl_b32 s40, s40, 3
	ds_read2_b64 v[100:103], v1 offset1:1
	v_mov_b32_e32 v1, s40
	s_add_i32 s40, s41, s35
	s_lshl_b32 s40, s40, 3
	v_mov_b32_e32 v12, s40
	s_add_i32 s40, s41, s36
	v_fma_f64 v[6:7], -v[46:47], v[10:11], v[6:7]
	s_lshl_b32 s40, s40, 3
	v_fma_f64 v[6:7], -v[48:49], v[14:15], v[6:7]
	ds_read2_b64 v[104:107], v1 offset1:1
	ds_read2_b64 v[108:111], v12 offset1:1
	v_mov_b32_e32 v1, s40
	s_add_i32 s40, s41, s37
	v_fma_f64 v[6:7], -v[44:45], v[18:19], v[6:7]
	s_lshl_b32 s40, s40, 3
	v_fma_f64 v[6:7], -v[42:43], v[22:23], v[6:7]
	s_waitcnt lgkmcnt(3)
	v_fma_f64 v[8:9], -v[60:61], v[98:99], v[8:9]
	v_mov_b32_e32 v12, s40
	ds_read2_b64 v[112:115], v1 offset1:1
	ds_read2_b64 v[116:119], v12 offset1:1
	v_fma_f64 v[6:7], -v[40:41], v[26:27], v[6:7]
	s_waitcnt lgkmcnt(4)
	v_fma_f64 v[8:9], -v[62:63], v[102:103], v[8:9]
	s_add_i32 s40, s41, s38
	v_fma_f64 v[6:7], -v[38:39], v[30:31], v[6:7]
	s_waitcnt lgkmcnt(3)
	v_fma_f64 v[8:9], -v[64:65], v[106:107], v[8:9]
	s_lshl_b32 s40, s40, 3
	v_fma_f64 v[6:7], -v[36:37], v[32:33], v[6:7]
	s_waitcnt lgkmcnt(2)
	v_fma_f64 v[8:9], -v[66:67], v[110:111], v[8:9]
	v_mov_b32_e32 v1, s40
	s_add_i32 s40, s41, s39
	v_fma_f64 v[6:7], -v[50:51], v[78:79], v[6:7]
	s_waitcnt lgkmcnt(1)
	v_fma_f64 v[8:9], -v[68:69], v[114:115], v[8:9]
	s_lshl_b32 s40, s40, 3
	v_fma_f64 v[6:7], -v[52:53], v[82:83], v[6:7]
	s_waitcnt lgkmcnt(0)
	v_fma_f64 v[8:9], -v[70:71], v[118:119], v[8:9]
	ds_read2_b64 v[118:121], v1 offset1:1
	v_mov_b32_e32 v1, s40
	s_add_i32 s40, s9, 0xfffffdd0
	v_fma_f64 v[6:7], -v[54:55], v[86:87], v[6:7]
	s_add_i32 s41, s41, s40
	v_fma_f64 v[6:7], -v[56:57], v[90:91], v[6:7]
	s_lshl_b32 s41, s41, 3
	v_fma_f64 v[6:7], -v[58:59], v[94:95], v[6:7]
	ds_read2_b64 v[122:125], v1 offset1:1
	v_mov_b32_e32 v1, s41
	v_fma_f64 v[6:7], -v[60:61], v[96:97], v[6:7]
	ds_read2_b64 v[126:129], v1 offset1:1
	v_fma_f64 v[6:7], -v[62:63], v[100:101], v[6:7]
	v_fma_f64 v[6:7], -v[64:65], v[104:105], v[6:7]
	s_add_i32 s41, s13, 0xffffecf8
	v_fma_f64 v[6:7], -v[66:67], v[108:109], v[6:7]
	s_waitcnt lgkmcnt(2)
	v_fma_f64 v[8:9], -v[72:73], v[120:121], v[8:9]
	v_mov_b32_e32 v1, s41
	v_fma_f64 v[6:7], -v[68:69], v[112:113], v[6:7]
	s_sub_i32 s41, s8, 23
	s_waitcnt lgkmcnt(1)
	v_fma_f64 v[8:9], -v[74:75], v[124:125], v[8:9]
	ds_read_b64 v[16:17], v1
	v_fma_f64 v[6:7], -v[70:71], v[116:117], v[6:7]
	s_add_i32 s43, s41, s9
	s_add_i32 s12, s41, s12
	s_waitcnt lgkmcnt(1)
	v_mul_f64 v[76:77], v[128:129], v[8:9]
	v_add_lshl_u32 v1, s40, v0, 3
	v_fma_f64 v[6:7], -v[72:73], v[118:119], v[6:7]
	s_lshl_b32 s43, s43, 3
	s_lshl_b32 s12, s12, 3
	ds_write_b64 v1, v[76:77] offset:6272
	v_fma_f64 v[6:7], -v[74:75], v[122:123], v[6:7]
	v_mov_b32_e32 v1, s43
	v_mov_b32_e32 v10, s12
	v_fma_f64 v[14:15], -v[76:77], v[126:127], v[6:7]
	ds_read2_b64 v[6:9], v1 offset1:1
	ds_read2_b64 v[10:13], v10 offset1:1
	s_add_i32 s42, s9, 0xfffffdb4
	s_add_i32 s12, s41, s16
	s_waitcnt lgkmcnt(3)
	v_mul_f64 v[78:79], v[16:17], v[14:15]
	v_add_lshl_u32 v1, s42, v0, 3
	s_lshl_b32 s12, s12, 3
	ds_write_b64 v1, v[78:79] offset:6272
	v_mov_b32_e32 v1, s12
	s_add_i32 s12, s41, s17
	s_waitcnt lgkmcnt(2)
	v_fma_f64 v[4:5], -v[46:47], v[8:9], v[4:5]
	s_lshl_b32 s12, s12, 3
	s_waitcnt lgkmcnt(1)
	v_fma_f64 v[4:5], -v[48:49], v[12:13], v[4:5]
	ds_read2_b64 v[12:15], v1 offset1:1
	v_mov_b32_e32 v1, s12
	s_add_i32 s12, s41, s18
	s_lshl_b32 s12, s12, 3
	ds_read2_b64 v[16:19], v1 offset1:1
	v_mov_b32_e32 v1, s12
	s_add_i32 s12, s41, s19
	s_lshl_b32 s12, s12, 3
	v_mov_b32_e32 v8, s12
	s_add_i32 s12, s41, s20
	s_lshl_b32 s12, s12, 3
	ds_read2_b64 v[20:23], v1 offset1:1
	ds_read2_b64 v[24:27], v8 offset1:1
	v_mov_b32_e32 v1, s12
	s_add_i32 s12, s41, s21
	s_lshl_b32 s12, s12, 3
	v_mov_b32_e32 v8, s12
	s_add_i32 s12, s41, s25
	s_lshl_b32 s12, s12, 3
	ds_read2_b64 v[28:31], v1 offset1:1
	ds_read2_b64 v[32:35], v8 offset1:1
	v_mov_b32_e32 v1, s12
	s_add_i32 s12, s41, s26
	s_lshl_b32 s12, s12, 3
	ds_read2_b64 v[80:83], v1 offset1:1
	v_mov_b32_e32 v1, s12
	s_add_i32 s12, s41, s27
	s_lshl_b32 s12, s12, 3
	s_waitcnt lgkmcnt(6)
	v_fma_f64 v[4:5], -v[44:45], v[14:15], v[4:5]
	ds_read2_b64 v[84:87], v1 offset1:1
	v_mov_b32_e32 v1, s12
	s_add_i32 s12, s41, s28
	s_waitcnt lgkmcnt(6)
	v_fma_f64 v[4:5], -v[42:43], v[18:19], v[4:5]
	s_lshl_b32 s12, s12, 3
	s_waitcnt lgkmcnt(5)
	v_fma_f64 v[4:5], -v[40:41], v[22:23], v[4:5]
	v_mov_b32_e32 v8, s12
	s_add_i32 s12, s41, s29
	s_waitcnt lgkmcnt(4)
	v_fma_f64 v[4:5], -v[38:39], v[26:27], v[4:5]
	s_lshl_b32 s12, s12, 3
	s_waitcnt lgkmcnt(3)
	v_fma_f64 v[4:5], -v[36:37], v[30:31], v[4:5]
	ds_read2_b64 v[88:91], v1 offset1:1
	ds_read2_b64 v[92:95], v8 offset1:1
	v_mov_b32_e32 v1, s12
	s_add_i32 s12, s41, s33
	s_waitcnt lgkmcnt(4)
	v_fma_f64 v[4:5], -v[50:51], v[34:35], v[4:5]
	s_lshl_b32 s12, s12, 3
	s_waitcnt lgkmcnt(3)
	v_fma_f64 v[4:5], -v[52:53], v[82:83], v[4:5]
	v_mov_b32_e32 v8, s12
	ds_read2_b64 v[96:99], v1 offset1:1
	ds_read2_b64 v[100:103], v8 offset1:1
	s_waitcnt lgkmcnt(4)
	v_fma_f64 v[4:5], -v[54:55], v[86:87], v[4:5]
	s_add_i32 s12, s41, s34
	s_waitcnt lgkmcnt(3)
	v_fma_f64 v[4:5], -v[56:57], v[90:91], v[4:5]
	s_lshl_b32 s12, s12, 3
	s_waitcnt lgkmcnt(2)
	v_fma_f64 v[4:5], -v[58:59], v[94:95], v[4:5]
	v_mov_b32_e32 v1, s12
	s_add_i32 s12, s41, s35
	s_waitcnt lgkmcnt(1)
	v_fma_f64 v[4:5], -v[60:61], v[98:99], v[4:5]
	s_lshl_b32 s12, s12, 3
	s_waitcnt lgkmcnt(0)
	v_fma_f64 v[4:5], -v[62:63], v[102:103], v[4:5]
	ds_read2_b64 v[102:105], v1 offset1:1
	v_mov_b32_e32 v1, s12
	s_add_i32 s12, s41, s36
	s_lshl_b32 s12, s12, 3
	v_fma_f64 v[2:3], -v[46:47], v[6:7], v[2:3]
	ds_read2_b64 v[106:109], v1 offset1:1
	v_mov_b32_e32 v1, s12
	s_add_i32 s12, s41, s37
	v_fma_f64 v[2:3], -v[48:49], v[10:11], v[2:3]
	s_lshl_b32 s12, s12, 3
	v_fma_f64 v[2:3], -v[44:45], v[12:13], v[2:3]
	v_mov_b32_e32 v8, s12
	s_add_i32 s12, s41, s38
	v_fma_f64 v[2:3], -v[42:43], v[16:17], v[2:3]
	s_lshl_b32 s12, s12, 3
	v_fma_f64 v[2:3], -v[40:41], v[20:21], v[2:3]
	ds_read2_b64 v[110:113], v1 offset1:1
	ds_read2_b64 v[114:117], v8 offset1:1
	v_mov_b32_e32 v1, s12
	s_add_i32 s12, s41, s39
	v_fma_f64 v[2:3], -v[38:39], v[24:25], v[2:3]
	s_lshl_b32 s12, s12, 3
	v_fma_f64 v[2:3], -v[36:37], v[28:29], v[2:3]
	s_waitcnt lgkmcnt(3)
	v_fma_f64 v[4:5], -v[64:65], v[104:105], v[4:5]
	v_mov_b32_e32 v8, s12
	ds_read2_b64 v[118:121], v1 offset1:1
	ds_read2_b64 v[122:125], v8 offset1:1
	v_fma_f64 v[2:3], -v[50:51], v[32:33], v[2:3]
	s_waitcnt lgkmcnt(4)
	v_fma_f64 v[4:5], -v[66:67], v[108:109], v[4:5]
	s_add_i32 s12, s41, s40
	v_fma_f64 v[2:3], -v[52:53], v[80:81], v[2:3]
	s_waitcnt lgkmcnt(3)
	v_fma_f64 v[4:5], -v[68:69], v[112:113], v[4:5]
	s_lshl_b32 s12, s12, 3
	v_fma_f64 v[2:3], -v[54:55], v[84:85], v[2:3]
	s_waitcnt lgkmcnt(2)
	v_fma_f64 v[4:5], -v[70:71], v[116:117], v[4:5]
	v_mov_b32_e32 v1, s12
	s_add_i32 s12, s41, s42
	v_fma_f64 v[2:3], -v[56:57], v[88:89], v[2:3]
	s_waitcnt lgkmcnt(1)
	v_fma_f64 v[4:5], -v[72:73], v[120:121], v[4:5]
	s_lshl_b32 s12, s12, 3
	v_fma_f64 v[2:3], -v[58:59], v[92:93], v[2:3]
	s_waitcnt lgkmcnt(0)
	v_fma_f64 v[4:5], -v[74:75], v[124:125], v[4:5]
	ds_read2_b64 v[124:127], v1 offset1:1
	v_mov_b32_e32 v1, s12
	s_add_i32 s12, s9, 0xfffffd98
	v_fma_f64 v[2:3], -v[60:61], v[96:97], v[2:3]
	s_add_i32 s41, s41, s12
	v_fma_f64 v[2:3], -v[62:63], v[100:101], v[2:3]
	s_lshl_b32 s16, s41, 3
	v_fma_f64 v[2:3], -v[64:65], v[102:103], v[2:3]
	ds_read2_b64 v[128:131], v1 offset1:1
	v_mov_b32_e32 v1, s16
	v_fma_f64 v[2:3], -v[66:67], v[106:107], v[2:3]
	ds_read2_b64 v[132:135], v1 offset1:1
	s_addk_i32 s13, 0xeb28
	v_fma_f64 v[2:3], -v[68:69], v[110:111], v[2:3]
	v_mov_b32_e32 v1, s13
	v_fma_f64 v[2:3], -v[70:71], v[114:115], v[2:3]
	ds_read_b64 v[8:9], v1
	v_fma_f64 v[2:3], -v[72:73], v[118:119], v[2:3]
	s_waitcnt lgkmcnt(3)
	v_fma_f64 v[4:5], -v[76:77], v[126:127], v[4:5]
	v_fma_f64 v[2:3], -v[74:75], v[122:123], v[2:3]
	s_waitcnt lgkmcnt(2)
	v_fma_f64 v[4:5], -v[78:79], v[130:131], v[4:5]
	v_fma_f64 v[2:3], -v[76:77], v[124:125], v[2:3]
	s_waitcnt lgkmcnt(1)
	v_mul_f64 v[4:5], v[134:135], v[4:5]
	v_fma_f64 v[2:3], -v[78:79], v[128:129], v[2:3]
	v_add_lshl_u32 v1, s12, v0, 3
	v_fma_f64 v[2:3], -v[4:5], v[132:133], v[2:3]
	s_addk_i32 s9, 0xfd7c
	ds_write_b64 v1, v[4:5] offset:6272
	s_waitcnt lgkmcnt(1)
	v_mul_f64 v[2:3], v[8:9], v[2:3]
	v_add_lshl_u32 v1, s9, v0, 3
	s_sub_i32 s8, s8, 24
	ds_write_b64 v1, v[2:3] offset:6272
.LBB97_47:
	s_cmp_lt_i32 s8, 0
	s_cbranch_scc1 .LBB97_60
; %bb.48:
	s_bitcmp1_b32 s8, 0
	s_cselect_b64 s[12:13], -1, 0
	s_and_b64 vcc, exec, s[12:13]
	s_mov_b32 s9, s8
	s_cbranch_vccnz .LBB97_53
; %bb.49:
	s_mul_i32 s9, s8, 28
	v_add_lshl_u32 v1, s9, v0, 3
	ds_read_b64 v[2:3], v1 offset:6272
	s_cmp_le_i32 s31, s8
	s_cbranch_scc1 .LBB97_52
; %bb.50:
	s_mul_i32 s12, s30, 0xe0
	s_lshl_b32 s9, s8, 3
	s_add_i32 s9, s12, s9
	v_lshl_add_u32 v4, v0, 3, s12
	s_addk_i32 s9, 0xff20
	v_add_u32_e32 v4, 0x17a0, v4
	s_mov_b32 s12, s31
.LBB97_51:                              ; =>This Inner Loop Header: Depth=1
	v_mov_b32_e32 v5, s9
	ds_read_b64 v[6:7], v4
	ds_read_b64 v[8:9], v5
	s_add_i32 s12, s12, -1
	s_addk_i32 s9, 0xff20
	v_add_u32_e32 v4, 0xffffff20, v4
	s_cmp_gt_i32 s12, s8
	s_waitcnt lgkmcnt(0)
	v_fma_f64 v[2:3], -v[6:7], v[8:9], v[2:3]
	s_cbranch_scc1 .LBB97_51
.LBB97_52:
	s_mul_i32 s9, s8, 0xe8
	v_mov_b32_e32 v4, s9
	ds_read_b64 v[4:5], v4
	v_add_u32_e32 v1, 0x1880, v1
	s_add_i32 s9, s8, -1
	s_waitcnt lgkmcnt(0)
	v_mul_f64 v[2:3], v[4:5], v[2:3]
	ds_write_b64 v1, v[2:3]
.LBB97_53:
	s_cmp_eq_u32 s8, 0
	s_cbranch_scc1 .LBB97_60
; %bb.54:
	s_mul_i32 s12, s30, 0xe0
	s_lshl_b32 s8, s9, 3
	s_add_i32 s13, s12, s8
	v_lshl_add_u32 v1, v0, 3, s12
	s_add_i32 s8, s13, 0xffffff20
	v_add_u32_e32 v1, 0x17a0, v1
	s_add_i32 s12, s13, 0xffffff18
	s_branch .LBB97_56
.LBB97_55:                              ;   in Loop: Header=BB97_56 Depth=1
	s_addk_i32 s13, 0xff18
	v_mov_b32_e32 v2, s13
	ds_read_b64 v[2:3], v2
	s_add_i32 s13, s9, -2
	s_add_i32 s8, s8, -16
	;; [unrolled: 1-line block ×3, first 2 shown]
	s_cmp_lt_i32 s9, 2
	s_waitcnt lgkmcnt(0)
	v_mul_f64 v[2:3], v[2:3], v[4:5]
	s_mov_b32 s9, s13
	ds_write_b64 v6, v[2:3]
	s_cbranch_scc1 .LBB97_60
.LBB97_56:                              ; =>This Loop Header: Depth=1
                                        ;     Child Loop BB97_57 Depth 2
                                        ;     Child Loop BB97_59 Depth 2
	s_mul_i32 s13, s9, 28
	v_add_lshl_u32 v4, s13, v0, 3
	ds_read_b64 v[2:3], v4 offset:6272
	s_cmp_le_i32 s31, s9
	v_mov_b32_e32 v5, v1
	s_mov_b32 s13, s8
	s_mov_b32 s16, s31
	s_cbranch_scc1 .LBB97_58
.LBB97_57:                              ;   Parent Loop BB97_56 Depth=1
                                        ; =>  This Inner Loop Header: Depth=2
	v_mov_b32_e32 v8, s13
	ds_read_b64 v[6:7], v5
	ds_read_b64 v[8:9], v8
	s_add_i32 s16, s16, -1
	s_addk_i32 s13, 0xff20
	v_add_u32_e32 v5, 0xffffff20, v5
	s_cmp_gt_i32 s16, s9
	s_waitcnt lgkmcnt(0)
	v_fma_f64 v[2:3], -v[6:7], v[8:9], v[2:3]
	s_cbranch_scc1 .LBB97_57
.LBB97_58:                              ;   in Loop: Header=BB97_56 Depth=1
	s_mul_i32 s13, s9, 0xe8
	v_add_u32_e32 v8, 0x1880, v4
	v_mov_b32_e32 v4, s13
	ds_read_b64 v[10:11], v4
	v_add_u32_e32 v6, 0xffffff20, v8
	ds_read_b64 v[4:5], v6
	s_cmp_lt_i32 s31, s9
	v_mov_b32_e32 v7, v1
	s_waitcnt lgkmcnt(1)
	v_mul_f64 v[2:3], v[10:11], v[2:3]
	s_mov_b32 s16, s12
	s_mov_b32 s17, s30
	ds_write_b64 v8, v[2:3]
	s_cbranch_scc1 .LBB97_55
.LBB97_59:                              ;   Parent Loop BB97_56 Depth=1
                                        ; =>  This Inner Loop Header: Depth=2
	v_mov_b32_e32 v8, s16
	ds_read_b64 v[2:3], v7
	ds_read_b64 v[8:9], v8
	s_add_i32 s17, s17, -1
	s_addk_i32 s16, 0xff20
	v_add_u32_e32 v7, 0xffffff20, v7
	s_cmp_gt_i32 s17, s9
	s_waitcnt lgkmcnt(0)
	v_fma_f64 v[4:5], -v[2:3], v[8:9], v[4:5]
	s_cbranch_scc1 .LBB97_59
	s_branch .LBB97_55
.LBB97_60:
	s_waitcnt lgkmcnt(0)
	; wave barrier
	s_waitcnt lgkmcnt(0)
	s_and_saveexec_b64 s[8:9], s[14:15]
	s_cbranch_execz .LBB97_67
; %bb.61:
	s_cmp_lt_i32 s10, 8
	s_mov_b32 s8, 0
	s_cbranch_scc1 .LBB97_64
; %bb.62:
	v_mad_i64_i32 v[2:3], s[8:9], s22, v0, 0
	v_lshlrev_b64 v[2:3], 3, v[2:3]
	v_mov_b32_e32 v4, s24
	v_add_co_u32_e32 v1, vcc, s11, v2
	v_addc_co_u32_e32 v2, vcc, v4, v3, vcc
	v_mov_b32_e32 v3, 0x1880
	s_lshl_b32 s8, s30, 3
	v_lshl_add_u32 v3, v0, 3, v3
	s_and_b32 s9, s8, 0xc0
	s_mov_b32 s8, 0
	s_mov_b64 s[10:11], 0
.LBB97_63:                              ; =>This Inner Loop Header: Depth=1
	ds_read2_b64 v[4:7], v3 offset1:28
	ds_read2_b64 v[8:11], v3 offset0:56 offset1:84
	ds_read2_b64 v[12:15], v3 offset0:112 offset1:140
	;; [unrolled: 1-line block ×3, first 2 shown]
	s_add_i32 s8, s8, 8
	v_add_co_u32_e32 v20, vcc, s10, v1
	s_add_u32 s10, s10, 64
	v_mov_b32_e32 v21, s11
	s_addc_u32 s11, s11, 0
	v_add_u32_e32 v3, 0x700, v3
	v_addc_co_u32_e32 v21, vcc, v2, v21, vcc
	s_cmp_lg_u32 s9, s10
	s_waitcnt lgkmcnt(3)
	global_store_dwordx4 v[20:21], v[4:7], off
	s_waitcnt lgkmcnt(2)
	global_store_dwordx4 v[20:21], v[8:11], off offset:16
	s_waitcnt lgkmcnt(1)
	global_store_dwordx4 v[20:21], v[12:15], off offset:32
	;; [unrolled: 2-line block ×3, first 2 shown]
	s_cbranch_scc1 .LBB97_63
.LBB97_64:
	s_and_b32 s10, s30, 7
	s_cmp_eq_u32 s10, 0
	s_mov_b32 s9, 0
	s_cbranch_scc1 .LBB97_67
; %bb.65:
	s_lshl_b64 s[6:7], s[6:7], 3
	v_lshlrev_b32_e32 v1, 3, v0
	v_mov_b32_e32 v2, s7
	v_add_co_u32_e32 v1, vcc, s6, v1
	s_lshl_b64 s[6:7], s[8:9], 3
	s_add_u32 s2, s2, s6
	s_addc_u32 s3, s3, s7
	s_add_u32 s2, s2, s4
	s_addc_u32 s3, s3, s5
	;; [unrolled: 2-line block ×3, first 2 shown]
	v_addc_co_u32_e32 v4, vcc, 0, v2, vcc
	v_pk_mov_b32 v[2:3], s[0:1], s[0:1] op_sel:[0,1]
	v_mad_u64_u32 v[2:3], s[0:1], v1, s22, v[2:3]
	s_mul_i32 s0, s8, 0xe0
	v_mul_lo_u32 v1, v1, s23
	v_mul_lo_u32 v4, v4, s22
	v_lshl_add_u32 v0, v0, 3, s0
	v_add3_u32 v3, v4, v3, v1
	v_add_u32_e32 v0, 0x1880, v0
.LBB97_66:                              ; =>This Inner Loop Header: Depth=1
	ds_read_b64 v[4:5], v0
	s_add_i32 s10, s10, -1
	v_add_u32_e32 v0, 0xe0, v0
	s_cmp_lg_u32 s10, 0
	s_waitcnt lgkmcnt(0)
	global_store_dwordx2 v[2:3], v[4:5], off
	v_add_co_u32_e32 v2, vcc, 8, v2
	v_addc_co_u32_e32 v3, vcc, 0, v3, vcc
	s_cbranch_scc1 .LBB97_66
.LBB97_67:
	s_endpgm
	.section	.rodata,"a",@progbits
	.p2align	6, 0x0
	.amdhsa_kernel _ZL38rocblas_trsm_small_left_device_sharedBILi28ELi28ELb0EddPKdPdEv13rocblas_fill_18rocblas_operation_17rocblas_diagonal_iiT3_T4_lilT5_lili
		.amdhsa_group_segment_fixed_size 12544
		.amdhsa_private_segment_fixed_size 0
		.amdhsa_kernarg_size 360
		.amdhsa_user_sgpr_count 6
		.amdhsa_user_sgpr_private_segment_buffer 1
		.amdhsa_user_sgpr_dispatch_ptr 0
		.amdhsa_user_sgpr_queue_ptr 0
		.amdhsa_user_sgpr_kernarg_segment_ptr 1
		.amdhsa_user_sgpr_dispatch_id 0
		.amdhsa_user_sgpr_flat_scratch_init 0
		.amdhsa_user_sgpr_kernarg_preload_length 0
		.amdhsa_user_sgpr_kernarg_preload_offset 0
		.amdhsa_user_sgpr_private_segment_size 0
		.amdhsa_uses_dynamic_stack 0
		.amdhsa_system_sgpr_private_segment_wavefront_offset 0
		.amdhsa_system_sgpr_workgroup_id_x 1
		.amdhsa_system_sgpr_workgroup_id_y 0
		.amdhsa_system_sgpr_workgroup_id_z 1
		.amdhsa_system_sgpr_workgroup_info 0
		.amdhsa_system_vgpr_workitem_id 0
		.amdhsa_next_free_vgpr 160
		.amdhsa_next_free_sgpr 48
		.amdhsa_accum_offset 160
		.amdhsa_reserve_vcc 1
		.amdhsa_reserve_flat_scratch 0
		.amdhsa_float_round_mode_32 0
		.amdhsa_float_round_mode_16_64 0
		.amdhsa_float_denorm_mode_32 3
		.amdhsa_float_denorm_mode_16_64 3
		.amdhsa_dx10_clamp 1
		.amdhsa_ieee_mode 1
		.amdhsa_fp16_overflow 0
		.amdhsa_tg_split 0
		.amdhsa_exception_fp_ieee_invalid_op 0
		.amdhsa_exception_fp_denorm_src 0
		.amdhsa_exception_fp_ieee_div_zero 0
		.amdhsa_exception_fp_ieee_overflow 0
		.amdhsa_exception_fp_ieee_underflow 0
		.amdhsa_exception_fp_ieee_inexact 0
		.amdhsa_exception_int_div_zero 0
	.end_amdhsa_kernel
	.section	.text._ZL38rocblas_trsm_small_left_device_sharedBILi28ELi28ELb0EddPKdPdEv13rocblas_fill_18rocblas_operation_17rocblas_diagonal_iiT3_T4_lilT5_lili,"axG",@progbits,_ZL38rocblas_trsm_small_left_device_sharedBILi28ELi28ELb0EddPKdPdEv13rocblas_fill_18rocblas_operation_17rocblas_diagonal_iiT3_T4_lilT5_lili,comdat
.Lfunc_end97:
	.size	_ZL38rocblas_trsm_small_left_device_sharedBILi28ELi28ELb0EddPKdPdEv13rocblas_fill_18rocblas_operation_17rocblas_diagonal_iiT3_T4_lilT5_lili, .Lfunc_end97-_ZL38rocblas_trsm_small_left_device_sharedBILi28ELi28ELb0EddPKdPdEv13rocblas_fill_18rocblas_operation_17rocblas_diagonal_iiT3_T4_lilT5_lili
                                        ; -- End function
	.section	.AMDGPU.csdata,"",@progbits
; Kernel info:
; codeLenInByte = 31020
; NumSgprs: 52
; NumVgprs: 160
; NumAgprs: 0
; TotalNumVgprs: 160
; ScratchSize: 0
; MemoryBound: 0
; FloatMode: 240
; IeeeMode: 1
; LDSByteSize: 12544 bytes/workgroup (compile time only)
; SGPRBlocks: 6
; VGPRBlocks: 19
; NumSGPRsForWavesPerEU: 52
; NumVGPRsForWavesPerEU: 160
; AccumOffset: 160
; Occupancy: 2
; WaveLimiterHint : 0
; COMPUTE_PGM_RSRC2:SCRATCH_EN: 0
; COMPUTE_PGM_RSRC2:USER_SGPR: 6
; COMPUTE_PGM_RSRC2:TRAP_HANDLER: 0
; COMPUTE_PGM_RSRC2:TGID_X_EN: 1
; COMPUTE_PGM_RSRC2:TGID_Y_EN: 0
; COMPUTE_PGM_RSRC2:TGID_Z_EN: 1
; COMPUTE_PGM_RSRC2:TIDIG_COMP_CNT: 0
; COMPUTE_PGM_RSRC3_GFX90A:ACCUM_OFFSET: 39
; COMPUTE_PGM_RSRC3_GFX90A:TG_SPLIT: 0
	.section	.text._ZL30rocblas_trsm_small_left_deviceILi28ELi28ELb0EddPKdPdEv13rocblas_fill_18rocblas_operation_17rocblas_diagonal_iiT3_T4_lilT5_lili,"axG",@progbits,_ZL30rocblas_trsm_small_left_deviceILi28ELi28ELb0EddPKdPdEv13rocblas_fill_18rocblas_operation_17rocblas_diagonal_iiT3_T4_lilT5_lili,comdat
	.globl	_ZL30rocblas_trsm_small_left_deviceILi28ELi28ELb0EddPKdPdEv13rocblas_fill_18rocblas_operation_17rocblas_diagonal_iiT3_T4_lilT5_lili ; -- Begin function _ZL30rocblas_trsm_small_left_deviceILi28ELi28ELb0EddPKdPdEv13rocblas_fill_18rocblas_operation_17rocblas_diagonal_iiT3_T4_lilT5_lili
	.p2align	8
	.type	_ZL30rocblas_trsm_small_left_deviceILi28ELi28ELb0EddPKdPdEv13rocblas_fill_18rocblas_operation_17rocblas_diagonal_iiT3_T4_lilT5_lili,@function
_ZL30rocblas_trsm_small_left_deviceILi28ELi28ELb0EddPKdPdEv13rocblas_fill_18rocblas_operation_17rocblas_diagonal_iiT3_T4_lilT5_lili: ; @_ZL30rocblas_trsm_small_left_deviceILi28ELi28ELb0EddPKdPdEv13rocblas_fill_18rocblas_operation_17rocblas_diagonal_iiT3_T4_lilT5_lili
; %bb.0:
	s_load_dwordx4 s[12:15], s[4:5], 0x4
	s_load_dwordx4 s[0:3], s[4:5], 0x18
	s_load_dwordx2 s[24:25], s[4:5], 0x28
	s_load_dwordx4 s[8:11], s[4:5], 0x38
	s_load_dwordx2 s[20:21], s[4:5], 0x48
	s_waitcnt lgkmcnt(0)
	s_min_i32 s16, s14, 28
	s_mov_b32 s17, 0
	s_add_i32 s18, s16, -1
	v_cmp_gt_i32_e32 vcc, s16, v0
	s_and_saveexec_b64 s[22:23], vcc
	s_cbranch_execz .LBB98_10
; %bb.1:
	s_load_dword s26, s[4:5], 0x30
	s_mul_i32 s9, s7, s9
	s_mul_hi_u32 s19, s7, s8
	s_add_i32 s9, s19, s9
	s_mul_i32 s8, s7, s8
	s_waitcnt lgkmcnt(0)
	s_ashr_i32 s27, s26, 31
	s_cmp_lt_u32 s18, 3
	v_lshlrev_b32_e32 v1, 3, v0
	s_cbranch_scc1 .LBB98_4
; %bb.2:
	s_lshl_b64 s[28:29], s[8:9], 3
	s_add_u32 s17, s2, s28
	s_addc_u32 s19, s3, s29
	s_lshl_b64 s[28:29], s[24:25], 3
	s_add_u32 s17, s17, s28
	s_addc_u32 s19, s19, s29
	v_mov_b32_e32 v3, s19
	v_add_co_u32_e32 v2, vcc, s17, v1
	s_mul_hi_i32 s36, s26, 24
	s_lshl_b64 s[28:29], s[26:27], 5
	s_lshl_b64 s[30:31], s[26:27], 4
	;; [unrolled: 1-line block ×3, first 2 shown]
	v_addc_co_u32_e32 v3, vcc, 0, v3, vcc
	s_and_b32 s17, s16, -4
	s_mul_i32 s19, s26, 24
	s_mov_b32 s33, 0
	v_mov_b32_e32 v4, s35
	v_mov_b32_e32 v5, s31
	v_mov_b32_e32 v6, s36
	v_mov_b32_e32 v7, s29
	v_mov_b32_e32 v8, v1
.LBB98_3:                               ; =>This Inner Loop Header: Depth=1
	v_add_co_u32_e32 v12, vcc, s34, v2
	v_addc_co_u32_e32 v13, vcc, v3, v4, vcc
	v_add_co_u32_e32 v14, vcc, s30, v2
	v_addc_co_u32_e32 v15, vcc, v3, v5, vcc
	v_add_co_u32_e32 v16, vcc, s19, v2
	global_load_dwordx2 v[10:11], v[2:3], off
	v_addc_co_u32_e32 v17, vcc, v3, v6, vcc
	global_load_dwordx2 v[18:19], v[12:13], off
	global_load_dwordx2 v[20:21], v[14:15], off
	;; [unrolled: 1-line block ×3, first 2 shown]
	s_add_i32 s33, s33, 4
	v_add_co_u32_e32 v2, vcc, s28, v2
	v_addc_co_u32_e32 v3, vcc, v3, v7, vcc
	s_cmp_eq_u32 s17, s33
	s_waitcnt vmcnt(2)
	ds_write2_b64 v8, v[10:11], v[18:19] offset1:28
	s_waitcnt vmcnt(0)
	ds_write2_b64 v8, v[20:21], v[22:23] offset0:56 offset1:84
	v_add_u32_e32 v8, 0x380, v8
	s_cbranch_scc0 .LBB98_3
.LBB98_4:
	s_and_b32 s19, s16, 3
	s_cmp_eq_u32 s19, 0
	s_cbranch_scc1 .LBB98_7
; %bb.5:
	s_mul_i32 s28, s17, 0xe0
	v_lshl_add_u32 v4, v0, 3, s28
	s_mul_i32 s28, s27, s17
	s_mul_hi_u32 s29, s26, s17
	s_add_i32 s29, s29, s28
	s_mul_i32 s28, s26, s17
	s_lshl_b64 s[8:9], s[8:9], 3
	s_lshl_b64 s[28:29], s[28:29], 3
	s_add_u32 s17, s8, s28
	s_addc_u32 s28, s9, s29
	s_lshl_b64 s[8:9], s[24:25], 3
	s_add_u32 s8, s17, s8
	s_addc_u32 s9, s28, s9
	s_add_u32 s2, s2, s8
	s_addc_u32 s3, s3, s9
	v_mov_b32_e32 v3, s3
	v_add_co_u32_e32 v2, vcc, s2, v1
	s_lshl_b64 s[2:3], s[26:27], 3
	v_addc_co_u32_e32 v3, vcc, 0, v3, vcc
	v_mov_b32_e32 v1, s3
.LBB98_6:                               ; =>This Inner Loop Header: Depth=1
	global_load_dwordx2 v[6:7], v[2:3], off
	v_add_co_u32_e32 v2, vcc, s2, v2
	s_add_i32 s19, s19, -1
	v_addc_co_u32_e32 v3, vcc, v3, v1, vcc
	s_cmp_lg_u32 s19, 0
	s_waitcnt vmcnt(0)
	ds_write_b64 v4, v[6:7]
	v_add_u32_e32 v4, 0xe0, v4
	s_cbranch_scc1 .LBB98_6
.LBB98_7:
	v_mul_u32_u24_e32 v1, 29, v0
	v_mov_b32_e32 v2, 0
	s_cmpk_lg_i32 s13, 0x84
	v_lshlrev_b32_e32 v1, 3, v1
	v_mov_b32_e32 v3, 0x3ff00000
	s_cbranch_scc0 .LBB98_9
; %bb.8:
	ds_read_b64 v[2:3], v1
	s_waitcnt lgkmcnt(0)
	v_div_scale_f64 v[4:5], s[2:3], v[2:3], v[2:3], 1.0
	v_rcp_f64_e32 v[6:7], v[4:5]
	v_div_scale_f64 v[8:9], vcc, 1.0, v[2:3], 1.0
	v_fma_f64 v[10:11], -v[4:5], v[6:7], 1.0
	v_fmac_f64_e32 v[6:7], v[6:7], v[10:11]
	v_fma_f64 v[10:11], -v[4:5], v[6:7], 1.0
	v_fmac_f64_e32 v[6:7], v[6:7], v[10:11]
	v_mul_f64 v[10:11], v[8:9], v[6:7]
	v_fma_f64 v[4:5], -v[4:5], v[10:11], v[8:9]
	v_div_fmas_f64 v[4:5], v[4:5], v[6:7], v[10:11]
	v_div_fixup_f64 v[2:3], v[4:5], v[2:3], 1.0
.LBB98_9:
	ds_write_b64 v1, v[2:3]
.LBB98_10:
	s_or_b64 exec, exec, s[22:23]
	s_load_dword s2, s[4:5], 0x68
	s_mul_i32 s3, s6, 0xffffffe4
	s_add_i32 s3, s3, s15
	s_waitcnt lgkmcnt(0)
	; wave barrier
	s_waitcnt lgkmcnt(0)
	s_add_i32 s2, s2, -1
	s_cmp_ge_u32 s6, s2
	s_cselect_b32 s2, s3, 28
	v_cmp_gt_i32_e32 vcc, s2, v0
	s_and_saveexec_b64 s[2:3], vcc
	s_cbranch_execz .LBB98_54
; %bb.11:
	s_load_dwordx2 s[2:3], s[4:5], 0x58
	s_load_dword s8, s[4:5], 0x50
	s_waitcnt lgkmcnt(0)
	s_mul_i32 s3, s7, s3
	s_mul_hi_u32 s4, s7, s2
	s_mul_i32 s2, s7, s2
	s_add_i32 s3, s4, s3
	s_lshl_b64 s[2:3], s[2:3], 3
	s_add_u32 s7, s10, s2
	s_addc_u32 s9, s11, s3
	s_lshl_b64 s[4:5], s[20:21], 3
	s_add_u32 s13, s7, s4
	v_mad_u64_u32 v[0:1], s[6:7], s6, 28, v[0:1]
	v_mad_i64_i32 v[0:1], s[6:7], s8, v0, 0
	s_addc_u32 s9, s9, s5
	v_lshlrev_b64 v[100:101], 3, v[0:1]
	v_mov_b32_e32 v0, s9
	v_add_co_u32_e32 v98, vcc, s13, v100
	v_addc_co_u32_e32 v99, vcc, v0, v101, vcc
	s_cmpk_eq_i32 s12, 0x6f
	s_mov_b64 s[6:7], -1
	s_cbranch_scc1 .LBB98_32
; %bb.12:
	s_cmp_gt_i32 s14, 27
	s_cselect_b64 s[6:7], -1, 0
	s_mov_b32 s8, 0
	s_and_b64 vcc, exec, s[6:7]
	s_cbranch_vccz .LBB98_14
; %bb.13:
	global_load_dwordx4 v[4:7], v[98:99], off
	global_load_dwordx4 v[24:27], v[98:99], off offset:16
	global_load_dwordx4 v[20:23], v[98:99], off offset:32
	;; [unrolled: 1-line block ×13, first 2 shown]
	v_mov_b32_e32 v60, 0
	ds_read2_b64 v[56:59], v60 offset1:58
	ds_read_b128 v[62:65], v60 offset:224
	ds_read_b128 v[66:69], v60 offset:448
	;; [unrolled: 1-line block ×6, first 2 shown]
	ds_read2_b64 v[86:89], v60 offset0:116 offset1:174
	ds_read_b128 v[90:93], v60 offset:1120
	ds_read_b128 v[94:97], v60 offset:1136
	ds_read_b128 v[102:105], v60 offset:1152
	ds_read_b128 v[106:109], v60 offset:1344
	ds_read_b128 v[110:113], v60 offset:1360
	ds_read_b128 v[114:117], v60 offset:1376
	ds_read_b128 v[118:121], v60 offset:1568
	ds_read_b128 v[122:125], v60 offset:1584
	ds_read_b128 v[126:129], v60 offset:1600
	ds_read_b128 v[130:133], v60 offset:1616
	ds_read_b128 v[134:137], v60 offset:1792
	ds_read_b128 v[138:141], v60 offset:1808
	ds_read_b128 v[142:145], v60 offset:1824
	ds_read_b128 v[146:149], v60 offset:1840
	s_movk_i32 s8, 0x400
	v_add_u32_e64 v61, s8, 0
	ds_read_b128 v[150:153], v60 offset:2016
	ds_read2_b64 v[154:157], v61 offset0:104 offset1:162
	s_movk_i32 s8, 0x800
	v_add_u32_e64 v61, s8, 0
	s_movk_i32 s8, 0xc00
	s_waitcnt vmcnt(13)
	v_mul_f64 v[4:5], v[4:5], s[0:1]
	s_waitcnt lgkmcnt(14)
	v_mul_f64 v[4:5], v[56:57], v[4:5]
	v_mul_f64 v[56:57], v[4:5], v[62:63]
	v_fma_f64 v[6:7], v[6:7], s[0:1], -v[56:57]
	v_mul_f64 v[56:57], v[4:5], v[66:67]
	v_mul_f64 v[6:7], v[64:65], v[6:7]
	;; [unrolled: 1-line block ×4, first 2 shown]
	s_waitcnt vmcnt(12)
	v_fma_f64 v[24:25], v[24:25], s[0:1], -v[56:57]
	v_mul_f64 v[56:57], v[4:5], v[90:91]
	v_fma_f64 v[26:27], v[26:27], s[0:1], -v[62:63]
	s_waitcnt vmcnt(11)
	v_fma_f64 v[20:21], v[20:21], s[0:1], -v[64:65]
	v_fma_f64 v[22:23], v[22:23], s[0:1], -v[56:57]
	s_waitcnt lgkmcnt(9)
	v_mul_f64 v[56:57], v[4:5], v[118:119]
	v_fma_f64 v[24:25], -v[6:7], v[68:69], v[24:25]
	s_waitcnt vmcnt(10)
	v_fma_f64 v[18:19], v[18:19], s[0:1], -v[56:57]
	v_fma_f64 v[26:27], -v[6:7], v[72:73], v[26:27]
	v_fma_f64 v[56:57], -v[6:7], v[80:81], v[20:21]
	v_mul_f64 v[20:21], v[58:59], v[24:25]
	v_fma_f64 v[22:23], -v[6:7], v[92:93], v[22:23]
	v_fma_f64 v[24:25], -v[20:21], v[74:75], v[26:27]
	v_mul_f64 v[62:63], v[4:5], v[106:107]
	;; [unrolled: 3-line block ×3, first 2 shown]
	v_fma_f64 v[16:17], v[16:17], s[0:1], -v[62:63]
	v_fma_f64 v[24:25], -v[22:23], v[84:85], v[26:27]
	v_fma_f64 v[26:27], -v[22:23], v[96:97], v[56:57]
	ds_read_b128 v[56:59], v60 offset:2032
	s_waitcnt lgkmcnt(6)
	v_mul_f64 v[64:65], v[4:5], v[134:135]
	v_fma_f64 v[16:17], -v[6:7], v[108:109], v[16:17]
	s_waitcnt lgkmcnt(2)
	v_mul_f64 v[62:63], v[4:5], v[150:151]
	s_waitcnt vmcnt(9)
	v_fma_f64 v[12:13], v[12:13], s[0:1], -v[64:65]
	v_fma_f64 v[18:19], -v[6:7], v[120:121], v[18:19]
	v_fma_f64 v[16:17], -v[20:21], v[110:111], v[16:17]
	v_mul_f64 v[24:25], v[86:87], v[24:25]
	v_fma_f64 v[14:15], v[14:15], s[0:1], -v[62:63]
	ds_read_b128 v[62:65], v60 offset:2048
	v_fma_f64 v[12:13], -v[6:7], v[136:137], v[12:13]
	v_fma_f64 v[18:19], -v[20:21], v[122:123], v[18:19]
	;; [unrolled: 1-line block ×7, first 2 shown]
	v_mul_f64 v[26:27], v[104:105], v[26:27]
	v_fma_f64 v[14:15], -v[6:7], v[152:153], v[14:15]
	ds_read_b128 v[66:69], v60 offset:2064
	v_fma_f64 v[12:13], -v[22:23], v[140:141], v[12:13]
	v_fma_f64 v[18:19], -v[24:25], v[126:127], v[18:19]
	;; [unrolled: 1-line block ×3, first 2 shown]
	s_waitcnt lgkmcnt(2)
	v_fma_f64 v[14:15], -v[20:21], v[56:57], v[14:15]
	v_fma_f64 v[12:13], -v[24:25], v[142:143], v[12:13]
	;; [unrolled: 1-line block ×3, first 2 shown]
	v_mul_f64 v[16:17], v[88:89], v[16:17]
	v_fma_f64 v[14:15], -v[22:23], v[58:59], v[14:15]
	ds_read_b128 v[56:59], v60 offset:2080
	v_fma_f64 v[12:13], -v[26:27], v[144:145], v[12:13]
	v_fma_f64 v[18:19], -v[16:17], v[130:131], v[18:19]
	s_waitcnt lgkmcnt(2)
	v_fma_f64 v[14:15], -v[24:25], v[62:63], v[14:15]
	v_fma_f64 v[12:13], -v[16:17], v[146:147], v[12:13]
	v_mul_f64 v[18:19], v[132:133], v[18:19]
	v_fma_f64 v[14:15], -v[26:27], v[64:65], v[14:15]
	v_fma_f64 v[12:13], -v[18:19], v[148:149], v[12:13]
	s_waitcnt lgkmcnt(1)
	v_fma_f64 v[14:15], -v[16:17], v[66:67], v[14:15]
	v_mul_f64 v[12:13], v[154:155], v[12:13]
	v_fma_f64 v[14:15], -v[18:19], v[68:69], v[14:15]
	ds_read_b128 v[62:65], v60 offset:2240
	s_waitcnt lgkmcnt(1)
	v_fma_f64 v[14:15], -v[12:13], v[56:57], v[14:15]
	v_mul_f64 v[14:15], v[58:59], v[14:15]
	global_store_dwordx4 v[98:99], v[4:7], off
	global_store_dwordx4 v[98:99], v[20:23], off offset:16
	global_store_dwordx4 v[98:99], v[24:27], off offset:32
	;; [unrolled: 1-line block ×4, first 2 shown]
	ds_read_b128 v[56:59], v60 offset:2256
	ds_read_b128 v[66:69], v60 offset:2272
	s_waitcnt lgkmcnt(2)
	v_mul_f64 v[62:63], v[4:5], v[62:63]
	s_waitcnt vmcnt(13)
	v_fma_f64 v[28:29], v[28:29], s[0:1], -v[62:63]
	v_fma_f64 v[28:29], -v[6:7], v[64:65], v[28:29]
	ds_read_b128 v[62:65], v60 offset:2288
	s_waitcnt lgkmcnt(2)
	v_fma_f64 v[28:29], -v[20:21], v[56:57], v[28:29]
	v_fma_f64 v[28:29], -v[22:23], v[58:59], v[28:29]
	ds_read_b128 v[56:59], v60 offset:2304
	s_waitcnt lgkmcnt(2)
	v_fma_f64 v[28:29], -v[24:25], v[66:67], v[28:29]
	v_fma_f64 v[28:29], -v[26:27], v[68:69], v[28:29]
	s_waitcnt lgkmcnt(1)
	v_fma_f64 v[28:29], -v[16:17], v[62:63], v[28:29]
	v_fma_f64 v[28:29], -v[18:19], v[64:65], v[28:29]
	ds_read_b128 v[62:65], v60 offset:2464
	s_waitcnt lgkmcnt(1)
	v_fma_f64 v[28:29], -v[12:13], v[56:57], v[28:29]
	v_fma_f64 v[28:29], -v[14:15], v[58:59], v[28:29]
	ds_read_b128 v[56:59], v60 offset:2480
	ds_read_b128 v[66:69], v60 offset:2496
	s_waitcnt lgkmcnt(2)
	v_mul_f64 v[62:63], v[4:5], v[62:63]
	v_fma_f64 v[30:31], v[30:31], s[0:1], -v[62:63]
	v_fma_f64 v[30:31], -v[6:7], v[64:65], v[30:31]
	ds_read_b128 v[62:65], v60 offset:2512
	s_waitcnt lgkmcnt(2)
	v_fma_f64 v[30:31], -v[20:21], v[56:57], v[30:31]
	v_fma_f64 v[30:31], -v[22:23], v[58:59], v[30:31]
	ds_read_b128 v[56:59], v60 offset:2528
	s_waitcnt lgkmcnt(2)
	v_fma_f64 v[30:31], -v[24:25], v[66:67], v[30:31]
	;; [unrolled: 4-line block ×3, first 2 shown]
	v_fma_f64 v[30:31], -v[18:19], v[64:65], v[30:31]
	s_waitcnt lgkmcnt(1)
	v_fma_f64 v[30:31], -v[12:13], v[56:57], v[30:31]
	v_fma_f64 v[30:31], -v[14:15], v[58:59], v[30:31]
	ds_read_b128 v[56:59], v60 offset:2688
	ds_read_b128 v[62:65], v60 offset:2704
	v_mul_f64 v[28:29], v[156:157], v[28:29]
	s_waitcnt lgkmcnt(2)
	v_fma_f64 v[30:31], -v[28:29], v[66:67], v[30:31]
	v_mul_f64 v[30:31], v[68:69], v[30:31]
	s_waitcnt lgkmcnt(1)
	v_mul_f64 v[56:57], v[4:5], v[56:57]
	ds_read_b128 v[66:69], v60 offset:2720
	s_waitcnt vmcnt(11)
	v_fma_f64 v[36:37], v[36:37], s[0:1], -v[56:57]
	v_fma_f64 v[36:37], -v[6:7], v[58:59], v[36:37]
	ds_read_b128 v[56:59], v60 offset:2736
	s_waitcnt lgkmcnt(2)
	v_fma_f64 v[36:37], -v[20:21], v[62:63], v[36:37]
	v_fma_f64 v[36:37], -v[22:23], v[64:65], v[36:37]
	s_waitcnt lgkmcnt(1)
	v_fma_f64 v[36:37], -v[24:25], v[66:67], v[36:37]
	ds_read_b128 v[62:65], v60 offset:2752
	v_fma_f64 v[36:37], -v[26:27], v[68:69], v[36:37]
	s_waitcnt lgkmcnt(1)
	v_fma_f64 v[36:37], -v[16:17], v[56:57], v[36:37]
	v_fma_f64 v[36:37], -v[18:19], v[58:59], v[36:37]
	ds_read_b128 v[56:59], v60 offset:2768
	s_waitcnt lgkmcnt(1)
	v_fma_f64 v[36:37], -v[12:13], v[62:63], v[36:37]
	v_fma_f64 v[36:37], -v[14:15], v[64:65], v[36:37]
	ds_read_b128 v[62:65], v60 offset:2912
	ds_read_b128 v[70:73], v60 offset:2944
	s_waitcnt lgkmcnt(2)
	v_fma_f64 v[36:37], -v[28:29], v[56:57], v[36:37]
	v_fma_f64 v[36:37], -v[30:31], v[58:59], v[36:37]
	ds_read_b128 v[56:59], v60 offset:2928
	s_waitcnt lgkmcnt(2)
	v_mul_f64 v[62:63], v[4:5], v[62:63]
	v_fma_f64 v[38:39], v[38:39], s[0:1], -v[62:63]
	v_fma_f64 v[38:39], -v[6:7], v[64:65], v[38:39]
	ds_read_b128 v[62:65], v60 offset:2960
	s_waitcnt lgkmcnt(1)
	v_fma_f64 v[38:39], -v[20:21], v[56:57], v[38:39]
	v_fma_f64 v[38:39], -v[22:23], v[58:59], v[38:39]
	ds_read_b128 v[56:59], v60 offset:2976
	v_fma_f64 v[38:39], -v[24:25], v[70:71], v[38:39]
	v_fma_f64 v[38:39], -v[26:27], v[72:73], v[38:39]
	ds_read_b128 v[70:73], v60 offset:2992
	ds_read2_b64 v[66:69], v61 offset0:92 offset1:150
	s_waitcnt lgkmcnt(3)
	v_fma_f64 v[38:39], -v[16:17], v[62:63], v[38:39]
	v_fma_f64 v[38:39], -v[18:19], v[64:65], v[38:39]
	ds_read_b128 v[62:65], v60 offset:3008
	s_waitcnt lgkmcnt(3)
	v_fma_f64 v[38:39], -v[12:13], v[56:57], v[38:39]
	v_fma_f64 v[38:39], -v[14:15], v[58:59], v[38:39]
	ds_read_b128 v[56:59], v60 offset:3136
	s_waitcnt lgkmcnt(3)
	v_fma_f64 v[38:39], -v[28:29], v[70:71], v[38:39]
	s_waitcnt lgkmcnt(2)
	v_mul_f64 v[36:37], v[66:67], v[36:37]
	v_fma_f64 v[38:39], -v[30:31], v[72:73], v[38:39]
	s_waitcnt lgkmcnt(1)
	v_fma_f64 v[38:39], -v[36:37], v[62:63], v[38:39]
	v_mul_f64 v[38:39], v[64:65], v[38:39]
	global_store_dwordx4 v[98:99], v[28:31], off offset:80
	global_store_dwordx4 v[98:99], v[36:39], off offset:96
	ds_read_b128 v[62:65], v60 offset:3152
	ds_read_b128 v[70:73], v60 offset:3168
	s_waitcnt lgkmcnt(2)
	v_mul_f64 v[56:57], v[4:5], v[56:57]
	v_fma_f64 v[40:41], v[40:41], s[0:1], -v[56:57]
	v_fma_f64 v[40:41], -v[6:7], v[58:59], v[40:41]
	ds_read_b128 v[56:59], v60 offset:3184
	s_waitcnt lgkmcnt(2)
	v_fma_f64 v[40:41], -v[20:21], v[62:63], v[40:41]
	v_fma_f64 v[40:41], -v[22:23], v[64:65], v[40:41]
	ds_read_b128 v[62:65], v60 offset:3200
	s_waitcnt lgkmcnt(2)
	v_fma_f64 v[40:41], -v[24:25], v[70:71], v[40:41]
	;; [unrolled: 4-line block ×4, first 2 shown]
	v_fma_f64 v[40:41], -v[14:15], v[64:65], v[40:41]
	s_waitcnt lgkmcnt(1)
	v_fma_f64 v[40:41], -v[28:29], v[70:71], v[40:41]
	ds_read_b128 v[62:65], v60 offset:3360
	v_fma_f64 v[40:41], -v[30:31], v[72:73], v[40:41]
	s_waitcnt lgkmcnt(1)
	v_fma_f64 v[40:41], -v[36:37], v[56:57], v[40:41]
	v_fma_f64 v[40:41], -v[38:39], v[58:59], v[40:41]
	ds_read_b128 v[56:59], v60 offset:3376
	v_mul_f64 v[40:41], v[68:69], v[40:41]
	s_waitcnt lgkmcnt(1)
	v_mul_f64 v[62:63], v[4:5], v[62:63]
	ds_read_b128 v[66:69], v60 offset:3392
	v_fma_f64 v[42:43], v[42:43], s[0:1], -v[62:63]
	v_fma_f64 v[42:43], -v[6:7], v[64:65], v[42:43]
	ds_read_b128 v[62:65], v60 offset:3408
	s_waitcnt lgkmcnt(2)
	v_fma_f64 v[42:43], -v[20:21], v[56:57], v[42:43]
	v_fma_f64 v[42:43], -v[22:23], v[58:59], v[42:43]
	s_waitcnt lgkmcnt(1)
	v_fma_f64 v[42:43], -v[24:25], v[66:67], v[42:43]
	ds_read_b128 v[56:59], v60 offset:3424
	v_fma_f64 v[42:43], -v[26:27], v[68:69], v[42:43]
	s_waitcnt lgkmcnt(1)
	v_fma_f64 v[42:43], -v[16:17], v[62:63], v[42:43]
	v_fma_f64 v[42:43], -v[18:19], v[64:65], v[42:43]
	ds_read_b128 v[62:65], v60 offset:3440
	ds_read_b128 v[66:69], v60 offset:3456
	s_waitcnt lgkmcnt(2)
	v_fma_f64 v[42:43], -v[12:13], v[56:57], v[42:43]
	v_fma_f64 v[42:43], -v[14:15], v[58:59], v[42:43]
	ds_read_b128 v[56:59], v60 offset:3472
	s_waitcnt lgkmcnt(2)
	v_fma_f64 v[42:43], -v[28:29], v[62:63], v[42:43]
	v_fma_f64 v[42:43], -v[30:31], v[64:65], v[42:43]
	s_waitcnt lgkmcnt(1)
	v_fma_f64 v[42:43], -v[36:37], v[66:67], v[42:43]
	v_fma_f64 v[42:43], -v[38:39], v[68:69], v[42:43]
	s_waitcnt lgkmcnt(0)
	v_fma_f64 v[42:43], -v[40:41], v[56:57], v[42:43]
	v_mul_f64 v[42:43], v[58:59], v[42:43]
	ds_read_b128 v[56:59], v60 offset:3584
	global_store_dwordx4 v[98:99], v[40:43], off offset:112
	ds_read_b128 v[62:65], v60 offset:3600
	ds_read_b128 v[66:69], v60 offset:3616
	;; [unrolled: 1-line block ×3, first 2 shown]
	v_add_u32_e64 v61, s8, 0
	s_movk_i32 s8, 0x1000
	s_waitcnt lgkmcnt(3)
	v_mul_f64 v[56:57], v[4:5], v[56:57]
	s_waitcnt vmcnt(10)
	v_fma_f64 v[48:49], v[48:49], s[0:1], -v[56:57]
	v_fma_f64 v[48:49], -v[6:7], v[58:59], v[48:49]
	s_waitcnt lgkmcnt(2)
	v_fma_f64 v[48:49], -v[20:21], v[62:63], v[48:49]
	v_fma_f64 v[48:49], -v[22:23], v[64:65], v[48:49]
	ds_read_b128 v[56:59], v60 offset:3648
	ds_read_b128 v[62:65], v60 offset:3664
	s_waitcnt lgkmcnt(3)
	v_fma_f64 v[48:49], -v[24:25], v[66:67], v[48:49]
	v_fma_f64 v[48:49], -v[26:27], v[68:69], v[48:49]
	s_waitcnt lgkmcnt(2)
	v_fma_f64 v[48:49], -v[16:17], v[70:71], v[48:49]
	v_fma_f64 v[48:49], -v[18:19], v[72:73], v[48:49]
	ds_read_b128 v[66:69], v60 offset:3680
	s_waitcnt lgkmcnt(2)
	v_fma_f64 v[48:49], -v[12:13], v[56:57], v[48:49]
	v_fma_f64 v[48:49], -v[14:15], v[58:59], v[48:49]
	ds_read_b128 v[56:59], v60 offset:3696
	s_waitcnt lgkmcnt(2)
	v_fma_f64 v[48:49], -v[28:29], v[62:63], v[48:49]
	v_fma_f64 v[48:49], -v[30:31], v[64:65], v[48:49]
	s_waitcnt lgkmcnt(1)
	v_fma_f64 v[48:49], -v[36:37], v[66:67], v[48:49]
	ds_read2_b64 v[62:65], v61 offset0:80 offset1:138
	v_fma_f64 v[48:49], -v[38:39], v[68:69], v[48:49]
	ds_read_b128 v[66:69], v60 offset:3808
	s_waitcnt lgkmcnt(2)
	v_fma_f64 v[48:49], -v[40:41], v[56:57], v[48:49]
	v_fma_f64 v[48:49], -v[42:43], v[58:59], v[48:49]
	ds_read_b128 v[56:59], v60 offset:3824
	s_waitcnt lgkmcnt(2)
	v_mul_f64 v[48:49], v[62:63], v[48:49]
	s_waitcnt lgkmcnt(1)
	v_mul_f64 v[62:63], v[4:5], v[66:67]
	ds_read_b128 v[70:73], v60 offset:3840
	v_fma_f64 v[50:51], v[50:51], s[0:1], -v[62:63]
	v_fma_f64 v[50:51], -v[6:7], v[68:69], v[50:51]
	ds_read_b128 v[66:69], v60 offset:3856
	s_waitcnt lgkmcnt(2)
	v_fma_f64 v[50:51], -v[20:21], v[56:57], v[50:51]
	v_fma_f64 v[50:51], -v[22:23], v[58:59], v[50:51]
	ds_read_b128 v[56:59], v60 offset:3872
	s_waitcnt lgkmcnt(2)
	v_fma_f64 v[50:51], -v[24:25], v[70:71], v[50:51]
	;; [unrolled: 4-line block ×6, first 2 shown]
	v_fma_f64 v[50:51], -v[38:39], v[68:69], v[50:51]
	s_waitcnt lgkmcnt(1)
	v_fma_f64 v[50:51], -v[40:41], v[56:57], v[50:51]
	v_fma_f64 v[50:51], -v[42:43], v[58:59], v[50:51]
	ds_read_b128 v[56:59], v60 offset:4032
	s_waitcnt lgkmcnt(1)
	v_fma_f64 v[50:51], -v[48:49], v[70:71], v[50:51]
	v_mul_f64 v[50:51], v[72:73], v[50:51]
	global_store_dwordx4 v[98:99], v[48:51], off offset:128
	ds_read_b128 v[66:69], v60 offset:4048
	ds_read_b128 v[70:73], v60 offset:4064
	s_waitcnt lgkmcnt(2)
	v_mul_f64 v[56:57], v[4:5], v[56:57]
	v_fma_f64 v[52:53], v[52:53], s[0:1], -v[56:57]
	v_fma_f64 v[52:53], -v[6:7], v[58:59], v[52:53]
	ds_read_b128 v[56:59], v60 offset:4080
	s_waitcnt lgkmcnt(2)
	v_fma_f64 v[52:53], -v[20:21], v[66:67], v[52:53]
	v_fma_f64 v[52:53], -v[22:23], v[68:69], v[52:53]
	ds_read_b128 v[66:69], v60 offset:4096
	s_waitcnt lgkmcnt(2)
	v_fma_f64 v[52:53], -v[24:25], v[70:71], v[52:53]
	;; [unrolled: 4-line block ×6, first 2 shown]
	v_fma_f64 v[52:53], -v[38:39], v[58:59], v[52:53]
	s_waitcnt lgkmcnt(1)
	v_fma_f64 v[52:53], -v[40:41], v[66:67], v[52:53]
	ds_read_b128 v[56:59], v60 offset:4256
	v_fma_f64 v[52:53], -v[42:43], v[68:69], v[52:53]
	s_waitcnt lgkmcnt(1)
	v_fma_f64 v[52:53], -v[48:49], v[70:71], v[52:53]
	v_fma_f64 v[52:53], -v[50:51], v[72:73], v[52:53]
	v_mul_f64 v[52:53], v[64:65], v[52:53]
	ds_read_b128 v[62:65], v60 offset:4272
	s_waitcnt lgkmcnt(1)
	v_mul_f64 v[56:57], v[4:5], v[56:57]
	v_fma_f64 v[66:67], v[54:55], s[0:1], -v[56:57]
	ds_read_b128 v[54:57], v60 offset:4288
	v_fma_f64 v[58:59], -v[6:7], v[58:59], v[66:67]
	ds_read_b128 v[66:69], v60 offset:4304
	s_waitcnt lgkmcnt(2)
	v_fma_f64 v[58:59], -v[20:21], v[62:63], v[58:59]
	v_fma_f64 v[58:59], -v[22:23], v[64:65], v[58:59]
	s_waitcnt lgkmcnt(1)
	v_fma_f64 v[54:55], -v[24:25], v[54:55], v[58:59]
	ds_read_b128 v[62:65], v60 offset:4320
	v_fma_f64 v[54:55], -v[26:27], v[56:57], v[54:55]
	s_waitcnt lgkmcnt(1)
	v_fma_f64 v[58:59], -v[16:17], v[66:67], v[54:55]
	ds_read_b128 v[54:57], v60 offset:4336
	;; [unrolled: 4-line block ×3, first 2 shown]
	v_fma_f64 v[58:59], -v[14:15], v[64:65], v[58:59]
	s_waitcnt lgkmcnt(1)
	v_fma_f64 v[54:55], -v[28:29], v[54:55], v[58:59]
	v_fma_f64 v[58:59], -v[30:31], v[56:57], v[54:55]
	ds_read_b128 v[54:57], v60 offset:4368
	ds_read_b128 v[62:65], v60 offset:4384
	s_waitcnt lgkmcnt(2)
	v_fma_f64 v[58:59], -v[36:37], v[66:67], v[58:59]
	v_fma_f64 v[58:59], -v[38:39], v[68:69], v[58:59]
	ds_read_b128 v[66:69], v60 offset:4400
	s_waitcnt lgkmcnt(2)
	v_fma_f64 v[54:55], -v[40:41], v[54:55], v[58:59]
	v_fma_f64 v[54:55], -v[42:43], v[56:57], v[54:55]
	s_waitcnt lgkmcnt(1)
	v_fma_f64 v[54:55], -v[48:49], v[62:63], v[54:55]
	ds_read_b128 v[56:59], v60 offset:4480
	v_fma_f64 v[54:55], -v[50:51], v[64:65], v[54:55]
	s_waitcnt lgkmcnt(1)
	v_fma_f64 v[54:55], -v[52:53], v[66:67], v[54:55]
	v_mul_f64 v[54:55], v[68:69], v[54:55]
	global_store_dwordx4 v[98:99], v[52:55], off offset:144
	ds_read_b128 v[62:65], v60 offset:4496
	ds_read_b128 v[66:69], v60 offset:4512
	;; [unrolled: 1-line block ×3, first 2 shown]
	s_waitcnt lgkmcnt(3)
	v_mul_f64 v[56:57], v[4:5], v[56:57]
	v_fma_f64 v[44:45], v[44:45], s[0:1], -v[56:57]
	v_fma_f64 v[44:45], -v[6:7], v[58:59], v[44:45]
	s_waitcnt lgkmcnt(2)
	v_fma_f64 v[44:45], -v[20:21], v[62:63], v[44:45]
	v_fma_f64 v[44:45], -v[22:23], v[64:65], v[44:45]
	ds_read_b128 v[56:59], v60 offset:4544
	ds_read_b128 v[62:65], v60 offset:4560
	s_waitcnt lgkmcnt(3)
	v_fma_f64 v[44:45], -v[24:25], v[66:67], v[44:45]
	v_fma_f64 v[44:45], -v[26:27], v[68:69], v[44:45]
	s_waitcnt lgkmcnt(2)
	v_fma_f64 v[44:45], -v[16:17], v[70:71], v[44:45]
	v_fma_f64 v[44:45], -v[18:19], v[72:73], v[44:45]
	ds_read_b128 v[66:69], v60 offset:4576
	s_waitcnt lgkmcnt(2)
	v_fma_f64 v[44:45], -v[12:13], v[56:57], v[44:45]
	v_fma_f64 v[44:45], -v[14:15], v[58:59], v[44:45]
	ds_read_b128 v[56:59], v60 offset:4592
	;; [unrolled: 4-line block ×4, first 2 shown]
	s_waitcnt lgkmcnt(2)
	v_fma_f64 v[44:45], -v[40:41], v[56:57], v[44:45]
	v_fma_f64 v[44:45], -v[42:43], v[58:59], v[44:45]
	s_waitcnt lgkmcnt(1)
	v_fma_f64 v[44:45], -v[48:49], v[62:63], v[44:45]
	v_add_u32_e64 v61, s8, 0
	ds_read2_b64 v[56:59], v61 offset0:68 offset1:126
	v_fma_f64 v[44:45], -v[50:51], v[64:65], v[44:45]
	ds_read_b128 v[62:65], v60 offset:4704
	s_waitcnt lgkmcnt(2)
	v_fma_f64 v[44:45], -v[52:53], v[66:67], v[44:45]
	v_fma_f64 v[44:45], -v[54:55], v[68:69], v[44:45]
	ds_read_b128 v[66:69], v60 offset:4720
	s_waitcnt lgkmcnt(2)
	v_mul_f64 v[44:45], v[56:57], v[44:45]
	s_waitcnt lgkmcnt(1)
	v_mul_f64 v[56:57], v[4:5], v[62:63]
	ds_read_b128 v[70:73], v60 offset:4736
	v_fma_f64 v[46:47], v[46:47], s[0:1], -v[56:57]
	v_fma_f64 v[46:47], -v[6:7], v[64:65], v[46:47]
	ds_read_b128 v[62:65], v60 offset:4752
	s_waitcnt lgkmcnt(2)
	v_fma_f64 v[46:47], -v[20:21], v[66:67], v[46:47]
	v_fma_f64 v[46:47], -v[22:23], v[68:69], v[46:47]
	ds_read_b128 v[66:69], v60 offset:4768
	s_waitcnt lgkmcnt(2)
	v_fma_f64 v[46:47], -v[24:25], v[70:71], v[46:47]
	;; [unrolled: 4-line block ×8, first 2 shown]
	v_fma_f64 v[46:47], -v[50:51], v[72:73], v[46:47]
	s_waitcnt lgkmcnt(1)
	v_fma_f64 v[46:47], -v[52:53], v[62:63], v[46:47]
	v_fma_f64 v[46:47], -v[54:55], v[64:65], v[46:47]
	ds_read_b128 v[62:65], v60 offset:4928
	s_waitcnt lgkmcnt(1)
	v_fma_f64 v[46:47], -v[44:45], v[66:67], v[46:47]
	v_mul_f64 v[46:47], v[68:69], v[46:47]
	global_store_dwordx4 v[98:99], v[44:47], off offset:160
	ds_read_b128 v[66:69], v60 offset:4944
	ds_read_b128 v[70:73], v60 offset:4960
	s_waitcnt lgkmcnt(2)
	v_mul_f64 v[56:57], v[4:5], v[62:63]
	v_fma_f64 v[32:33], v[32:33], s[0:1], -v[56:57]
	v_fma_f64 v[32:33], -v[6:7], v[64:65], v[32:33]
	ds_read_b128 v[62:65], v60 offset:4976
	s_waitcnt lgkmcnt(2)
	v_fma_f64 v[32:33], -v[20:21], v[66:67], v[32:33]
	v_fma_f64 v[32:33], -v[22:23], v[68:69], v[32:33]
	ds_read_b128 v[66:69], v60 offset:4992
	s_waitcnt lgkmcnt(2)
	v_fma_f64 v[32:33], -v[24:25], v[70:71], v[32:33]
	v_fma_f64 v[32:33], -v[26:27], v[72:73], v[32:33]
	ds_read_b128 v[70:73], v60 offset:5008
	s_waitcnt lgkmcnt(2)
	v_fma_f64 v[32:33], -v[16:17], v[62:63], v[32:33]
	v_fma_f64 v[32:33], -v[18:19], v[64:65], v[32:33]
	ds_read_b128 v[62:65], v60 offset:5024
	s_waitcnt lgkmcnt(2)
	v_fma_f64 v[32:33], -v[12:13], v[66:67], v[32:33]
	v_fma_f64 v[32:33], -v[14:15], v[68:69], v[32:33]
	ds_read_b128 v[66:69], v60 offset:5040
	s_waitcnt lgkmcnt(2)
	v_fma_f64 v[32:33], -v[28:29], v[70:71], v[32:33]
	v_fma_f64 v[32:33], -v[30:31], v[72:73], v[32:33]
	ds_read_b128 v[70:73], v60 offset:5056
	s_waitcnt lgkmcnt(2)
	v_fma_f64 v[32:33], -v[36:37], v[62:63], v[32:33]
	v_fma_f64 v[32:33], -v[38:39], v[64:65], v[32:33]
	ds_read_b128 v[62:65], v60 offset:5072
	s_waitcnt lgkmcnt(2)
	v_fma_f64 v[32:33], -v[40:41], v[66:67], v[32:33]
	v_fma_f64 v[32:33], -v[42:43], v[68:69], v[32:33]
	ds_read_b128 v[66:69], v60 offset:5088
	s_waitcnt lgkmcnt(2)
	v_fma_f64 v[32:33], -v[48:49], v[70:71], v[32:33]
	v_fma_f64 v[32:33], -v[50:51], v[72:73], v[32:33]
	s_waitcnt lgkmcnt(1)
	v_fma_f64 v[32:33], -v[52:53], v[62:63], v[32:33]
	v_fma_f64 v[32:33], -v[54:55], v[64:65], v[32:33]
	ds_read_b128 v[62:65], v60 offset:5152
	s_waitcnt lgkmcnt(1)
	v_fma_f64 v[32:33], -v[44:45], v[66:67], v[32:33]
	v_fma_f64 v[32:33], -v[46:47], v[68:69], v[32:33]
	v_mul_f64 v[32:33], v[58:59], v[32:33]
	ds_read_b128 v[56:59], v60 offset:5168
	s_waitcnt lgkmcnt(1)
	v_mul_f64 v[62:63], v[4:5], v[62:63]
	ds_read_b128 v[66:69], v60 offset:5184
	v_fma_f64 v[34:35], v[34:35], s[0:1], -v[62:63]
	v_fma_f64 v[34:35], -v[6:7], v[64:65], v[34:35]
	ds_read_b128 v[62:65], v60 offset:5200
	s_waitcnt lgkmcnt(2)
	v_fma_f64 v[34:35], -v[20:21], v[56:57], v[34:35]
	v_fma_f64 v[34:35], -v[22:23], v[58:59], v[34:35]
	ds_read_b128 v[56:59], v60 offset:5216
	s_waitcnt lgkmcnt(2)
	v_fma_f64 v[34:35], -v[24:25], v[66:67], v[34:35]
	;; [unrolled: 4-line block ×5, first 2 shown]
	v_fma_f64 v[34:35], -v[30:31], v[68:69], v[34:35]
	s_waitcnt lgkmcnt(1)
	v_fma_f64 v[34:35], -v[36:37], v[62:63], v[34:35]
	ds_read_b128 v[66:69], v60 offset:5280
	v_fma_f64 v[34:35], -v[38:39], v[64:65], v[34:35]
	s_waitcnt lgkmcnt(1)
	v_fma_f64 v[34:35], -v[40:41], v[56:57], v[34:35]
	v_fma_f64 v[34:35], -v[42:43], v[58:59], v[34:35]
	ds_read_b128 v[56:59], v60 offset:5296
	ds_read_b128 v[62:65], v60 offset:5312
	s_waitcnt lgkmcnt(2)
	v_fma_f64 v[34:35], -v[48:49], v[66:67], v[34:35]
	v_fma_f64 v[34:35], -v[50:51], v[68:69], v[34:35]
	ds_read_b128 v[66:69], v60 offset:5328
	s_waitcnt lgkmcnt(2)
	v_fma_f64 v[34:35], -v[52:53], v[56:57], v[34:35]
	v_fma_f64 v[34:35], -v[54:55], v[58:59], v[34:35]
	s_waitcnt lgkmcnt(1)
	v_fma_f64 v[34:35], -v[44:45], v[62:63], v[34:35]
	ds_read_b128 v[56:59], v60 offset:5376
	v_fma_f64 v[34:35], -v[46:47], v[64:65], v[34:35]
	s_waitcnt lgkmcnt(1)
	v_fma_f64 v[34:35], -v[32:33], v[66:67], v[34:35]
	v_mul_f64 v[34:35], v[68:69], v[34:35]
	global_store_dwordx4 v[98:99], v[32:35], off offset:176
	ds_read_b128 v[62:65], v60 offset:5392
	ds_read_b128 v[66:69], v60 offset:5408
	;; [unrolled: 1-line block ×3, first 2 shown]
	s_waitcnt lgkmcnt(3)
	v_mul_f64 v[56:57], v[4:5], v[56:57]
	s_waitcnt vmcnt(12)
	v_fma_f64 v[8:9], v[8:9], s[0:1], -v[56:57]
	v_fma_f64 v[8:9], -v[6:7], v[58:59], v[8:9]
	s_waitcnt lgkmcnt(2)
	v_fma_f64 v[8:9], -v[20:21], v[62:63], v[8:9]
	v_fma_f64 v[8:9], -v[22:23], v[64:65], v[8:9]
	ds_read_b128 v[56:59], v60 offset:5440
	ds_read_b128 v[62:65], v60 offset:5456
	s_waitcnt lgkmcnt(3)
	v_fma_f64 v[8:9], -v[24:25], v[66:67], v[8:9]
	v_fma_f64 v[8:9], -v[26:27], v[68:69], v[8:9]
	s_waitcnt lgkmcnt(2)
	v_fma_f64 v[8:9], -v[16:17], v[70:71], v[8:9]
	v_fma_f64 v[8:9], -v[18:19], v[72:73], v[8:9]
	ds_read_b128 v[66:69], v60 offset:5472
	s_waitcnt lgkmcnt(2)
	v_fma_f64 v[8:9], -v[12:13], v[56:57], v[8:9]
	v_fma_f64 v[8:9], -v[14:15], v[58:59], v[8:9]
	ds_read_b128 v[56:59], v60 offset:5488
	;; [unrolled: 4-line block ×6, first 2 shown]
	s_waitcnt lgkmcnt(2)
	v_fma_f64 v[8:9], -v[52:53], v[66:67], v[8:9]
	v_fma_f64 v[8:9], -v[54:55], v[68:69], v[8:9]
	s_waitcnt lgkmcnt(1)
	v_fma_f64 v[8:9], -v[44:45], v[70:71], v[8:9]
	ds_read2_b64 v[56:59], v61 offset0:184 offset1:242
	ds_read_b128 v[66:69], v60 offset:5600
	v_fma_f64 v[8:9], -v[46:47], v[72:73], v[8:9]
	s_waitcnt lgkmcnt(2)
	v_fma_f64 v[8:9], -v[32:33], v[62:63], v[8:9]
	v_fma_f64 v[8:9], -v[34:35], v[64:65], v[8:9]
	ds_read_b128 v[62:65], v60 offset:5616
	s_waitcnt lgkmcnt(2)
	v_mul_f64 v[8:9], v[56:57], v[8:9]
	s_waitcnt lgkmcnt(1)
	v_mul_f64 v[56:57], v[4:5], v[66:67]
	ds_read_b128 v[70:73], v60 offset:5632
	v_fma_f64 v[10:11], v[10:11], s[0:1], -v[56:57]
	v_fma_f64 v[10:11], -v[6:7], v[68:69], v[10:11]
	ds_read_b128 v[66:69], v60 offset:5648
	s_waitcnt lgkmcnt(2)
	v_fma_f64 v[10:11], -v[20:21], v[62:63], v[10:11]
	v_fma_f64 v[10:11], -v[22:23], v[64:65], v[10:11]
	ds_read_b128 v[62:65], v60 offset:5664
	s_waitcnt lgkmcnt(2)
	v_fma_f64 v[10:11], -v[24:25], v[70:71], v[10:11]
	;; [unrolled: 4-line block ×11, first 2 shown]
	v_fma_f64 v[10:11], -v[34:35], v[72:73], v[10:11]
	s_waitcnt lgkmcnt(1)
	v_fma_f64 v[10:11], -v[8:9], v[66:67], v[10:11]
	v_mul_f64 v[10:11], v[68:69], v[10:11]
	global_store_dwordx4 v[98:99], v[8:11], off offset:192
	ds_read_b128 v[66:69], v60 offset:5840
	ds_read_b128 v[70:73], v60 offset:5856
	s_waitcnt lgkmcnt(2)
	v_mul_f64 v[56:57], v[4:5], v[62:63]
	v_fma_f64 v[0:1], v[0:1], s[0:1], -v[56:57]
	v_fma_f64 v[0:1], -v[6:7], v[64:65], v[0:1]
	ds_read_b128 v[62:65], v60 offset:5872
	s_waitcnt lgkmcnt(2)
	v_fma_f64 v[0:1], -v[20:21], v[66:67], v[0:1]
	v_fma_f64 v[0:1], -v[22:23], v[68:69], v[0:1]
	ds_read_b128 v[66:69], v60 offset:5888
	s_waitcnt lgkmcnt(2)
	v_fma_f64 v[0:1], -v[24:25], v[70:71], v[0:1]
	;; [unrolled: 4-line block ×10, first 2 shown]
	v_fma_f64 v[0:1], -v[46:47], v[68:69], v[0:1]
	s_waitcnt lgkmcnt(1)
	v_fma_f64 v[0:1], -v[32:33], v[70:71], v[0:1]
	ds_read_b128 v[66:69], v60 offset:6048
	v_fma_f64 v[0:1], -v[34:35], v[72:73], v[0:1]
	s_waitcnt lgkmcnt(1)
	v_fma_f64 v[0:1], -v[8:9], v[62:63], v[0:1]
	v_fma_f64 v[0:1], -v[10:11], v[64:65], v[0:1]
	v_mul_f64 v[0:1], v[58:59], v[0:1]
	ds_read_b128 v[56:59], v60 offset:6064
	s_waitcnt lgkmcnt(1)
	v_mul_f64 v[4:5], v[4:5], v[66:67]
	v_fma_f64 v[62:63], v[2:3], s[0:1], -v[4:5]
	ds_read_b128 v[2:5], v60 offset:6080
	v_fma_f64 v[6:7], -v[6:7], v[68:69], v[62:63]
	ds_read_b128 v[62:65], v60 offset:6096
	s_waitcnt lgkmcnt(2)
	v_fma_f64 v[6:7], -v[20:21], v[56:57], v[6:7]
	v_fma_f64 v[6:7], -v[22:23], v[58:59], v[6:7]
	s_waitcnt lgkmcnt(1)
	v_fma_f64 v[2:3], -v[24:25], v[2:3], v[6:7]
	ds_read_b128 v[20:23], v60 offset:6112
	v_fma_f64 v[2:3], -v[26:27], v[4:5], v[2:3]
	s_waitcnt lgkmcnt(1)
	v_fma_f64 v[6:7], -v[16:17], v[62:63], v[2:3]
	ds_read_b128 v[2:5], v60 offset:6128
	v_fma_f64 v[6:7], -v[18:19], v[64:65], v[6:7]
	ds_read_b128 v[16:19], v60 offset:6144
	s_waitcnt lgkmcnt(2)
	v_fma_f64 v[6:7], -v[12:13], v[20:21], v[6:7]
	v_fma_f64 v[6:7], -v[14:15], v[22:23], v[6:7]
	ds_read_b128 v[12:15], v60 offset:6160
	s_waitcnt lgkmcnt(2)
	v_fma_f64 v[2:3], -v[28:29], v[2:3], v[6:7]
	v_fma_f64 v[2:3], -v[30:31], v[4:5], v[2:3]
	s_waitcnt lgkmcnt(1)
	v_fma_f64 v[6:7], -v[36:37], v[16:17], v[2:3]
	ds_read_b128 v[2:5], v60 offset:6176
	v_fma_f64 v[6:7], -v[38:39], v[18:19], v[6:7]
	ds_read_b128 v[16:19], v60 offset:6192
	s_waitcnt lgkmcnt(2)
	v_fma_f64 v[6:7], -v[40:41], v[12:13], v[6:7]
	v_fma_f64 v[6:7], -v[42:43], v[14:15], v[6:7]
	s_waitcnt lgkmcnt(1)
	v_fma_f64 v[2:3], -v[48:49], v[2:3], v[6:7]
	ds_read_b128 v[12:15], v60 offset:6208
	v_fma_f64 v[2:3], -v[50:51], v[4:5], v[2:3]
	s_waitcnt lgkmcnt(1)
	v_fma_f64 v[2:3], -v[52:53], v[16:17], v[2:3]
	v_fma_f64 v[6:7], -v[54:55], v[18:19], v[2:3]
	ds_read_b128 v[2:5], v60 offset:6224
	ds_read_b128 v[16:19], v60 offset:6240
	s_waitcnt lgkmcnt(2)
	v_fma_f64 v[6:7], -v[44:45], v[12:13], v[6:7]
	v_fma_f64 v[6:7], -v[46:47], v[14:15], v[6:7]
	ds_read_b128 v[12:15], v60 offset:6256
	s_waitcnt lgkmcnt(2)
	v_fma_f64 v[2:3], -v[32:33], v[2:3], v[6:7]
	v_fma_f64 v[2:3], -v[34:35], v[4:5], v[2:3]
	s_waitcnt lgkmcnt(1)
	v_fma_f64 v[2:3], -v[8:9], v[16:17], v[2:3]
	v_fma_f64 v[2:3], -v[10:11], v[18:19], v[2:3]
	s_waitcnt lgkmcnt(0)
	v_fma_f64 v[2:3], -v[0:1], v[12:13], v[2:3]
	v_mul_f64 v[2:3], v[14:15], v[2:3]
	s_mov_b32 s8, 28
	global_store_dwordx4 v[98:99], v[0:3], off offset:208
.LBB98_14:
	s_cmp_lt_i32 s8, s16
	s_cbranch_scc0 .LBB98_31
; %bb.15:
	s_add_i32 s9, s8, 23
	s_cmp_ge_u32 s9, s16
	s_cbranch_scc1 .LBB98_20
; %bb.16:
	s_lshl_b32 s12, s8, 3
	v_add_co_u32_e32 v44, vcc, s12, v98
	v_addc_co_u32_e32 v45, vcc, 0, v99, vcc
	global_load_dwordx4 v[0:3], v[44:45], off
	global_load_dwordx4 v[4:7], v[44:45], off offset:16
	global_load_dwordx4 v[8:11], v[44:45], off offset:32
	;; [unrolled: 1-line block ×11, first 2 shown]
	s_mov_b32 s12, 0
	s_andn2_b64 vcc, exec, s[6:7]
	s_waitcnt vmcnt(11)
	v_mul_f64 v[0:1], v[0:1], s[0:1]
	v_mul_f64 v[60:61], v[2:3], s[0:1]
	s_waitcnt vmcnt(10)
	v_mul_f64 v[12:13], v[4:5], s[0:1]
	v_mul_f64 v[14:15], v[6:7], s[0:1]
	s_waitcnt vmcnt(9)
	v_mul_f64 v[58:59], v[8:9], s[0:1]
	v_mul_f64 v[56:57], v[10:11], s[0:1]
	s_waitcnt vmcnt(8)
	v_mul_f64 v[54:55], v[16:17], s[0:1]
	v_mul_f64 v[10:11], v[18:19], s[0:1]
	s_waitcnt vmcnt(7)
	v_mul_f64 v[16:17], v[20:21], s[0:1]
	v_mul_f64 v[18:19], v[22:23], s[0:1]
	s_waitcnt vmcnt(6)
	v_mul_f64 v[24:25], v[24:25], s[0:1]
	v_mul_f64 v[26:27], v[26:27], s[0:1]
	s_waitcnt vmcnt(5)
	v_mul_f64 v[28:29], v[28:29], s[0:1]
	v_mul_f64 v[30:31], v[30:31], s[0:1]
	s_waitcnt vmcnt(4)
	v_mul_f64 v[32:33], v[32:33], s[0:1]
	v_mul_f64 v[34:35], v[34:35], s[0:1]
	s_waitcnt vmcnt(3)
	v_mul_f64 v[36:37], v[36:37], s[0:1]
	v_mul_f64 v[38:39], v[38:39], s[0:1]
	s_waitcnt vmcnt(2)
	v_mul_f64 v[40:41], v[40:41], s[0:1]
	v_mul_f64 v[42:43], v[42:43], s[0:1]
	s_waitcnt vmcnt(1)
	v_mul_f64 v[52:53], v[46:47], s[0:1]
	v_mul_f64 v[50:51], v[48:49], s[0:1]
	s_waitcnt vmcnt(0)
	v_mul_f64 v[48:49], v[62:63], s[0:1]
	v_mul_f64 v[46:47], v[64:65], s[0:1]
	s_cbranch_vccnz .LBB98_19
; %bb.17:
	s_mul_i32 s6, s8, 0xe0
	v_pk_mov_b32 v[2:3], v[98:99], v[98:99] op_sel:[0,1]
.LBB98_18:                              ; =>This Inner Loop Header: Depth=1
	global_load_dwordx2 v[8:9], v[2:3], off
	v_mov_b32_e32 v74, s6
	v_add_u32_e32 v86, 0x800, v74
	v_add_u32_e32 v90, 0xc00, v74
	;; [unrolled: 1-line block ×3, first 2 shown]
	ds_read2_b64 v[4:7], v74 offset1:28
	ds_read2_b64 v[20:23], v74 offset0:56 offset1:84
	ds_read2_b64 v[62:65], v74 offset0:112 offset1:140
	;; [unrolled: 1-line block ×11, first 2 shown]
	s_add_i32 s12, s12, 1
	s_add_i32 s6, s6, 8
	v_add_co_u32_e32 v2, vcc, 8, v2
	v_addc_co_u32_e32 v3, vcc, 0, v3, vcc
	s_cmp_lt_u32 s12, s8
	s_waitcnt vmcnt(0) lgkmcnt(11)
	v_fma_f64 v[0:1], -v[8:9], v[4:5], v[0:1]
	v_fma_f64 v[60:61], -v[8:9], v[6:7], v[60:61]
	s_waitcnt lgkmcnt(10)
	v_fma_f64 v[12:13], -v[8:9], v[20:21], v[12:13]
	v_fma_f64 v[14:15], -v[8:9], v[22:23], v[14:15]
	s_waitcnt lgkmcnt(9)
	v_fma_f64 v[58:59], -v[8:9], v[62:63], v[58:59]
	v_fma_f64 v[56:57], -v[8:9], v[64:65], v[56:57]
	s_waitcnt lgkmcnt(8)
	v_fma_f64 v[54:55], -v[8:9], v[66:67], v[54:55]
	v_fma_f64 v[10:11], -v[8:9], v[68:69], v[10:11]
	s_waitcnt lgkmcnt(7)
	v_fma_f64 v[16:17], -v[8:9], v[70:71], v[16:17]
	v_fma_f64 v[18:19], -v[8:9], v[72:73], v[18:19]
	s_waitcnt lgkmcnt(6)
	v_fma_f64 v[24:25], -v[8:9], v[74:75], v[24:25]
	v_fma_f64 v[26:27], -v[8:9], v[76:77], v[26:27]
	s_waitcnt lgkmcnt(5)
	v_fma_f64 v[28:29], -v[8:9], v[78:79], v[28:29]
	v_fma_f64 v[30:31], -v[8:9], v[80:81], v[30:31]
	s_waitcnt lgkmcnt(4)
	v_fma_f64 v[32:33], -v[8:9], v[82:83], v[32:33]
	v_fma_f64 v[34:35], -v[8:9], v[84:85], v[34:35]
	s_waitcnt lgkmcnt(3)
	v_fma_f64 v[36:37], -v[8:9], v[86:87], v[36:37]
	v_fma_f64 v[38:39], -v[8:9], v[88:89], v[38:39]
	s_waitcnt lgkmcnt(2)
	v_fma_f64 v[40:41], -v[8:9], v[90:91], v[40:41]
	v_fma_f64 v[42:43], -v[8:9], v[92:93], v[42:43]
	s_waitcnt lgkmcnt(1)
	v_fma_f64 v[52:53], -v[8:9], v[94:95], v[52:53]
	v_fma_f64 v[50:51], -v[8:9], v[96:97], v[50:51]
	s_waitcnt lgkmcnt(0)
	v_fma_f64 v[48:49], -v[8:9], v[102:103], v[48:49]
	v_fma_f64 v[46:47], -v[8:9], v[104:105], v[46:47]
	s_cbranch_scc1 .LBB98_18
.LBB98_19:
	s_mul_i32 s6, s8, 0xe8
	v_mov_b32_e32 v62, s6
	s_or_b32 s6, s8, 1
	s_mul_i32 s6, s6, 28
	s_add_i32 s6, s6, s8
	s_lshl_b32 s7, s6, 3
	ds_read2_b64 v[2:5], v62 offset1:58
	v_mov_b32_e32 v63, s7
	ds_read_b128 v[6:9], v63
	ds_read_b128 v[20:23], v62 offset:5088
	ds_read_b128 v[64:67], v63 offset:224
	v_add_u32_e32 v76, 0x800, v62
	s_waitcnt lgkmcnt(3)
	v_mul_f64 v[0:1], v[2:3], v[0:1]
	s_add_i32 s12, s7, 0x7f8
	s_waitcnt lgkmcnt(2)
	v_fma_f64 v[2:3], -v[0:1], v[6:7], v[60:61]
	v_mul_f64 v[2:3], v[8:9], v[2:3]
	ds_read_b128 v[6:9], v63 offset:448
	s_waitcnt lgkmcnt(1)
	v_fma_f64 v[12:13], -v[0:1], v[64:65], v[12:13]
	v_fma_f64 v[12:13], -v[2:3], v[66:67], v[12:13]
	ds_read_b128 v[64:67], v63 offset:464
	v_mul_f64 v[12:13], v[4:5], v[12:13]
	s_waitcnt lgkmcnt(1)
	v_fma_f64 v[4:5], -v[0:1], v[6:7], v[14:15]
	v_fma_f64 v[8:9], -v[2:3], v[8:9], v[4:5]
	ds_read_b128 v[4:7], v63 offset:672
	s_waitcnt lgkmcnt(1)
	v_fma_f64 v[8:9], -v[12:13], v[64:65], v[8:9]
	v_mul_f64 v[14:15], v[66:67], v[8:9]
	ds_read_b128 v[64:67], v63 offset:688
	global_store_dwordx4 v[44:45], v[0:3], off
	global_store_dwordx4 v[44:45], v[12:15], off offset:16
	s_waitcnt lgkmcnt(1)
	v_fma_f64 v[4:5], -v[0:1], v[4:5], v[58:59]
	v_fma_f64 v[4:5], -v[2:3], v[6:7], v[4:5]
	ds_read2_b64 v[6:9], v62 offset0:116 offset1:174
	ds_read_b128 v[58:61], v63 offset:896
	s_waitcnt lgkmcnt(2)
	v_fma_f64 v[4:5], -v[12:13], v[64:65], v[4:5]
	v_fma_f64 v[4:5], -v[14:15], v[66:67], v[4:5]
	ds_read_b128 v[64:67], v63 offset:912
	ds_read_b128 v[68:71], v63 offset:928
	s_waitcnt lgkmcnt(3)
	v_mul_f64 v[4:5], v[6:7], v[4:5]
	s_waitcnt lgkmcnt(2)
	v_fma_f64 v[6:7], -v[0:1], v[58:59], v[56:57]
	v_fma_f64 v[6:7], -v[2:3], v[60:61], v[6:7]
	s_waitcnt lgkmcnt(1)
	v_fma_f64 v[6:7], -v[12:13], v[64:65], v[6:7]
	v_fma_f64 v[6:7], -v[14:15], v[66:67], v[6:7]
	ds_read2_b64 v[56:59], v63 offset0:140 offset1:145
	ds_read2_b64 v[64:67], v63 offset0:141 offset1:142
	s_waitcnt lgkmcnt(2)
	v_fma_f64 v[6:7], -v[4:5], v[68:69], v[6:7]
	v_mul_f64 v[6:7], v[70:71], v[6:7]
	ds_read2_b64 v[68:71], v63 offset0:143 offset1:144
	s_waitcnt lgkmcnt(2)
	v_fma_f64 v[54:55], -v[0:1], v[56:57], v[54:55]
	s_waitcnt lgkmcnt(1)
	v_fma_f64 v[54:55], -v[2:3], v[64:65], v[54:55]
	v_fma_f64 v[54:55], -v[12:13], v[66:67], v[54:55]
	global_store_dwordx4 v[44:45], v[4:7], off offset:32
	s_waitcnt lgkmcnt(0)
	v_fma_f64 v[54:55], -v[14:15], v[68:69], v[54:55]
	v_fma_f64 v[60:61], -v[4:5], v[70:71], v[54:55]
	ds_read2_b64 v[54:57], v63 offset0:168 offset1:196
	ds_read2_b64 v[64:67], v63 offset0:169 offset1:170
	v_fma_f64 v[58:59], -v[6:7], v[58:59], v[60:61]
	v_mul_f64 v[8:9], v[8:9], v[58:59]
	ds_read2_b64 v[58:61], v63 offset0:171 offset1:172
	s_waitcnt lgkmcnt(2)
	v_fma_f64 v[10:11], -v[0:1], v[54:55], v[10:11]
	s_waitcnt lgkmcnt(1)
	v_fma_f64 v[10:11], -v[2:3], v[64:65], v[10:11]
	v_fma_f64 v[10:11], -v[12:13], v[66:67], v[10:11]
	ds_read2_b64 v[64:67], v63 offset0:173 offset1:174
	ds_read2_b64 v[68:71], v62 offset0:203 offset1:232
	s_waitcnt lgkmcnt(2)
	v_fma_f64 v[10:11], -v[14:15], v[58:59], v[10:11]
	v_fma_f64 v[10:11], -v[4:5], v[60:61], v[10:11]
	ds_read2_b64 v[58:61], v63 offset0:197 offset1:198
	s_waitcnt lgkmcnt(2)
	v_fma_f64 v[10:11], -v[6:7], v[64:65], v[10:11]
	v_fma_f64 v[10:11], -v[8:9], v[66:67], v[10:11]
	s_waitcnt lgkmcnt(1)
	v_mul_f64 v[10:11], v[68:69], v[10:11]
	global_store_dwordx4 v[44:45], v[8:11], off offset:48
	ds_read2_b64 v[64:67], v63 offset0:203 offset1:224
	ds_read2_b64 v[72:75], v63 offset0:199 offset1:200
	v_fma_f64 v[16:17], -v[0:1], v[56:57], v[16:17]
	ds_read2_b64 v[54:57], v63 offset0:201 offset1:202
	s_waitcnt lgkmcnt(3)
	v_fma_f64 v[16:17], -v[2:3], v[58:59], v[16:17]
	v_fma_f64 v[16:17], -v[12:13], v[60:61], v[16:17]
	ds_read2_b64 v[58:61], v63 offset0:227 offset1:228
	s_waitcnt lgkmcnt(2)
	v_fma_f64 v[16:17], -v[14:15], v[72:73], v[16:17]
	v_fma_f64 v[16:17], -v[4:5], v[74:75], v[16:17]
	s_waitcnt lgkmcnt(1)
	v_fma_f64 v[16:17], -v[6:7], v[54:55], v[16:17]
	v_fma_f64 v[16:17], -v[8:9], v[56:57], v[16:17]
	ds_read2_b64 v[54:57], v63 offset0:225 offset1:226
	v_fma_f64 v[16:17], -v[10:11], v[64:65], v[16:17]
	v_fma_f64 v[18:19], -v[0:1], v[66:67], v[18:19]
	ds_read2_b64 v[64:67], v63 offset0:229 offset1:230
	v_mul_f64 v[16:17], v[70:71], v[16:17]
	s_waitcnt lgkmcnt(1)
	v_fma_f64 v[18:19], -v[2:3], v[54:55], v[18:19]
	v_fma_f64 v[18:19], -v[12:13], v[56:57], v[18:19]
	ds_read2_b64 v[54:57], v63 offset0:231 offset1:232
	v_fma_f64 v[18:19], -v[14:15], v[58:59], v[18:19]
	v_fma_f64 v[18:19], -v[4:5], v[60:61], v[18:19]
	s_waitcnt lgkmcnt(1)
	v_fma_f64 v[18:19], -v[6:7], v[64:65], v[18:19]
	v_fma_f64 v[18:19], -v[8:9], v[66:67], v[18:19]
	ds_read2_b64 v[58:61], v76 offset0:5 offset1:34
	s_waitcnt lgkmcnt(1)
	v_fma_f64 v[18:19], -v[10:11], v[54:55], v[18:19]
	v_add_u32_e32 v54, 0x400, v63
	ds_read2_b64 v[64:67], v54 offset0:124 offset1:133
	v_fma_f64 v[18:19], -v[16:17], v[56:57], v[18:19]
	ds_read2_b64 v[54:57], v63 offset0:253 offset1:254
	s_waitcnt lgkmcnt(2)
	v_mul_f64 v[18:19], v[58:59], v[18:19]
	v_mov_b32_e32 v58, s12
	s_waitcnt lgkmcnt(1)
	v_fma_f64 v[24:25], -v[0:1], v[64:65], v[24:25]
	ds_read2_b64 v[68:71], v58 offset1:1
	s_add_i32 s12, s7, 0x808
	s_waitcnt lgkmcnt(1)
	v_fma_f64 v[24:25], -v[2:3], v[54:55], v[24:25]
	v_mov_b32_e32 v54, s12
	v_fma_f64 v[24:25], -v[12:13], v[56:57], v[24:25]
	ds_read2_b64 v[54:57], v54 offset1:1
	s_add_i32 s12, s7, 0x818
	v_mov_b32_e32 v58, s12
	ds_read2_b64 v[72:75], v58 offset1:1
	s_waitcnt lgkmcnt(2)
	v_fma_f64 v[24:25], -v[14:15], v[68:69], v[24:25]
	v_fma_f64 v[24:25], -v[4:5], v[70:71], v[24:25]
	s_waitcnt lgkmcnt(1)
	v_fma_f64 v[24:25], -v[6:7], v[54:55], v[24:25]
	v_fma_f64 v[24:25], -v[8:9], v[56:57], v[24:25]
	v_add_u32_e32 v63, 0x800, v63
	s_waitcnt lgkmcnt(0)
	v_fma_f64 v[24:25], -v[10:11], v[72:73], v[24:25]
	ds_read2_b64 v[54:57], v63 offset0:24 offset1:52
	s_add_i32 s12, s7, 0x8c8
	v_fma_f64 v[24:25], -v[16:17], v[74:75], v[24:25]
	v_mov_b32_e32 v58, s12
	v_fma_f64 v[24:25], -v[18:19], v[66:67], v[24:25]
	s_add_i32 s12, s7, 0x8d8
	ds_read2_b64 v[64:67], v58 offset1:1
	v_mov_b32_e32 v58, s12
	ds_read2_b64 v[68:71], v58 offset1:1
	s_add_i32 s12, s7, 0x8e8
	s_waitcnt lgkmcnt(2)
	v_fma_f64 v[26:27], -v[0:1], v[54:55], v[26:27]
	v_mov_b32_e32 v54, s12
	v_mul_f64 v[24:25], v[60:61], v[24:25]
	ds_read2_b64 v[58:61], v54 offset1:1
	s_add_i32 s12, s7, 0x8f8
	s_waitcnt lgkmcnt(2)
	v_fma_f64 v[26:27], -v[2:3], v[64:65], v[26:27]
	v_mov_b32_e32 v54, s12
	v_fma_f64 v[26:27], -v[12:13], v[66:67], v[26:27]
	ds_read2_b64 v[64:67], v54 offset1:1
	s_add_i32 s12, s7, 0x908
	s_waitcnt lgkmcnt(2)
	v_fma_f64 v[26:27], -v[14:15], v[68:69], v[26:27]
	v_mov_b32_e32 v54, s12
	v_fma_f64 v[26:27], -v[4:5], v[70:71], v[26:27]
	ds_read2_b64 v[68:71], v54 offset1:1
	s_waitcnt lgkmcnt(2)
	v_fma_f64 v[26:27], -v[6:7], v[58:59], v[26:27]
	v_fma_f64 v[26:27], -v[8:9], v[60:61], v[26:27]
	s_add_i32 s12, s7, 0x9a8
	s_waitcnt lgkmcnt(1)
	v_fma_f64 v[26:27], -v[10:11], v[64:65], v[26:27]
	v_mov_b32_e32 v54, s12
	v_fma_f64 v[26:27], -v[16:17], v[66:67], v[26:27]
	s_add_i32 s12, s7, 0x9b8
	ds_read2_b64 v[64:67], v54 offset1:1
	s_waitcnt lgkmcnt(1)
	v_fma_f64 v[26:27], -v[18:19], v[68:69], v[26:27]
	v_mov_b32_e32 v54, s12
	ds_read2_b64 v[58:61], v76 offset0:63 offset1:92
	v_fma_f64 v[26:27], -v[24:25], v[70:71], v[26:27]
	ds_read2_b64 v[68:71], v54 offset1:1
	s_add_i32 s12, s7, 0x9c8
	v_mov_b32_e32 v54, s12
	v_fma_f64 v[28:29], -v[0:1], v[56:57], v[28:29]
	ds_read2_b64 v[54:57], v54 offset1:1
	s_waitcnt lgkmcnt(3)
	v_fma_f64 v[28:29], -v[2:3], v[64:65], v[28:29]
	v_fma_f64 v[28:29], -v[12:13], v[66:67], v[28:29]
	s_add_i32 s12, s7, 0x9d8
	s_waitcnt lgkmcnt(2)
	v_mul_f64 v[26:27], v[58:59], v[26:27]
	s_waitcnt lgkmcnt(1)
	v_fma_f64 v[28:29], -v[14:15], v[68:69], v[28:29]
	v_mov_b32_e32 v58, s12
	ds_read2_b64 v[64:67], v58 offset1:1
	v_fma_f64 v[28:29], -v[4:5], v[70:71], v[28:29]
	s_add_i32 s12, s7, 0x9e8
	s_waitcnt lgkmcnt(1)
	v_fma_f64 v[28:29], -v[6:7], v[54:55], v[28:29]
	v_mov_b32_e32 v54, s12
	ds_read2_b64 v[68:71], v54 offset1:1
	v_fma_f64 v[28:29], -v[8:9], v[56:57], v[28:29]
	ds_read2_b64 v[54:57], v63 offset0:63 offset1:80
	s_waitcnt lgkmcnt(2)
	v_fma_f64 v[28:29], -v[10:11], v[64:65], v[28:29]
	v_fma_f64 v[28:29], -v[16:17], v[66:67], v[28:29]
	s_waitcnt lgkmcnt(1)
	v_fma_f64 v[28:29], -v[18:19], v[68:69], v[28:29]
	v_fma_f64 v[28:29], -v[24:25], v[70:71], v[28:29]
	s_add_i32 s12, s7, 0xa88
	s_waitcnt lgkmcnt(0)
	v_fma_f64 v[28:29], -v[26:27], v[54:55], v[28:29]
	v_mov_b32_e32 v54, s12
	v_mul_f64 v[28:29], v[60:61], v[28:29]
	ds_read2_b64 v[58:61], v54 offset1:1
	s_add_i32 s12, s7, 0xa98
	v_mov_b32_e32 v54, s12
	v_fma_f64 v[30:31], -v[0:1], v[56:57], v[30:31]
	ds_read2_b64 v[54:57], v54 offset1:1
	s_add_i32 s12, s7, 0xaa8
	s_waitcnt lgkmcnt(1)
	v_fma_f64 v[30:31], -v[2:3], v[58:59], v[30:31]
	v_mov_b32_e32 v58, s12
	v_fma_f64 v[30:31], -v[12:13], v[60:61], v[30:31]
	ds_read2_b64 v[58:61], v58 offset1:1
	s_add_i32 s12, s7, 0xab8
	v_mov_b32_e32 v63, s12
	ds_read2_b64 v[64:67], v63 offset1:1
	s_add_i32 s12, s7, 0xac8
	s_waitcnt lgkmcnt(2)
	v_fma_f64 v[30:31], -v[14:15], v[54:55], v[30:31]
	v_mov_b32_e32 v54, s12
	v_fma_f64 v[30:31], -v[4:5], v[56:57], v[30:31]
	s_addk_i32 s7, 0xad8
	ds_read2_b64 v[54:57], v54 offset1:1
	s_waitcnt lgkmcnt(2)
	v_fma_f64 v[30:31], -v[6:7], v[58:59], v[30:31]
	v_mov_b32_e32 v58, s7
	v_fma_f64 v[30:31], -v[8:9], v[60:61], v[30:31]
	ds_read2_b64 v[58:61], v58 offset1:1
	s_waitcnt lgkmcnt(2)
	v_fma_f64 v[30:31], -v[10:11], v[64:65], v[30:31]
	v_fma_f64 v[30:31], -v[16:17], v[66:67], v[30:31]
	ds_read2_b64 v[64:67], v76 offset0:121 offset1:150
	s_waitcnt lgkmcnt(2)
	v_fma_f64 v[30:31], -v[18:19], v[54:55], v[30:31]
	v_fma_f64 v[30:31], -v[24:25], v[56:57], v[30:31]
	s_waitcnt lgkmcnt(1)
	v_fma_f64 v[30:31], -v[26:27], v[58:59], v[30:31]
	ds_read_b128 v[54:57], v62 offset:3136
	v_fma_f64 v[30:31], -v[28:29], v[60:61], v[30:31]
	s_waitcnt lgkmcnt(1)
	v_mul_f64 v[30:31], v[64:65], v[30:31]
	global_store_dwordx4 v[44:45], v[16:19], off offset:64
	global_store_dwordx4 v[44:45], v[24:27], off offset:80
	;; [unrolled: 1-line block ×3, first 2 shown]
	ds_read_b128 v[58:61], v62 offset:3152
	ds_read_b128 v[68:71], v62 offset:3168
	;; [unrolled: 1-line block ×3, first 2 shown]
	s_waitcnt lgkmcnt(3)
	v_fma_f64 v[32:33], -v[0:1], v[54:55], v[32:33]
	v_fma_f64 v[32:33], -v[2:3], v[56:57], v[32:33]
	s_waitcnt lgkmcnt(2)
	v_fma_f64 v[32:33], -v[12:13], v[58:59], v[32:33]
	v_fma_f64 v[32:33], -v[14:15], v[60:61], v[32:33]
	ds_read_b128 v[54:57], v62 offset:3200
	ds_read_b128 v[58:61], v62 offset:3216
	s_waitcnt lgkmcnt(3)
	v_fma_f64 v[32:33], -v[4:5], v[68:69], v[32:33]
	v_fma_f64 v[32:33], -v[6:7], v[70:71], v[32:33]
	s_waitcnt lgkmcnt(2)
	v_fma_f64 v[32:33], -v[8:9], v[72:73], v[32:33]
	v_fma_f64 v[32:33], -v[10:11], v[74:75], v[32:33]
	ds_read_b128 v[68:71], v62 offset:3232
	s_waitcnt lgkmcnt(2)
	v_fma_f64 v[32:33], -v[16:17], v[54:55], v[32:33]
	v_fma_f64 v[32:33], -v[18:19], v[56:57], v[32:33]
	ds_read_b128 v[54:57], v62 offset:3360
	s_waitcnt lgkmcnt(2)
	v_fma_f64 v[32:33], -v[24:25], v[58:59], v[32:33]
	v_fma_f64 v[32:33], -v[26:27], v[60:61], v[32:33]
	s_waitcnt lgkmcnt(1)
	v_fma_f64 v[32:33], -v[28:29], v[68:69], v[32:33]
	ds_read_b128 v[58:61], v62 offset:3376
	v_fma_f64 v[32:33], -v[30:31], v[70:71], v[32:33]
	v_mul_f64 v[32:33], v[66:67], v[32:33]
	ds_read_b128 v[64:67], v62 offset:3392
	s_waitcnt lgkmcnt(2)
	v_fma_f64 v[34:35], -v[0:1], v[54:55], v[34:35]
	v_fma_f64 v[34:35], -v[2:3], v[56:57], v[34:35]
	ds_read_b128 v[54:57], v62 offset:3408
	s_waitcnt lgkmcnt(2)
	v_fma_f64 v[34:35], -v[12:13], v[58:59], v[34:35]
	v_fma_f64 v[34:35], -v[14:15], v[60:61], v[34:35]
	;; [unrolled: 4-line block ×6, first 2 shown]
	s_waitcnt lgkmcnt(1)
	v_fma_f64 v[34:35], -v[28:29], v[54:55], v[34:35]
	v_fma_f64 v[34:35], -v[30:31], v[56:57], v[34:35]
	ds_read_b128 v[54:57], v62 offset:3584
	s_waitcnt lgkmcnt(1)
	v_fma_f64 v[34:35], -v[32:33], v[58:59], v[34:35]
	v_mul_f64 v[34:35], v[60:61], v[34:35]
	ds_read_b128 v[58:61], v62 offset:3600
	ds_read_b128 v[64:67], v62 offset:3616
	s_waitcnt lgkmcnt(2)
	v_fma_f64 v[36:37], -v[0:1], v[54:55], v[36:37]
	v_fma_f64 v[36:37], -v[2:3], v[56:57], v[36:37]
	ds_read_b128 v[54:57], v62 offset:3632
	s_waitcnt lgkmcnt(2)
	v_fma_f64 v[36:37], -v[12:13], v[58:59], v[36:37]
	v_fma_f64 v[36:37], -v[14:15], v[60:61], v[36:37]
	;; [unrolled: 4-line block ×6, first 2 shown]
	global_store_dwordx4 v[44:45], v[32:35], off offset:112
	s_waitcnt lgkmcnt(1)
	v_fma_f64 v[36:37], -v[28:29], v[54:55], v[36:37]
	v_add_u32_e32 v54, 0xc00, v62
	v_fma_f64 v[36:37], -v[30:31], v[56:57], v[36:37]
	ds_read2_b64 v[54:57], v54 offset0:80 offset1:138
	ds_read_b128 v[64:67], v62 offset:3808
	s_waitcnt lgkmcnt(2)
	v_fma_f64 v[36:37], -v[32:33], v[58:59], v[36:37]
	v_fma_f64 v[36:37], -v[34:35], v[60:61], v[36:37]
	ds_read_b128 v[58:61], v62 offset:3824
	ds_read_b128 v[68:71], v62 offset:3840
	s_waitcnt lgkmcnt(2)
	v_fma_f64 v[38:39], -v[0:1], v[64:65], v[38:39]
	v_fma_f64 v[38:39], -v[2:3], v[66:67], v[38:39]
	ds_read_b128 v[64:67], v62 offset:3856
	s_waitcnt lgkmcnt(2)
	v_fma_f64 v[38:39], -v[12:13], v[58:59], v[38:39]
	v_fma_f64 v[38:39], -v[14:15], v[60:61], v[38:39]
	;; [unrolled: 4-line block ×3, first 2 shown]
	s_waitcnt lgkmcnt(1)
	v_fma_f64 v[38:39], -v[8:9], v[64:65], v[38:39]
	ds_read_b128 v[68:71], v62 offset:3888
	v_fma_f64 v[38:39], -v[10:11], v[66:67], v[38:39]
	s_waitcnt lgkmcnt(1)
	v_fma_f64 v[38:39], -v[16:17], v[58:59], v[38:39]
	v_fma_f64 v[38:39], -v[18:19], v[60:61], v[38:39]
	ds_read_b128 v[58:61], v62 offset:3904
	ds_read_b128 v[64:67], v62 offset:3920
	s_waitcnt lgkmcnt(2)
	v_fma_f64 v[38:39], -v[24:25], v[68:69], v[38:39]
	v_fma_f64 v[38:39], -v[26:27], v[70:71], v[38:39]
	ds_read_b128 v[68:71], v62 offset:3936
	s_waitcnt lgkmcnt(2)
	v_fma_f64 v[38:39], -v[28:29], v[58:59], v[38:39]
	v_fma_f64 v[38:39], -v[30:31], v[60:61], v[38:39]
	s_waitcnt lgkmcnt(1)
	v_fma_f64 v[38:39], -v[32:33], v[64:65], v[38:39]
	v_mul_f64 v[36:37], v[54:55], v[36:37]
	v_fma_f64 v[38:39], -v[34:35], v[66:67], v[38:39]
	ds_read_b128 v[58:61], v62 offset:4032
	s_waitcnt lgkmcnt(1)
	v_fma_f64 v[38:39], -v[36:37], v[68:69], v[38:39]
	v_mul_f64 v[38:39], v[70:71], v[38:39]
	global_store_dwordx4 v[44:45], v[36:39], off offset:128
	ds_read_b128 v[64:67], v62 offset:4048
	ds_read_b128 v[68:71], v62 offset:4064
	;; [unrolled: 1-line block ×3, first 2 shown]
	s_waitcnt lgkmcnt(3)
	v_fma_f64 v[40:41], -v[0:1], v[58:59], v[40:41]
	v_fma_f64 v[40:41], -v[2:3], v[60:61], v[40:41]
	s_waitcnt lgkmcnt(2)
	v_fma_f64 v[40:41], -v[12:13], v[64:65], v[40:41]
	v_fma_f64 v[40:41], -v[14:15], v[66:67], v[40:41]
	ds_read_b128 v[58:61], v62 offset:4096
	ds_read_b128 v[64:67], v62 offset:4112
	s_waitcnt lgkmcnt(3)
	v_fma_f64 v[40:41], -v[4:5], v[68:69], v[40:41]
	v_fma_f64 v[40:41], -v[6:7], v[70:71], v[40:41]
	s_waitcnt lgkmcnt(2)
	v_fma_f64 v[40:41], -v[8:9], v[72:73], v[40:41]
	v_fma_f64 v[40:41], -v[10:11], v[74:75], v[40:41]
	ds_read_b128 v[68:71], v62 offset:4128
	s_waitcnt lgkmcnt(2)
	v_fma_f64 v[40:41], -v[16:17], v[58:59], v[40:41]
	v_fma_f64 v[40:41], -v[18:19], v[60:61], v[40:41]
	ds_read_b128 v[58:61], v62 offset:4144
	;; [unrolled: 4-line block ×3, first 2 shown]
	s_waitcnt lgkmcnt(2)
	v_fma_f64 v[40:41], -v[28:29], v[68:69], v[40:41]
	v_fma_f64 v[40:41], -v[30:31], v[70:71], v[40:41]
	s_waitcnt lgkmcnt(1)
	v_fma_f64 v[40:41], -v[32:33], v[58:59], v[40:41]
	v_fma_f64 v[40:41], -v[34:35], v[60:61], v[40:41]
	ds_read_b128 v[58:61], v62 offset:4256
	s_waitcnt lgkmcnt(1)
	v_fma_f64 v[40:41], -v[36:37], v[64:65], v[40:41]
	v_fma_f64 v[40:41], -v[38:39], v[66:67], v[40:41]
	ds_read_b128 v[64:67], v62 offset:4272
	v_mul_f64 v[40:41], v[56:57], v[40:41]
	ds_read_b128 v[54:57], v62 offset:4288
	s_waitcnt lgkmcnt(2)
	v_fma_f64 v[42:43], -v[0:1], v[58:59], v[42:43]
	v_fma_f64 v[42:43], -v[2:3], v[60:61], v[42:43]
	ds_read_b128 v[58:61], v62 offset:4304
	s_waitcnt lgkmcnt(2)
	v_fma_f64 v[42:43], -v[12:13], v[64:65], v[42:43]
	v_fma_f64 v[42:43], -v[14:15], v[66:67], v[42:43]
	;; [unrolled: 4-line block ×8, first 2 shown]
	s_waitcnt lgkmcnt(1)
	v_fma_f64 v[42:43], -v[36:37], v[54:55], v[42:43]
	v_fma_f64 v[42:43], -v[38:39], v[56:57], v[42:43]
	ds_read_b128 v[54:57], v62 offset:4480
	s_waitcnt lgkmcnt(1)
	v_fma_f64 v[42:43], -v[40:41], v[58:59], v[42:43]
	v_mul_f64 v[42:43], v[60:61], v[42:43]
	ds_read_b128 v[58:61], v62 offset:4496
	ds_read_b128 v[64:67], v62 offset:4512
	s_waitcnt lgkmcnt(2)
	v_fma_f64 v[52:53], -v[0:1], v[54:55], v[52:53]
	v_fma_f64 v[52:53], -v[2:3], v[56:57], v[52:53]
	global_store_dwordx4 v[44:45], v[40:43], off offset:144
	s_waitcnt lgkmcnt(1)
	v_fma_f64 v[56:57], -v[12:13], v[58:59], v[52:53]
	ds_read_b128 v[52:55], v62 offset:4528
	v_fma_f64 v[56:57], -v[14:15], v[60:61], v[56:57]
	s_waitcnt lgkmcnt(1)
	v_fma_f64 v[60:61], -v[4:5], v[64:65], v[56:57]
	ds_read_b128 v[56:59], v62 offset:4544
	v_fma_f64 v[60:61], -v[6:7], v[66:67], v[60:61]
	;; [unrolled: 4-line block ×3, first 2 shown]
	s_waitcnt lgkmcnt(1)
	v_fma_f64 v[52:53], -v[16:17], v[56:57], v[52:53]
	v_fma_f64 v[56:57], -v[18:19], v[58:59], v[52:53]
	ds_read_b128 v[52:55], v62 offset:4576
	s_waitcnt lgkmcnt(1)
	v_fma_f64 v[60:61], -v[24:25], v[64:65], v[56:57]
	ds_read_b128 v[56:59], v62 offset:4592
	v_fma_f64 v[60:61], -v[26:27], v[66:67], v[60:61]
	ds_read_b128 v[64:67], v62 offset:4608
	s_waitcnt lgkmcnt(2)
	v_fma_f64 v[52:53], -v[28:29], v[52:53], v[60:61]
	v_fma_f64 v[52:53], -v[30:31], v[54:55], v[52:53]
	s_waitcnt lgkmcnt(1)
	v_fma_f64 v[52:53], -v[32:33], v[56:57], v[52:53]
	v_fma_f64 v[52:53], -v[34:35], v[58:59], v[52:53]
	s_waitcnt lgkmcnt(0)
	v_fma_f64 v[56:57], -v[36:37], v[64:65], v[52:53]
	ds_read_b128 v[52:55], v62 offset:4624
	v_fma_f64 v[60:61], -v[38:39], v[66:67], v[56:57]
	v_add_u32_e32 v56, 0x1000, v62
	ds_read2_b64 v[56:59], v56 offset0:68 offset1:126
	ds_read_b128 v[64:67], v62 offset:4704
	ds_read_b128 v[70:73], v62 offset:4736
	s_waitcnt lgkmcnt(3)
	v_fma_f64 v[52:53], -v[40:41], v[52:53], v[60:61]
	v_fma_f64 v[60:61], -v[42:43], v[54:55], v[52:53]
	ds_read_b128 v[52:55], v62 offset:4720
	s_waitcnt lgkmcnt(2)
	v_fma_f64 v[50:51], -v[0:1], v[64:65], v[50:51]
	v_fma_f64 v[50:51], -v[2:3], v[66:67], v[50:51]
	v_mul_f64 v[68:69], v[56:57], v[60:61]
	ds_read_b128 v[64:67], v62 offset:4784
	s_waitcnt lgkmcnt(1)
	v_fma_f64 v[56:57], -v[12:13], v[52:53], v[50:51]
	ds_read_b128 v[50:53], v62 offset:4752
	v_fma_f64 v[54:55], -v[14:15], v[54:55], v[56:57]
	v_fma_f64 v[60:61], -v[4:5], v[70:71], v[54:55]
	ds_read_b128 v[54:57], v62 offset:4768
	v_fma_f64 v[60:61], -v[6:7], v[72:73], v[60:61]
	s_waitcnt lgkmcnt(1)
	v_fma_f64 v[50:51], -v[8:9], v[50:51], v[60:61]
	v_fma_f64 v[50:51], -v[10:11], v[52:53], v[50:51]
	s_mul_i32 s7, s9, 28
	s_waitcnt lgkmcnt(0)
	v_fma_f64 v[54:55], -v[16:17], v[54:55], v[50:51]
	ds_read_b128 v[50:53], v62 offset:4800
	v_fma_f64 v[54:55], -v[18:19], v[56:57], v[54:55]
	v_fma_f64 v[60:61], -v[24:25], v[64:65], v[54:55]
	ds_read_b128 v[54:57], v62 offset:4816
	v_fma_f64 v[60:61], -v[26:27], v[66:67], v[60:61]
	s_waitcnt lgkmcnt(1)
	v_fma_f64 v[50:51], -v[28:29], v[50:51], v[60:61]
	v_fma_f64 v[60:61], -v[30:31], v[52:53], v[50:51]
	ds_read_b128 v[50:53], v62 offset:4832
	ds_read_b128 v[64:67], v62 offset:4848
	s_waitcnt lgkmcnt(2)
	v_fma_f64 v[54:55], -v[32:33], v[54:55], v[60:61]
	v_fma_f64 v[60:61], -v[34:35], v[56:57], v[54:55]
	ds_read_b128 v[54:57], v62 offset:4864
	s_waitcnt lgkmcnt(2)
	v_fma_f64 v[50:51], -v[36:37], v[50:51], v[60:61]
	v_fma_f64 v[50:51], -v[38:39], v[52:53], v[50:51]
	s_waitcnt lgkmcnt(1)
	v_fma_f64 v[50:51], -v[40:41], v[64:65], v[50:51]
	v_fma_f64 v[50:51], -v[42:43], v[66:67], v[50:51]
	s_waitcnt lgkmcnt(0)
	v_fma_f64 v[50:51], -v[68:69], v[54:55], v[50:51]
	v_mul_f64 v[70:71], v[56:57], v[50:51]
	ds_read_b128 v[50:53], v62 offset:4928
	global_store_dwordx4 v[44:45], v[68:71], off offset:160
	ds_read_b128 v[54:57], v62 offset:4944
	ds_read_b128 v[64:67], v62 offset:4960
	;; [unrolled: 1-line block ×3, first 2 shown]
	s_add_i32 s7, s7, s8
	s_lshl_b32 s7, s7, 3
	s_waitcnt lgkmcnt(3)
	v_fma_f64 v[48:49], -v[0:1], v[50:51], v[48:49]
	v_fma_f64 v[48:49], -v[2:3], v[52:53], v[48:49]
	s_waitcnt lgkmcnt(2)
	v_fma_f64 v[48:49], -v[12:13], v[54:55], v[48:49]
	v_fma_f64 v[48:49], -v[14:15], v[56:57], v[48:49]
	s_waitcnt lgkmcnt(1)
	v_fma_f64 v[52:53], -v[4:5], v[64:65], v[48:49]
	ds_read_b128 v[48:51], v62 offset:4992
	v_fma_f64 v[52:53], -v[6:7], v[66:67], v[52:53]
	s_waitcnt lgkmcnt(1)
	v_fma_f64 v[56:57], -v[8:9], v[72:73], v[52:53]
	ds_read_b128 v[52:55], v62 offset:5008
	;; [unrolled: 4-line block ×3, first 2 shown]
	v_fma_f64 v[48:49], -v[18:19], v[50:51], v[48:49]
	s_waitcnt lgkmcnt(1)
	v_fma_f64 v[48:49], -v[24:25], v[52:53], v[48:49]
	v_fma_f64 v[52:53], -v[26:27], v[54:55], v[48:49]
	ds_read_b128 v[48:51], v62 offset:5040
	s_waitcnt lgkmcnt(1)
	v_fma_f64 v[56:57], -v[28:29], v[64:65], v[52:53]
	ds_read_b128 v[52:55], v62 offset:5056
	v_fma_f64 v[56:57], -v[30:31], v[66:67], v[56:57]
	ds_read_b128 v[60:63], v62 offset:5072
	s_waitcnt lgkmcnt(2)
	v_fma_f64 v[48:49], -v[32:33], v[48:49], v[56:57]
	v_fma_f64 v[48:49], -v[34:35], v[50:51], v[48:49]
	s_waitcnt lgkmcnt(1)
	v_fma_f64 v[48:49], -v[36:37], v[52:53], v[48:49]
	v_fma_f64 v[48:49], -v[38:39], v[54:55], v[48:49]
	;; [unrolled: 3-line block ×3, first 2 shown]
	v_fma_f64 v[20:21], -v[68:69], v[20:21], v[48:49]
	v_mov_b32_e32 v62, s7
	v_fma_f64 v[48:49], -v[70:71], v[22:23], v[20:21]
	ds_read_b128 v[20:23], v62
	v_mul_f64 v[48:49], v[58:59], v[48:49]
	ds_read_b128 v[50:53], v62 offset:16
	ds_read_b128 v[54:57], v62 offset:32
	;; [unrolled: 1-line block ×3, first 2 shown]
	s_add_i32 s6, s8, 24
	s_mov_b32 s8, s6
	s_waitcnt lgkmcnt(3)
	v_fma_f64 v[0:1], -v[0:1], v[20:21], v[46:47]
	v_fma_f64 v[0:1], -v[2:3], v[22:23], v[0:1]
	s_waitcnt lgkmcnt(2)
	v_fma_f64 v[0:1], -v[12:13], v[50:51], v[0:1]
	v_fma_f64 v[0:1], -v[14:15], v[52:53], v[0:1]
	s_waitcnt lgkmcnt(1)
	v_fma_f64 v[4:5], -v[4:5], v[54:55], v[0:1]
	ds_read_b128 v[0:3], v62 offset:64
	v_fma_f64 v[4:5], -v[6:7], v[56:57], v[4:5]
	s_waitcnt lgkmcnt(1)
	v_fma_f64 v[8:9], -v[8:9], v[58:59], v[4:5]
	ds_read_b128 v[4:7], v62 offset:80
	;; [unrolled: 4-line block ×5, first 2 shown]
	v_fma_f64 v[8:9], -v[30:31], v[10:11], v[8:9]
	s_waitcnt lgkmcnt(1)
	v_fma_f64 v[0:1], -v[32:33], v[0:1], v[8:9]
	v_fma_f64 v[8:9], -v[34:35], v[2:3], v[0:1]
	ds_read_b128 v[0:3], v62 offset:144
	s_waitcnt lgkmcnt(1)
	v_fma_f64 v[4:5], -v[36:37], v[4:5], v[8:9]
	ds_read_b128 v[8:11], v62 offset:160
	v_fma_f64 v[12:13], -v[38:39], v[6:7], v[4:5]
	ds_read_b128 v[4:7], v62 offset:176
	s_waitcnt lgkmcnt(2)
	v_fma_f64 v[0:1], -v[40:41], v[0:1], v[12:13]
	v_fma_f64 v[0:1], -v[42:43], v[2:3], v[0:1]
	s_waitcnt lgkmcnt(1)
	v_fma_f64 v[0:1], -v[68:69], v[8:9], v[0:1]
	v_fma_f64 v[0:1], -v[70:71], v[10:11], v[0:1]
	s_waitcnt lgkmcnt(0)
	v_fma_f64 v[0:1], -v[48:49], v[4:5], v[0:1]
	v_mul_f64 v[50:51], v[6:7], v[0:1]
	global_store_dwordx4 v[44:45], v[48:51], off offset:176
.LBB98_20:
	s_cmp_ge_i32 s8, s16
	s_cbranch_scc1 .LBB98_31
; %bb.21:
	s_add_i32 s12, s8, -1
	s_add_u32 s6, s10, s4
	s_addc_u32 s7, s11, s5
	s_add_u32 s6, s6, s2
	s_addc_u32 s7, s7, s3
	v_mov_b32_e32 v0, s7
	v_add_co_u32_e32 v8, vcc, s6, v100
	v_addc_co_u32_e32 v9, vcc, v0, v101, vcc
	v_add_co_u32_e32 v0, vcc, 56, v8
	s_mul_i32 s13, s8, 0xe0
	v_addc_co_u32_e32 v1, vcc, 0, v9, vcc
	s_mov_b32 s7, 0
	s_mov_b32 s17, s8
	;; [unrolled: 1-line block ×3, first 2 shown]
	s_branch .LBB98_23
.LBB98_22:                              ;   in Loop: Header=BB98_23 Depth=1
	s_mul_i32 s6, s8, 0xe8
	v_mov_b32_e32 v6, s6
	ds_read_b64 v[6:7], v6
	s_add_i32 s8, s8, 1
	s_add_i32 s15, s15, 1
	s_addk_i32 s13, 0xe0
	v_add_u16_e64 v10, s17, 1
	s_waitcnt lgkmcnt(0)
	v_mul_f64 v[4:5], v[6:7], v[4:5]
	s_cmp_ge_i32 s8, s16
	v_readfirstlane_b32 s17, v10
	global_store_dwordx2 v[2:3], v[4:5], off
	s_cbranch_scc1 .LBB98_31
.LBB98_23:                              ; =>This Loop Header: Depth=1
                                        ;     Child Loop BB98_26 Depth 2
                                        ;     Child Loop BB98_30 Depth 2
	s_ashr_i32 s9, s8, 31
	s_lshl_b64 s[20:21], s[8:9], 3
	v_mov_b32_e32 v3, s21
	v_add_co_u32_e32 v2, vcc, s20, v98
	v_addc_co_u32_e32 v3, vcc, v99, v3, vcc
	global_load_dwordx2 v[4:5], v[2:3], off
	s_cmp_eq_u32 s8, 0
	s_waitcnt vmcnt(0)
	v_mul_f64 v[4:5], v[4:5], s[0:1]
	s_cbranch_scc1 .LBB98_22
; %bb.24:                               ;   in Loop: Header=BB98_23 Depth=1
	s_add_i32 s6, s12, s15
	s_cmp_lt_u32 s6, 7
	s_cbranch_scc1 .LBB98_28
; %bb.25:                               ;   in Loop: Header=BB98_23 Depth=1
	s_and_b32 s6, s8, -8
	s_mov_b32 s9, 0
	v_pk_mov_b32 v[6:7], v[0:1], v[0:1] op_sel:[0,1]
	s_mov_b32 s19, s13
.LBB98_26:                              ;   Parent Loop BB98_23 Depth=1
                                        ; =>  This Inner Loop Header: Depth=2
	global_load_dwordx4 v[10:13], v[6:7], off offset:-56
	global_load_dwordx4 v[14:17], v[6:7], off offset:-40
	;; [unrolled: 1-line block ×4, first 2 shown]
	v_mov_b32_e32 v38, s19
	ds_read_b128 v[26:29], v38
	ds_read_b128 v[30:33], v38 offset:16
	ds_read_b128 v[34:37], v38 offset:32
	;; [unrolled: 1-line block ×3, first 2 shown]
	s_add_i32 s9, s9, 8
	s_add_i32 s19, s19, 64
	v_add_co_u32_e32 v6, vcc, 64, v6
	v_addc_co_u32_e32 v7, vcc, 0, v7, vcc
	s_cmp_lg_u32 s6, s9
	s_waitcnt vmcnt(3) lgkmcnt(3)
	v_fma_f64 v[4:5], -v[10:11], v[26:27], v[4:5]
	v_fma_f64 v[4:5], -v[12:13], v[28:29], v[4:5]
	s_waitcnt vmcnt(2) lgkmcnt(2)
	v_fma_f64 v[4:5], -v[14:15], v[30:31], v[4:5]
	v_fma_f64 v[4:5], -v[16:17], v[32:33], v[4:5]
	;; [unrolled: 3-line block ×4, first 2 shown]
	s_cbranch_scc1 .LBB98_26
; %bb.27:                               ;   in Loop: Header=BB98_23 Depth=1
	s_and_b32 s9, s8, 7
	s_cmp_eq_u32 s9, 0
	s_cbranch_scc0 .LBB98_29
	s_branch .LBB98_22
.LBB98_28:                              ;   in Loop: Header=BB98_23 Depth=1
	s_mov_b32 s6, 0
	s_and_b32 s9, s8, 7
	s_cmp_eq_u32 s9, 0
	s_cbranch_scc1 .LBB98_22
.LBB98_29:                              ;   in Loop: Header=BB98_23 Depth=1
	s_lshl_b64 s[20:21], s[6:7], 3
	v_mov_b32_e32 v7, s21
	v_add_co_u32_e32 v6, vcc, s20, v8
	s_and_b32 s9, s17, 7
	s_lshl_b32 s19, s6, 3
	v_addc_co_u32_e32 v7, vcc, v9, v7, vcc
.LBB98_30:                              ;   Parent Loop BB98_23 Depth=1
                                        ; =>  This Inner Loop Header: Depth=2
	global_load_dwordx2 v[10:11], v[6:7], off
	s_add_i32 s6, s13, s19
	v_mov_b32_e32 v12, s6
	ds_read_b64 v[12:13], v12
	s_add_i32 s19, s19, 8
	v_add_co_u32_e32 v6, vcc, 8, v6
	s_add_i32 s9, s9, -1
	v_addc_co_u32_e32 v7, vcc, 0, v7, vcc
	s_cmp_lg_u32 s9, 0
	s_waitcnt vmcnt(0) lgkmcnt(0)
	v_fma_f64 v[4:5], -v[10:11], v[12:13], v[4:5]
	s_cbranch_scc1 .LBB98_30
	s_branch .LBB98_22
.LBB98_31:
	s_mov_b64 s[6:7], 0
.LBB98_32:
	s_and_b64 vcc, exec, s[6:7]
	s_cbranch_vccz .LBB98_54
; %bb.33:
	s_cmp_gt_i32 s14, 27
	s_mov_b32 s6, s18
	s_cbranch_scc0 .LBB98_35
; %bb.34:
	s_ashr_i32 s19, s18, 31
	s_lshl_b64 s[6:7], s[18:19], 3
	v_mov_b32_e32 v0, s7
	v_add_co_u32_e32 v12, vcc, s6, v98
	v_addc_co_u32_e32 v13, vcc, v99, v0, vcc
	global_load_dwordx2 v[14:15], v[12:13], off
	s_mov_b32 s17, 0
	s_lshl_b64 s[6:7], s[16:17], 3
	v_mov_b32_e32 v0, s7
	v_add_co_u32_e32 v54, vcc, s6, v98
	v_addc_co_u32_e32 v55, vcc, v99, v0, vcc
	global_load_dwordx2 v[52:53], v[54:55], off offset:-16
	global_load_dwordx4 v[4:7], v[54:55], off offset:-32
	global_load_dwordx4 v[8:11], v[54:55], off offset:-48
	global_load_dwordx4 v[56:59], v[54:55], off offset:-64
	global_load_dwordx4 v[16:19], v[54:55], off offset:-80
	global_load_dwordx4 v[24:27], v[54:55], off offset:-96
	global_load_dwordx4 v[28:31], v[54:55], off offset:-112
	global_load_dwordx4 v[36:39], v[54:55], off offset:-128
	global_load_dwordx4 v[40:43], v[54:55], off offset:-144
	global_load_dwordx4 v[48:51], v[54:55], off offset:-160
	global_load_dwordx4 v[44:47], v[54:55], off offset:-176
	global_load_dwordx4 v[32:35], v[54:55], off offset:-192
	global_load_dwordx4 v[20:23], v[54:55], off offset:-208
	global_load_dwordx4 v[0:3], v[54:55], off offset:-224
	s_mul_i32 s9, s18, 0xe8
	s_mul_i32 s8, s18, 28
	s_add_i32 s12, s16, -4
	s_add_i32 s13, s16, -6
	s_add_i32 s6, s16, s8
	s_add_i32 s7, s9, 0xffffff18
	s_ashr_i32 s17, s16, 31
	s_add_i32 s14, s12, s8
	s_sub_i32 s15, s8, 28
	s_sub_i32 s19, s8, 56
	s_add_i32 s20, s9, 0xfffffd48
	s_add_i32 s21, s13, s8
	s_lshl_b32 s22, s6, 3
	v_mov_b32_e32 v64, s7
	s_lshl_b64 s[6:7], s[16:17], 3
	s_lshl_b32 s14, s14, 3
	s_add_i32 s17, s12, s15
	s_add_i32 s12, s12, s19
	;; [unrolled: 1-line block ×4, first 2 shown]
	v_mov_b32_e32 v76, s20
	s_lshl_b32 s20, s21, 3
	s_add_i32 s19, s22, -16
	v_mov_b32_e32 v65, s14
	s_lshl_b32 s14, s17, 3
	s_lshl_b32 s12, s12, 3
	;; [unrolled: 1-line block ×4, first 2 shown]
	v_mov_b32_e32 v77, s20
	v_mov_b32_e32 v54, s19
	;; [unrolled: 1-line block ×5, first 2 shown]
	s_add_i32 s12, s13, 0xffffff20
	v_mov_b32_e32 v84, s13
	ds_read2_b64 v[60:63], v54 offset1:1
	ds_read_b64 v[54:55], v64
	ds_read2_b64 v[64:67], v65 offset1:1
	ds_read2_b64 v[68:71], v68 offset1:1
	;; [unrolled: 1-line block ×3, first 2 shown]
	ds_read_b64 v[92:93], v76
	ds_read2_b64 v[76:79], v77 offset1:1
	ds_read2_b64 v[80:83], v80 offset1:1
	v_mov_b32_e32 v88, s12
	ds_read2_b64 v[84:87], v84 offset1:1
	ds_read2_b64 v[88:91], v88 offset1:1
	s_add_i32 s12, s13, 0xfffffe40
	s_waitcnt vmcnt(14)
	v_mul_f64 v[14:15], v[14:15], s[0:1]
	s_waitcnt lgkmcnt(9)
	v_mul_f64 v[102:103], v[62:63], v[14:15]
	global_store_dwordx2 v[12:13], v[102:103], off
	v_mul_f64 v[12:13], v[102:103], v[60:61]
	s_waitcnt lgkmcnt(7)
	v_mul_f64 v[14:15], v[102:103], v[66:67]
	v_mul_f64 v[60:61], v[102:103], v[64:65]
	s_waitcnt vmcnt(14)
	v_fma_f64 v[12:13], v[52:53], s[0:1], -v[12:13]
	s_waitcnt vmcnt(13)
	v_fma_f64 v[6:7], v[6:7], s[0:1], -v[14:15]
	v_mul_f64 v[104:105], v[54:55], v[12:13]
	v_mov_b32_e32 v12, s12
	s_waitcnt lgkmcnt(3)
	v_mul_f64 v[62:63], v[102:103], v[78:79]
	v_fma_f64 v[4:5], v[4:5], s[0:1], -v[60:61]
	v_fma_f64 v[6:7], -v[104:105], v[70:71], v[6:7]
	ds_read2_b64 v[12:15], v12 offset1:1
	s_waitcnt vmcnt(12)
	v_fma_f64 v[10:11], v[10:11], s[0:1], -v[62:63]
	v_fma_f64 v[4:5], -v[104:105], v[68:69], v[4:5]
	v_mul_f64 v[6:7], v[74:75], v[6:7]
	s_waitcnt lgkmcnt(3)
	v_fma_f64 v[10:11], -v[104:105], v[82:83], v[10:11]
	v_fma_f64 v[4:5], -v[6:7], v[72:73], v[4:5]
	v_mul_f64 v[4:5], v[92:93], v[4:5]
	s_waitcnt lgkmcnt(2)
	v_fma_f64 v[10:11], -v[6:7], v[86:87], v[10:11]
	s_add_i32 s12, s9, 0xfffffb78
	s_waitcnt lgkmcnt(1)
	v_fma_f64 v[10:11], -v[4:5], v[90:91], v[10:11]
	v_mov_b32_e32 v52, s12
	ds_read_b64 v[52:53], v52
	s_waitcnt lgkmcnt(1)
	v_mul_f64 v[10:11], v[14:15], v[10:11]
	v_mul_f64 v[14:15], v[102:103], v[76:77]
	v_fma_f64 v[8:9], v[8:9], s[0:1], -v[14:15]
	v_fma_f64 v[8:9], -v[104:105], v[80:81], v[8:9]
	s_add_i32 s12, s8, 0xffffff74
	v_fma_f64 v[8:9], -v[6:7], v[84:85], v[8:9]
	s_add_i32 s13, s16, s12
	v_fma_f64 v[8:9], -v[4:5], v[88:89], v[8:9]
	s_lshl_b32 s13, s13, 3
	v_fma_f64 v[8:9], -v[10:11], v[12:13], v[8:9]
	v_mov_b32_e32 v72, s13
	s_waitcnt lgkmcnt(0)
	v_mul_f64 v[8:9], v[52:53], v[8:9]
	ds_read2_b64 v[12:15], v72 offset0:132 offset1:133
	ds_read2_b64 v[52:55], v72 offset0:104 offset1:105
	s_sub_i32 s13, s13, 64
	v_mov_b32_e32 v60, s13
	ds_read2_b64 v[60:63], v60 offset1:1
	ds_read2_b64 v[64:67], v72 offset0:76 offset1:77
	s_waitcnt lgkmcnt(3)
	v_mul_f64 v[14:15], v[102:103], v[14:15]
	s_waitcnt vmcnt(11)
	v_fma_f64 v[14:15], v[58:59], s[0:1], -v[14:15]
	s_addk_i32 s9, 0xfa90
	s_waitcnt lgkmcnt(2)
	v_fma_f64 v[14:15], -v[104:105], v[54:55], v[14:15]
	v_mov_b32_e32 v54, s9
	s_add_i32 s9, s16, -9
	ds_read2_b64 v[68:71], v72 offset0:48 offset1:49
	ds_read2_b64 v[72:75], v72 offset0:20 offset1:21
	s_add_i32 s13, s12, s9
	v_mul_f64 v[12:13], v[102:103], v[12:13]
	s_lshl_b32 s13, s13, 3
	ds_read_b64 v[54:55], v54
	v_fma_f64 v[12:13], v[56:57], s[0:1], -v[12:13]
	s_addk_i32 s13, 0xff20
	s_waitcnt lgkmcnt(3)
	v_fma_f64 v[14:15], -v[6:7], v[66:67], v[14:15]
	v_fma_f64 v[12:13], -v[104:105], v[52:53], v[12:13]
	v_mov_b32_e32 v52, s13
	s_add_i32 s13, s8, 0xffffff3c
	s_waitcnt lgkmcnt(2)
	v_fma_f64 v[14:15], -v[4:5], v[70:71], v[14:15]
	s_add_i32 s9, s9, s13
	s_waitcnt lgkmcnt(1)
	v_fma_f64 v[14:15], -v[10:11], v[74:75], v[14:15]
	s_lshl_b32 s9, s9, 3
	v_fma_f64 v[14:15], -v[8:9], v[62:63], v[14:15]
	v_mov_b32_e32 v56, s9
	s_waitcnt lgkmcnt(0)
	v_mul_f64 v[14:15], v[54:55], v[14:15]
	v_fma_f64 v[12:13], -v[6:7], v[64:65], v[12:13]
	ds_read2_b64 v[52:55], v52 offset1:1
	ds_read2_b64 v[56:59], v56 offset1:1
	v_fma_f64 v[12:13], -v[4:5], v[68:69], v[12:13]
	s_add_i32 s9, s16, -10
	v_fma_f64 v[12:13], -v[10:11], v[72:73], v[12:13]
	s_add_i32 s13, s13, s9
	v_fma_f64 v[12:13], -v[8:9], v[60:61], v[12:13]
	s_lshl_b32 s13, s13, 3
	s_waitcnt lgkmcnt(1)
	v_fma_f64 v[12:13], -v[14:15], v[54:55], v[12:13]
	v_mov_b32_e32 v78, s13
	s_waitcnt lgkmcnt(0)
	v_mul_f64 v[12:13], v[58:59], v[12:13]
	ds_read2_b64 v[58:61], v78 offset0:196 offset1:197
	s_add_i32 s9, s9, s12
	s_lshl_b32 s9, s9, 3
	v_mov_b32_e32 v54, s9
	ds_read2_b64 v[62:65], v54 offset1:1
	s_waitcnt lgkmcnt(1)
	v_mul_f64 v[54:55], v[102:103], v[60:61]
	ds_read2_b64 v[66:69], v78 offset0:168 offset1:169
	ds_read2_b64 v[70:73], v78 offset0:140 offset1:141
	;; [unrolled: 1-line block ×4, first 2 shown]
	s_waitcnt vmcnt(10)
	v_fma_f64 v[18:19], v[18:19], s[0:1], -v[54:55]
	s_waitcnt lgkmcnt(3)
	v_fma_f64 v[18:19], -v[104:105], v[68:69], v[18:19]
	s_waitcnt lgkmcnt(2)
	v_fma_f64 v[18:19], -v[6:7], v[72:73], v[18:19]
	;; [unrolled: 2-line block ×4, first 2 shown]
	s_mul_i32 s9, s16, 0xe8
	v_fma_f64 v[18:19], -v[8:9], v[64:65], v[18:19]
	s_add_i32 s13, s9, 0xfffff7d8
	v_fma_f64 v[18:19], -v[14:15], v[52:53], v[18:19]
	v_mov_b32_e32 v52, s13
	v_fma_f64 v[18:19], -v[12:13], v[56:57], v[18:19]
	ds_read_b64 v[56:57], v52
	s_add_i32 s13, s16, -11
	s_add_i32 s14, s12, s13
	s_lshl_b32 s14, s14, 3
	s_add_i32 s15, s14, 0xffffff20
	s_waitcnt lgkmcnt(0)
	v_mul_f64 v[18:19], v[56:57], v[18:19]
	v_mul_f64 v[56:57], v[102:103], v[58:59]
	v_mov_b32_e32 v52, s15
	v_fma_f64 v[16:17], v[16:17], s[0:1], -v[56:57]
	ds_read2_b64 v[52:55], v52 offset1:1
	v_fma_f64 v[16:17], -v[104:105], v[66:67], v[16:17]
	v_fma_f64 v[16:17], -v[6:7], v[70:71], v[16:17]
	s_add_i32 s15, s14, 0xfffffe40
	s_addk_i32 s14, 0xfd60
	v_fma_f64 v[16:17], -v[4:5], v[74:75], v[16:17]
	v_mov_b32_e32 v60, s14
	s_add_i32 s14, s8, 0xffffff04
	v_mov_b32_e32 v56, s15
	v_fma_f64 v[16:17], -v[10:11], v[78:79], v[16:17]
	s_add_i32 s13, s13, s14
	ds_read2_b64 v[56:59], v56 offset1:1
	ds_read2_b64 v[64:67], v60 offset1:1
	v_fma_f64 v[16:17], -v[8:9], v[62:63], v[16:17]
	s_lshl_b32 s13, s13, 3
	s_waitcnt lgkmcnt(2)
	v_fma_f64 v[16:17], -v[14:15], v[54:55], v[16:17]
	v_mov_b32_e32 v54, s13
	s_add_i32 s13, s16, -12
	s_add_i32 s14, s14, s13
	s_lshl_b32 s14, s14, 3
	s_waitcnt lgkmcnt(1)
	v_fma_f64 v[16:17], -v[12:13], v[58:59], v[16:17]
	ds_read2_b64 v[58:61], v54 offset1:1
	v_mov_b32_e32 v54, s14
	s_waitcnt lgkmcnt(1)
	v_fma_f64 v[16:17], -v[18:19], v[66:67], v[16:17]
	ds_read2_b64 v[66:69], v54 offset0:140 offset1:141
	ds_read2_b64 v[70:73], v54 offset0:252 offset1:253
	s_add_i32 s13, s13, s12
	s_waitcnt lgkmcnt(2)
	v_mul_f64 v[16:17], v[60:61], v[16:17]
	ds_read2_b64 v[60:63], v54 offset0:224 offset1:225
	ds_read2_b64 v[74:77], v54 offset0:196 offset1:197
	;; [unrolled: 1-line block ×3, first 2 shown]
	s_lshl_b32 s13, s13, 3
	s_waitcnt lgkmcnt(3)
	v_mul_f64 v[54:55], v[102:103], v[72:73]
	s_waitcnt vmcnt(9)
	v_fma_f64 v[26:27], v[26:27], s[0:1], -v[54:55]
	s_waitcnt lgkmcnt(2)
	v_fma_f64 v[26:27], -v[104:105], v[62:63], v[26:27]
	s_waitcnt lgkmcnt(1)
	v_fma_f64 v[26:27], -v[6:7], v[76:77], v[26:27]
	v_mov_b32_e32 v54, s13
	s_waitcnt lgkmcnt(0)
	v_fma_f64 v[26:27], -v[4:5], v[80:81], v[26:27]
	ds_read2_b64 v[80:83], v54 offset1:1
	s_add_i32 s13, s9, 0xfffff608
	v_fma_f64 v[26:27], -v[10:11], v[68:69], v[26:27]
	v_mov_b32_e32 v54, s13
	s_add_i32 s13, s16, -13
	ds_read_b64 v[54:55], v54
	s_waitcnt lgkmcnt(1)
	v_fma_f64 v[26:27], -v[8:9], v[82:83], v[26:27]
	s_add_i32 s14, s12, s13
	v_fma_f64 v[26:27], -v[14:15], v[52:53], v[26:27]
	s_lshl_b32 s14, s14, 3
	v_fma_f64 v[26:27], -v[12:13], v[56:57], v[26:27]
	v_mul_f64 v[52:53], v[102:103], v[70:71]
	s_add_i32 s15, s14, 0xffffff20
	v_fma_f64 v[26:27], -v[18:19], v[64:65], v[26:27]
	v_fma_f64 v[24:25], v[24:25], s[0:1], -v[52:53]
	v_mov_b32_e32 v52, s15
	s_add_i32 s15, s14, 0xfffffe40
	v_fma_f64 v[26:27], -v[16:17], v[58:59], v[26:27]
	v_fma_f64 v[24:25], -v[104:105], v[60:61], v[24:25]
	v_mov_b32_e32 v56, s15
	s_add_i32 s15, s14, 0xfffffd60
	s_waitcnt lgkmcnt(0)
	v_mul_f64 v[26:27], v[54:55], v[26:27]
	v_fma_f64 v[24:25], -v[6:7], v[74:75], v[24:25]
	ds_read2_b64 v[52:55], v52 offset1:1
	ds_read2_b64 v[56:59], v56 offset1:1
	v_mov_b32_e32 v60, s15
	s_add_i32 s15, s14, 0xfffffc80
	v_fma_f64 v[24:25], -v[4:5], v[78:79], v[24:25]
	v_mov_b32_e32 v64, s15
	v_fma_f64 v[24:25], -v[10:11], v[66:67], v[24:25]
	ds_read2_b64 v[60:63], v60 offset1:1
	ds_read2_b64 v[64:67], v64 offset1:1
	v_fma_f64 v[24:25], -v[8:9], v[80:81], v[24:25]
	s_addk_i32 s14, 0xfba0
	s_waitcnt lgkmcnt(3)
	v_fma_f64 v[24:25], -v[14:15], v[54:55], v[24:25]
	v_mov_b32_e32 v54, s14
	s_add_i32 s14, s8, 0xfffffecc
	s_waitcnt lgkmcnt(2)
	v_fma_f64 v[24:25], -v[12:13], v[58:59], v[24:25]
	s_add_i32 s13, s13, s14
	s_waitcnt lgkmcnt(1)
	v_fma_f64 v[24:25], -v[18:19], v[62:63], v[24:25]
	s_lshl_b32 s13, s13, 3
	s_waitcnt lgkmcnt(0)
	v_fma_f64 v[24:25], -v[16:17], v[66:67], v[24:25]
	ds_read2_b64 v[66:69], v54 offset1:1
	v_mov_b32_e32 v54, s13
	s_add_i32 s13, s16, -14
	s_add_i32 s14, s14, s13
	s_lshl_b32 s14, s14, 3
	s_add_i32 s15, s14, 0x9a0
	ds_read2_b64 v[70:73], v54 offset1:1
	v_mov_b32_e32 v54, s15
	ds_read2_b64 v[74:77], v54 offset1:1
	s_add_i32 s15, s14, 0x8c0
	v_mov_b32_e32 v54, s15
	ds_read2_b64 v[78:81], v54 offset1:1
	s_add_i32 s13, s13, s12
	s_waitcnt lgkmcnt(1)
	v_mul_f64 v[54:55], v[102:103], v[76:77]
	s_waitcnt vmcnt(8)
	v_fma_f64 v[30:31], v[30:31], s[0:1], -v[54:55]
	v_mov_b32_e32 v54, s14
	ds_read2_b64 v[82:85], v54 offset0:224 offset1:225
	ds_read2_b64 v[86:89], v54 offset0:196 offset1:197
	;; [unrolled: 1-line block ×3, first 2 shown]
	s_lshl_b32 s13, s13, 3
	v_mov_b32_e32 v54, s13
	ds_read2_b64 v[94:97], v54 offset1:1
	s_waitcnt lgkmcnt(4)
	v_fma_f64 v[30:31], -v[104:105], v[80:81], v[30:31]
	s_waitcnt lgkmcnt(1)
	v_fma_f64 v[30:31], -v[6:7], v[92:93], v[30:31]
	v_fma_f64 v[30:31], -v[4:5], v[84:85], v[30:31]
	;; [unrolled: 1-line block ×3, first 2 shown]
	s_waitcnt lgkmcnt(0)
	v_fma_f64 v[30:31], -v[8:9], v[96:97], v[30:31]
	s_add_i32 s13, s9, 0xfffff438
	v_fma_f64 v[30:31], -v[14:15], v[52:53], v[30:31]
	v_mov_b32_e32 v52, s13
	v_fma_f64 v[30:31], -v[12:13], v[56:57], v[30:31]
	ds_read_b64 v[56:57], v52
	v_fma_f64 v[30:31], -v[18:19], v[60:61], v[30:31]
	v_fma_f64 v[24:25], -v[26:27], v[68:69], v[24:25]
	;; [unrolled: 1-line block ×3, first 2 shown]
	s_add_i32 s13, s16, -15
	v_mul_f64 v[24:25], v[72:73], v[24:25]
	v_fma_f64 v[30:31], -v[26:27], v[66:67], v[30:31]
	s_add_i32 s14, s12, s13
	v_fma_f64 v[30:31], -v[24:25], v[70:71], v[30:31]
	s_lshl_b32 s14, s14, 3
	s_add_i32 s15, s14, 0xffffff20
	s_waitcnt lgkmcnt(0)
	v_mul_f64 v[30:31], v[56:57], v[30:31]
	v_mul_f64 v[56:57], v[102:103], v[74:75]
	v_mov_b32_e32 v52, s15
	v_fma_f64 v[28:29], v[28:29], s[0:1], -v[56:57]
	ds_read2_b64 v[52:55], v52 offset1:1
	v_fma_f64 v[28:29], -v[104:105], v[78:79], v[28:29]
	v_fma_f64 v[28:29], -v[6:7], v[90:91], v[28:29]
	;; [unrolled: 1-line block ×4, first 2 shown]
	s_add_i32 s15, s14, 0xfffffe40
	v_fma_f64 v[28:29], -v[8:9], v[94:95], v[28:29]
	v_mov_b32_e32 v56, s15
	ds_read2_b64 v[56:59], v56 offset1:1
	s_add_i32 s15, s14, 0xfffffd60
	s_waitcnt lgkmcnt(1)
	v_fma_f64 v[28:29], -v[14:15], v[54:55], v[28:29]
	v_mov_b32_e32 v54, s15
	s_add_i32 s15, s14, 0xfffffc80
	ds_read2_b64 v[60:63], v54 offset1:1
	v_mov_b32_e32 v54, s15
	s_add_i32 s15, s14, 0xfffffba0
	ds_read2_b64 v[64:67], v54 offset1:1
	v_mov_b32_e32 v54, s15
	s_add_i32 s15, s14, 0xfffffac0
	s_addk_i32 s14, 0xf9e0
	v_mov_b32_e32 v55, s14
	s_add_i32 s14, s8, 0xfffffe94
	s_add_i32 s13, s13, s14
	ds_read2_b64 v[68:71], v54 offset1:1
	v_mov_b32_e32 v54, s15
	s_lshl_b32 s13, s13, 3
	ds_read2_b64 v[72:75], v54 offset1:1
	ds_read2_b64 v[76:79], v55 offset1:1
	v_mov_b32_e32 v54, s13
	s_add_i32 s13, s16, -16
	s_add_i32 s14, s14, s13
	s_lshl_b32 s14, s14, 3
	s_add_i32 s15, s14, 0xb60
	v_mov_b32_e32 v55, s15
	ds_read2_b64 v[80:83], v54 offset1:1
	ds_read2_b64 v[84:87], v55 offset1:1
	s_add_i32 s15, s14, 0xa80
	s_add_i32 s13, s13, s12
	s_lshl_b32 s13, s13, 3
	s_waitcnt lgkmcnt(7)
	v_fma_f64 v[28:29], -v[12:13], v[58:59], v[28:29]
	s_waitcnt lgkmcnt(0)
	v_mul_f64 v[54:55], v[102:103], v[86:87]
	s_waitcnt vmcnt(7)
	v_fma_f64 v[38:39], v[38:39], s[0:1], -v[54:55]
	v_mov_b32_e32 v54, s15
	s_add_i32 s15, s14, 0x9a0
	v_mov_b32_e32 v55, s15
	s_add_i32 s15, s14, 0x8c0
	ds_read2_b64 v[86:89], v54 offset1:1
	ds_read2_b64 v[90:93], v55 offset1:1
	v_mov_b32_e32 v54, s15
	ds_read2_b64 v[94:97], v54 offset1:1
	v_mov_b32_e32 v54, s14
	ds_read2_b64 v[106:109], v54 offset0:252 offset1:253
	v_mov_b32_e32 v54, s13
	ds_read2_b64 v[110:113], v54 offset1:1
	s_waitcnt lgkmcnt(4)
	v_fma_f64 v[38:39], -v[104:105], v[88:89], v[38:39]
	s_waitcnt lgkmcnt(3)
	v_fma_f64 v[38:39], -v[6:7], v[92:93], v[38:39]
	;; [unrolled: 2-line block ×5, first 2 shown]
	v_fma_f64 v[38:39], -v[14:15], v[52:53], v[38:39]
	v_fma_f64 v[28:29], -v[18:19], v[62:63], v[28:29]
	s_add_i32 s13, s9, 0xfffff268
	v_fma_f64 v[38:39], -v[12:13], v[56:57], v[38:39]
	v_fma_f64 v[28:29], -v[16:17], v[66:67], v[28:29]
	v_mov_b32_e32 v54, s13
	v_fma_f64 v[38:39], -v[18:19], v[60:61], v[38:39]
	v_fma_f64 v[28:29], -v[26:27], v[70:71], v[28:29]
	ds_read_b64 v[54:55], v54
	v_fma_f64 v[38:39], -v[16:17], v[64:65], v[38:39]
	s_sub_i32 s13, s16, 17
	v_fma_f64 v[28:29], -v[24:25], v[74:75], v[28:29]
	v_fma_f64 v[38:39], -v[26:27], v[68:69], v[38:39]
	s_add_i32 s14, s12, s13
	v_fma_f64 v[28:29], -v[30:31], v[78:79], v[28:29]
	v_fma_f64 v[38:39], -v[24:25], v[72:73], v[38:39]
	s_lshl_b32 s14, s14, 3
	v_mul_f64 v[28:29], v[82:83], v[28:29]
	v_fma_f64 v[38:39], -v[30:31], v[76:77], v[38:39]
	v_mul_f64 v[52:53], v[102:103], v[84:85]
	s_add_i32 s15, s14, 0xffffff20
	v_fma_f64 v[38:39], -v[28:29], v[80:81], v[38:39]
	v_fma_f64 v[36:37], v[36:37], s[0:1], -v[52:53]
	v_mov_b32_e32 v52, s15
	s_waitcnt lgkmcnt(0)
	v_mul_f64 v[38:39], v[54:55], v[38:39]
	v_fma_f64 v[36:37], -v[104:105], v[86:87], v[36:37]
	ds_read2_b64 v[52:55], v52 offset1:1
	v_fma_f64 v[36:37], -v[6:7], v[90:91], v[36:37]
	v_fma_f64 v[36:37], -v[4:5], v[94:95], v[36:37]
	;; [unrolled: 1-line block ×3, first 2 shown]
	s_add_i32 s15, s14, 0xfffffe40
	v_fma_f64 v[36:37], -v[8:9], v[110:111], v[36:37]
	v_mov_b32_e32 v56, s15
	ds_read2_b64 v[56:59], v56 offset1:1
	s_add_i32 s15, s14, 0xfffffd60
	s_waitcnt lgkmcnt(1)
	v_fma_f64 v[36:37], -v[14:15], v[54:55], v[36:37]
	v_mov_b32_e32 v54, s15
	s_add_i32 s15, s14, 0xfffffc80
	ds_read2_b64 v[60:63], v54 offset1:1
	v_mov_b32_e32 v54, s15
	ds_read2_b64 v[64:67], v54 offset1:1
	s_add_i32 s15, s14, 0xfffffba0
	v_mov_b32_e32 v54, s15
	s_add_i32 s15, s14, 0xfffffac0
	v_mov_b32_e32 v55, s15
	ds_read2_b64 v[68:71], v54 offset1:1
	ds_read2_b64 v[72:75], v55 offset1:1
	s_add_i32 s15, s14, 0xfffff9e0
	s_waitcnt lgkmcnt(4)
	v_fma_f64 v[36:37], -v[12:13], v[58:59], v[36:37]
	v_mov_b32_e32 v54, s15
	s_add_i32 s15, s14, 0xfffff900
	s_waitcnt lgkmcnt(3)
	v_fma_f64 v[36:37], -v[18:19], v[62:63], v[36:37]
	v_mov_b32_e32 v55, s15
	ds_read2_b64 v[76:79], v54 offset1:1
	ds_read2_b64 v[80:83], v55 offset1:1
	s_waitcnt lgkmcnt(4)
	v_fma_f64 v[36:37], -v[16:17], v[66:67], v[36:37]
	s_addk_i32 s14, 0xf820
	s_waitcnt lgkmcnt(3)
	v_fma_f64 v[36:37], -v[26:27], v[70:71], v[36:37]
	v_mov_b32_e32 v54, s14
	s_add_i32 s14, s8, 0xfffffe5c
	s_waitcnt lgkmcnt(2)
	v_fma_f64 v[36:37], -v[24:25], v[74:75], v[36:37]
	s_add_i32 s13, s13, s14
	s_waitcnt lgkmcnt(1)
	v_fma_f64 v[36:37], -v[30:31], v[78:79], v[36:37]
	s_lshl_b32 s13, s13, 3
	s_waitcnt lgkmcnt(0)
	v_fma_f64 v[36:37], -v[28:29], v[82:83], v[36:37]
	ds_read2_b64 v[82:85], v54 offset1:1
	v_mov_b32_e32 v54, s13
	s_sub_i32 s13, s16, 18
	s_add_i32 s14, s14, s13
	s_lshl_b32 s14, s14, 3
	s_add_i32 s15, s14, 0xd20
	ds_read2_b64 v[86:89], v54 offset1:1
	v_mov_b32_e32 v54, s15
	ds_read2_b64 v[90:93], v54 offset1:1
	s_add_i32 s15, s14, 0xc40
	v_mov_b32_e32 v54, s15
	ds_read2_b64 v[94:97], v54 offset1:1
	s_add_i32 s15, s14, 0xb60
	s_waitcnt lgkmcnt(1)
	v_mul_f64 v[54:55], v[102:103], v[92:93]
	s_waitcnt vmcnt(6)
	v_fma_f64 v[42:43], v[42:43], s[0:1], -v[54:55]
	v_mov_b32_e32 v54, s15
	s_add_i32 s15, s14, 0xa80
	v_mov_b32_e32 v55, s15
	ds_read2_b64 v[106:109], v54 offset1:1
	ds_read2_b64 v[110:113], v55 offset1:1
	s_addk_i32 s14, 0x9a0
	s_add_i32 s13, s13, s12
	v_mov_b32_e32 v54, s14
	s_lshl_b32 s13, s13, 3
	v_mov_b32_e32 v55, s13
	ds_read2_b64 v[114:117], v54 offset1:1
	ds_read2_b64 v[118:121], v55 offset1:1
	s_waitcnt lgkmcnt(4)
	v_fma_f64 v[42:43], -v[104:105], v[96:97], v[42:43]
	s_waitcnt lgkmcnt(3)
	v_fma_f64 v[42:43], -v[6:7], v[108:109], v[42:43]
	;; [unrolled: 2-line block ×5, first 2 shown]
	v_fma_f64 v[42:43], -v[14:15], v[52:53], v[42:43]
	v_fma_f64 v[42:43], -v[12:13], v[56:57], v[42:43]
	;; [unrolled: 1-line block ×4, first 2 shown]
	s_add_i32 s13, s9, 0xfffff098
	v_fma_f64 v[42:43], -v[26:27], v[68:69], v[42:43]
	v_mov_b32_e32 v52, s13
	v_fma_f64 v[42:43], -v[24:25], v[72:73], v[42:43]
	ds_read_b64 v[56:57], v52
	v_fma_f64 v[42:43], -v[30:31], v[76:77], v[42:43]
	v_fma_f64 v[36:37], -v[38:39], v[84:85], v[36:37]
	;; [unrolled: 1-line block ×3, first 2 shown]
	s_sub_i32 s13, s16, 19
	v_mul_f64 v[36:37], v[88:89], v[36:37]
	v_fma_f64 v[42:43], -v[38:39], v[82:83], v[42:43]
	s_add_i32 s14, s12, s13
	v_fma_f64 v[42:43], -v[36:37], v[86:87], v[42:43]
	s_lshl_b32 s14, s14, 3
	s_add_i32 s15, s14, 0xffffff20
	s_waitcnt lgkmcnt(0)
	v_mul_f64 v[42:43], v[56:57], v[42:43]
	v_mul_f64 v[56:57], v[102:103], v[90:91]
	v_mov_b32_e32 v52, s15
	v_fma_f64 v[40:41], v[40:41], s[0:1], -v[56:57]
	ds_read2_b64 v[52:55], v52 offset1:1
	v_fma_f64 v[40:41], -v[104:105], v[94:95], v[40:41]
	v_fma_f64 v[40:41], -v[6:7], v[106:107], v[40:41]
	;; [unrolled: 1-line block ×4, first 2 shown]
	s_add_i32 s15, s14, 0xfffffe40
	v_fma_f64 v[40:41], -v[8:9], v[118:119], v[40:41]
	v_mov_b32_e32 v56, s15
	ds_read2_b64 v[56:59], v56 offset1:1
	s_add_i32 s15, s14, 0xfffffd60
	s_waitcnt lgkmcnt(1)
	v_fma_f64 v[40:41], -v[14:15], v[54:55], v[40:41]
	v_mov_b32_e32 v54, s15
	s_add_i32 s15, s14, 0xfffffc80
	ds_read2_b64 v[60:63], v54 offset1:1
	v_mov_b32_e32 v54, s15
	s_add_i32 s15, s14, 0xfffffba0
	ds_read2_b64 v[64:67], v54 offset1:1
	;; [unrolled: 3-line block ×6, first 2 shown]
	v_mov_b32_e32 v54, s15
	s_add_i32 s15, s14, 0xfffff740
	s_addk_i32 s14, 0xf660
	v_mov_b32_e32 v55, s14
	s_add_i32 s14, s8, 0xfffffe24
	s_add_i32 s13, s13, s14
	ds_read2_b64 v[84:87], v54 offset1:1
	v_mov_b32_e32 v54, s15
	s_lshl_b32 s13, s13, 3
	ds_read2_b64 v[88:91], v54 offset1:1
	ds_read2_b64 v[92:95], v55 offset1:1
	v_mov_b32_e32 v54, s13
	s_sub_i32 s13, s16, 20
	s_waitcnt lgkmcnt(9)
	v_fma_f64 v[40:41], -v[12:13], v[58:59], v[40:41]
	s_add_i32 s14, s14, s13
	s_waitcnt lgkmcnt(8)
	v_fma_f64 v[40:41], -v[18:19], v[62:63], v[40:41]
	s_lshl_b32 s14, s14, 3
	s_waitcnt lgkmcnt(7)
	v_fma_f64 v[40:41], -v[16:17], v[66:67], v[40:41]
	s_add_i32 s15, s14, 0xee0
	s_waitcnt lgkmcnt(6)
	v_fma_f64 v[40:41], -v[26:27], v[70:71], v[40:41]
	v_mov_b32_e32 v55, s15
	ds_read2_b64 v[106:109], v54 offset1:1
	ds_read2_b64 v[110:113], v55 offset1:1
	s_waitcnt lgkmcnt(7)
	v_fma_f64 v[40:41], -v[24:25], v[74:75], v[40:41]
	s_waitcnt lgkmcnt(6)
	v_fma_f64 v[40:41], -v[30:31], v[78:79], v[40:41]
	;; [unrolled: 2-line block ×4, first 2 shown]
	s_add_i32 s15, s14, 0xe00
	s_waitcnt lgkmcnt(3)
	v_fma_f64 v[40:41], -v[36:37], v[90:91], v[40:41]
	s_waitcnt lgkmcnt(0)
	v_mul_f64 v[54:55], v[102:103], v[112:113]
	v_mov_b32_e32 v58, s15
	s_add_i32 s15, s14, 0xd20
	v_fma_f64 v[40:41], -v[42:43], v[94:95], v[40:41]
	ds_read2_b64 v[94:97], v58 offset1:1
	s_waitcnt vmcnt(5)
	v_fma_f64 v[50:51], v[50:51], s[0:1], -v[54:55]
	v_mov_b32_e32 v54, s15
	ds_read2_b64 v[112:115], v54 offset1:1
	s_add_i32 s15, s14, 0xc40
	v_mov_b32_e32 v54, s15
	s_addk_i32 s14, 0xb60
	s_add_i32 s13, s13, s12
	ds_read2_b64 v[116:119], v54 offset1:1
	v_mov_b32_e32 v54, s14
	s_lshl_b32 s13, s13, 3
	ds_read2_b64 v[120:123], v54 offset1:1
	v_mov_b32_e32 v54, s13
	ds_read2_b64 v[124:127], v54 offset1:1
	s_waitcnt lgkmcnt(4)
	v_fma_f64 v[50:51], -v[104:105], v[96:97], v[50:51]
	s_waitcnt lgkmcnt(3)
	v_fma_f64 v[50:51], -v[6:7], v[114:115], v[50:51]
	;; [unrolled: 2-line block ×5, first 2 shown]
	v_fma_f64 v[50:51], -v[14:15], v[52:53], v[50:51]
	v_fma_f64 v[50:51], -v[12:13], v[56:57], v[50:51]
	;; [unrolled: 1-line block ×5, first 2 shown]
	s_add_i32 s13, s9, 0xffffeec8
	v_fma_f64 v[50:51], -v[24:25], v[72:73], v[50:51]
	v_mov_b32_e32 v54, s13
	v_fma_f64 v[50:51], -v[30:31], v[76:77], v[50:51]
	ds_read_b64 v[54:55], v54
	v_fma_f64 v[50:51], -v[28:29], v[80:81], v[50:51]
	s_sub_i32 s13, s16, 21
	v_fma_f64 v[50:51], -v[38:39], v[84:85], v[50:51]
	s_add_i32 s14, s12, s13
	v_fma_f64 v[50:51], -v[36:37], v[88:89], v[50:51]
	s_lshl_b32 s14, s14, 3
	v_mul_f64 v[40:41], v[108:109], v[40:41]
	v_fma_f64 v[50:51], -v[42:43], v[92:93], v[50:51]
	v_mul_f64 v[52:53], v[102:103], v[110:111]
	s_add_i32 s15, s14, 0xffffff20
	v_fma_f64 v[50:51], -v[40:41], v[106:107], v[50:51]
	v_fma_f64 v[48:49], v[48:49], s[0:1], -v[52:53]
	v_mov_b32_e32 v52, s15
	s_waitcnt lgkmcnt(0)
	v_mul_f64 v[50:51], v[54:55], v[50:51]
	v_fma_f64 v[48:49], -v[104:105], v[94:95], v[48:49]
	ds_read2_b64 v[52:55], v52 offset1:1
	v_fma_f64 v[48:49], -v[6:7], v[112:113], v[48:49]
	v_fma_f64 v[48:49], -v[4:5], v[116:117], v[48:49]
	;; [unrolled: 1-line block ×3, first 2 shown]
	s_add_i32 s15, s14, 0xfffffe40
	v_fma_f64 v[48:49], -v[8:9], v[124:125], v[48:49]
	v_mov_b32_e32 v56, s15
	ds_read2_b64 v[56:59], v56 offset1:1
	s_add_i32 s15, s14, 0xfffffd60
	s_waitcnt lgkmcnt(1)
	v_fma_f64 v[48:49], -v[14:15], v[54:55], v[48:49]
	v_mov_b32_e32 v54, s15
	s_add_i32 s15, s14, 0xfffffc80
	ds_read2_b64 v[60:63], v54 offset1:1
	v_mov_b32_e32 v54, s15
	s_add_i32 s15, s14, 0xfffffba0
	ds_read2_b64 v[64:67], v54 offset1:1
	;; [unrolled: 3-line block ×4, first 2 shown]
	v_mov_b32_e32 v54, s15
	s_add_i32 s15, s14, 0xfffff900
	s_waitcnt lgkmcnt(4)
	v_fma_f64 v[48:49], -v[12:13], v[58:59], v[48:49]
	ds_read2_b64 v[76:79], v54 offset1:1
	v_mov_b32_e32 v54, s15
	s_waitcnt lgkmcnt(4)
	v_fma_f64 v[48:49], -v[18:19], v[62:63], v[48:49]
	ds_read2_b64 v[80:83], v54 offset1:1
	s_add_i32 s15, s14, 0xfffff820
	s_waitcnt lgkmcnt(4)
	v_fma_f64 v[48:49], -v[16:17], v[66:67], v[48:49]
	v_mov_b32_e32 v54, s15
	s_add_i32 s15, s14, 0xfffff740
	s_waitcnt lgkmcnt(3)
	v_fma_f64 v[48:49], -v[26:27], v[70:71], v[48:49]
	v_mov_b32_e32 v55, s15
	ds_read2_b64 v[84:87], v54 offset1:1
	ds_read2_b64 v[88:91], v55 offset1:1
	s_add_i32 s15, s14, 0xfffff660
	s_waitcnt lgkmcnt(4)
	v_fma_f64 v[48:49], -v[24:25], v[74:75], v[48:49]
	v_mov_b32_e32 v54, s15
	s_add_i32 s15, s14, 0xfffff580
	s_waitcnt lgkmcnt(3)
	v_fma_f64 v[48:49], -v[30:31], v[78:79], v[48:49]
	v_mov_b32_e32 v55, s15
	ds_read2_b64 v[92:95], v54 offset1:1
	ds_read2_b64 v[106:109], v55 offset1:1
	s_addk_i32 s14, 0xf4a0
	s_waitcnt lgkmcnt(4)
	v_fma_f64 v[48:49], -v[28:29], v[82:83], v[48:49]
	v_mov_b32_e32 v54, s14
	s_add_i32 s14, s8, 0xfffffdec
	s_waitcnt lgkmcnt(3)
	v_fma_f64 v[48:49], -v[38:39], v[86:87], v[48:49]
	s_add_i32 s13, s13, s14
	s_waitcnt lgkmcnt(2)
	v_fma_f64 v[48:49], -v[36:37], v[90:91], v[48:49]
	s_lshl_b32 s13, s13, 3
	s_waitcnt lgkmcnt(1)
	v_fma_f64 v[48:49], -v[42:43], v[94:95], v[48:49]
	ds_read2_b64 v[94:97], v54 offset1:1
	v_mov_b32_e32 v54, s13
	s_sub_i32 s13, s16, 22
	s_add_i32 s14, s14, s13
	s_lshl_b32 s14, s14, 3
	s_add_i32 s15, s14, 0x10a0
	s_waitcnt lgkmcnt(1)
	v_fma_f64 v[48:49], -v[40:41], v[108:109], v[48:49]
	ds_read2_b64 v[108:111], v54 offset1:1
	v_mov_b32_e32 v54, s15
	ds_read2_b64 v[112:115], v54 offset1:1
	s_add_i32 s15, s14, 0xfc0
	v_mov_b32_e32 v54, s15
	ds_read2_b64 v[116:119], v54 offset1:1
	s_add_i32 s15, s14, 0xee0
	s_waitcnt lgkmcnt(1)
	v_mul_f64 v[54:55], v[102:103], v[114:115]
	s_waitcnt vmcnt(4)
	v_fma_f64 v[46:47], v[46:47], s[0:1], -v[54:55]
	v_mov_b32_e32 v54, s15
	s_add_i32 s15, s14, 0xe00
	v_mov_b32_e32 v55, s15
	ds_read2_b64 v[120:123], v54 offset1:1
	ds_read2_b64 v[124:127], v55 offset1:1
	s_addk_i32 s14, 0xd20
	s_add_i32 s13, s13, s12
	v_mov_b32_e32 v54, s14
	s_lshl_b32 s13, s13, 3
	v_mov_b32_e32 v55, s13
	ds_read2_b64 v[128:131], v54 offset1:1
	ds_read2_b64 v[132:135], v55 offset1:1
	s_waitcnt lgkmcnt(4)
	v_fma_f64 v[46:47], -v[104:105], v[118:119], v[46:47]
	s_waitcnt lgkmcnt(3)
	v_fma_f64 v[46:47], -v[6:7], v[122:123], v[46:47]
	;; [unrolled: 2-line block ×5, first 2 shown]
	v_fma_f64 v[46:47], -v[14:15], v[52:53], v[46:47]
	v_fma_f64 v[46:47], -v[12:13], v[56:57], v[46:47]
	;; [unrolled: 1-line block ×8, first 2 shown]
	s_add_i32 s13, s9, 0xffffecf8
	v_fma_f64 v[46:47], -v[38:39], v[84:85], v[46:47]
	v_mov_b32_e32 v52, s13
	v_fma_f64 v[46:47], -v[36:37], v[88:89], v[46:47]
	ds_read_b64 v[56:57], v52
	v_fma_f64 v[46:47], -v[42:43], v[92:93], v[46:47]
	v_fma_f64 v[48:49], -v[50:51], v[96:97], v[48:49]
	;; [unrolled: 1-line block ×3, first 2 shown]
	s_sub_i32 s13, s16, 23
	v_mul_f64 v[48:49], v[110:111], v[48:49]
	v_fma_f64 v[46:47], -v[50:51], v[94:95], v[46:47]
	s_add_i32 s14, s12, s13
	v_fma_f64 v[46:47], -v[48:49], v[108:109], v[46:47]
	s_lshl_b32 s14, s14, 3
	s_add_i32 s15, s14, 0xffffff20
	s_waitcnt lgkmcnt(0)
	v_mul_f64 v[46:47], v[56:57], v[46:47]
	v_mul_f64 v[56:57], v[102:103], v[112:113]
	v_mov_b32_e32 v52, s15
	v_fma_f64 v[44:45], v[44:45], s[0:1], -v[56:57]
	ds_read2_b64 v[52:55], v52 offset1:1
	v_fma_f64 v[44:45], -v[104:105], v[116:117], v[44:45]
	v_fma_f64 v[44:45], -v[6:7], v[120:121], v[44:45]
	;; [unrolled: 1-line block ×4, first 2 shown]
	s_add_i32 s15, s14, 0xfffffe40
	v_fma_f64 v[44:45], -v[8:9], v[132:133], v[44:45]
	v_mov_b32_e32 v56, s15
	ds_read2_b64 v[56:59], v56 offset1:1
	s_add_i32 s15, s14, 0xfffffd60
	s_waitcnt lgkmcnt(1)
	v_fma_f64 v[44:45], -v[14:15], v[54:55], v[44:45]
	v_mov_b32_e32 v54, s15
	s_add_i32 s15, s14, 0xfffffc80
	ds_read2_b64 v[60:63], v54 offset1:1
	v_mov_b32_e32 v54, s15
	s_add_i32 s15, s14, 0xfffffba0
	ds_read2_b64 v[64:67], v54 offset1:1
	;; [unrolled: 3-line block ×4, first 2 shown]
	v_mov_b32_e32 v54, s15
	s_add_i32 s15, s14, 0xfffff900
	s_waitcnt lgkmcnt(4)
	v_fma_f64 v[44:45], -v[12:13], v[58:59], v[44:45]
	ds_read2_b64 v[76:79], v54 offset1:1
	v_mov_b32_e32 v54, s15
	s_add_i32 s15, s14, 0xfffff820
	s_waitcnt lgkmcnt(4)
	v_fma_f64 v[44:45], -v[18:19], v[62:63], v[44:45]
	ds_read2_b64 v[80:83], v54 offset1:1
	;; [unrolled: 5-line block ×5, first 2 shown]
	v_mov_b32_e32 v54, s15
	s_waitcnt lgkmcnt(4)
	v_fma_f64 v[44:45], -v[30:31], v[78:79], v[44:45]
	ds_read2_b64 v[106:109], v54 offset1:1
	s_add_i32 s15, s14, 0xfffff4a0
	s_waitcnt lgkmcnt(4)
	v_fma_f64 v[44:45], -v[28:29], v[82:83], v[44:45]
	v_mov_b32_e32 v54, s15
	s_add_i32 s15, s14, 0xfffff3c0
	s_addk_i32 s14, 0xf2e0
	s_waitcnt lgkmcnt(3)
	v_fma_f64 v[44:45], -v[38:39], v[86:87], v[44:45]
	v_mov_b32_e32 v55, s14
	s_add_i32 s14, s8, 0xfffffdb4
	s_waitcnt lgkmcnt(2)
	v_fma_f64 v[44:45], -v[36:37], v[90:91], v[44:45]
	s_add_i32 s13, s13, s14
	s_waitcnt lgkmcnt(1)
	v_fma_f64 v[44:45], -v[42:43], v[94:95], v[44:45]
	ds_read2_b64 v[94:97], v54 offset1:1
	v_mov_b32_e32 v54, s15
	s_lshl_b32 s13, s13, 3
	s_waitcnt lgkmcnt(1)
	v_fma_f64 v[44:45], -v[40:41], v[108:109], v[44:45]
	ds_read2_b64 v[108:111], v54 offset1:1
	ds_read2_b64 v[112:115], v55 offset1:1
	v_mov_b32_e32 v54, s13
	s_sub_i32 s13, s16, 24
	s_add_i32 s14, s14, s13
	s_lshl_b32 s14, s14, 3
	s_add_i32 s15, s14, 0x1260
	v_mov_b32_e32 v55, s15
	ds_read2_b64 v[116:119], v54 offset1:1
	ds_read2_b64 v[120:123], v55 offset1:1
	s_add_i32 s15, s14, 0x1180
	v_mov_b32_e32 v58, s15
	s_add_i32 s15, s14, 0x10a0
	s_add_i32 s13, s13, s12
	s_waitcnt lgkmcnt(0)
	v_mul_f64 v[54:55], v[102:103], v[122:123]
	ds_read2_b64 v[122:125], v58 offset1:1
	s_waitcnt vmcnt(3)
	v_fma_f64 v[34:35], v[34:35], s[0:1], -v[54:55]
	v_mov_b32_e32 v54, s15
	ds_read2_b64 v[126:129], v54 offset1:1
	s_add_i32 s15, s14, 0xfc0
	v_mov_b32_e32 v54, s15
	s_addk_i32 s14, 0xee0
	ds_read2_b64 v[130:133], v54 offset1:1
	v_mov_b32_e32 v54, s14
	s_lshl_b32 s13, s13, 3
	ds_read2_b64 v[134:137], v54 offset1:1
	v_mov_b32_e32 v54, s13
	ds_read2_b64 v[138:141], v54 offset1:1
	s_waitcnt lgkmcnt(4)
	v_fma_f64 v[34:35], -v[104:105], v[124:125], v[34:35]
	s_waitcnt lgkmcnt(3)
	v_fma_f64 v[34:35], -v[6:7], v[128:129], v[34:35]
	;; [unrolled: 2-line block ×5, first 2 shown]
	v_fma_f64 v[34:35], -v[14:15], v[52:53], v[34:35]
	v_fma_f64 v[34:35], -v[12:13], v[56:57], v[34:35]
	;; [unrolled: 1-line block ×9, first 2 shown]
	s_add_i32 s13, s9, 0xffffeb28
	v_fma_f64 v[34:35], -v[36:37], v[88:89], v[34:35]
	v_mov_b32_e32 v54, s13
	v_fma_f64 v[34:35], -v[42:43], v[92:93], v[34:35]
	v_fma_f64 v[44:45], -v[50:51], v[96:97], v[44:45]
	ds_read_b64 v[54:55], v54
	v_fma_f64 v[34:35], -v[40:41], v[106:107], v[34:35]
	s_sub_i32 s13, s16, 25
	v_fma_f64 v[44:45], -v[48:49], v[110:111], v[44:45]
	v_fma_f64 v[34:35], -v[50:51], v[94:95], v[34:35]
	s_add_i32 s14, s12, s13
	v_fma_f64 v[44:45], -v[46:47], v[114:115], v[44:45]
	v_fma_f64 v[34:35], -v[48:49], v[108:109], v[34:35]
	s_lshl_b32 s14, s14, 3
	v_mul_f64 v[44:45], v[118:119], v[44:45]
	v_fma_f64 v[34:35], -v[46:47], v[112:113], v[34:35]
	v_mul_f64 v[52:53], v[102:103], v[120:121]
	s_add_i32 s15, s14, 0xffffff20
	v_fma_f64 v[34:35], -v[44:45], v[116:117], v[34:35]
	v_fma_f64 v[32:33], v[32:33], s[0:1], -v[52:53]
	v_mov_b32_e32 v52, s15
	s_waitcnt lgkmcnt(0)
	v_mul_f64 v[34:35], v[54:55], v[34:35]
	v_fma_f64 v[32:33], -v[104:105], v[122:123], v[32:33]
	ds_read2_b64 v[52:55], v52 offset1:1
	v_fma_f64 v[32:33], -v[6:7], v[126:127], v[32:33]
	v_fma_f64 v[32:33], -v[4:5], v[130:131], v[32:33]
	;; [unrolled: 1-line block ×3, first 2 shown]
	s_add_i32 s15, s14, 0xfffffe40
	v_fma_f64 v[32:33], -v[8:9], v[138:139], v[32:33]
	v_mov_b32_e32 v56, s15
	ds_read2_b64 v[56:59], v56 offset1:1
	s_add_i32 s15, s14, 0xfffffd60
	s_waitcnt lgkmcnt(1)
	v_fma_f64 v[32:33], -v[14:15], v[54:55], v[32:33]
	v_mov_b32_e32 v54, s15
	s_add_i32 s15, s14, 0xfffffc80
	ds_read2_b64 v[60:63], v54 offset1:1
	v_mov_b32_e32 v54, s15
	s_add_i32 s15, s14, 0xfffffba0
	ds_read2_b64 v[64:67], v54 offset1:1
	;; [unrolled: 3-line block ×4, first 2 shown]
	v_mov_b32_e32 v54, s15
	s_add_i32 s15, s14, 0xfffff900
	s_waitcnt lgkmcnt(4)
	v_fma_f64 v[32:33], -v[12:13], v[58:59], v[32:33]
	ds_read2_b64 v[76:79], v54 offset1:1
	v_mov_b32_e32 v54, s15
	s_add_i32 s15, s14, 0xfffff820
	s_waitcnt lgkmcnt(4)
	v_fma_f64 v[32:33], -v[18:19], v[62:63], v[32:33]
	ds_read2_b64 v[80:83], v54 offset1:1
	;; [unrolled: 5-line block ×4, first 2 shown]
	v_mov_b32_e32 v54, s15
	s_waitcnt lgkmcnt(4)
	v_fma_f64 v[32:33], -v[24:25], v[74:75], v[32:33]
	ds_read2_b64 v[92:95], v54 offset1:1
	s_waitcnt lgkmcnt(4)
	v_fma_f64 v[32:33], -v[30:31], v[78:79], v[32:33]
	s_add_i32 s15, s14, 0xfffff580
	s_waitcnt lgkmcnt(3)
	v_fma_f64 v[32:33], -v[28:29], v[82:83], v[32:33]
	v_mov_b32_e32 v54, s15
	s_waitcnt lgkmcnt(2)
	v_fma_f64 v[32:33], -v[38:39], v[86:87], v[32:33]
	ds_read2_b64 v[106:109], v54 offset1:1
	s_add_i32 s15, s14, 0xfffff4a0
	s_waitcnt lgkmcnt(2)
	v_fma_f64 v[32:33], -v[36:37], v[90:91], v[32:33]
	v_mov_b32_e32 v54, s15
	s_add_i32 s15, s14, 0xfffff3c0
	s_waitcnt lgkmcnt(1)
	v_fma_f64 v[32:33], -v[42:43], v[94:95], v[32:33]
	v_mov_b32_e32 v55, s15
	ds_read2_b64 v[94:97], v54 offset1:1
	ds_read2_b64 v[110:113], v55 offset1:1
	s_add_i32 s15, s14, 0xfffff2e0
	v_mov_b32_e32 v54, s15
	s_add_i32 s15, s14, 0xfffff200
	v_mov_b32_e32 v55, s15
	ds_read2_b64 v[114:117], v54 offset1:1
	ds_read2_b64 v[118:121], v55 offset1:1
	s_waitcnt lgkmcnt(4)
	v_fma_f64 v[32:33], -v[40:41], v[108:109], v[32:33]
	s_addk_i32 s14, 0xf120
	s_waitcnt lgkmcnt(3)
	v_fma_f64 v[32:33], -v[50:51], v[96:97], v[32:33]
	v_mov_b32_e32 v54, s14
	s_add_i32 s14, s8, 0xfffffd7c
	s_waitcnt lgkmcnt(2)
	v_fma_f64 v[32:33], -v[48:49], v[112:113], v[32:33]
	s_add_i32 s13, s13, s14
	s_waitcnt lgkmcnt(1)
	v_fma_f64 v[32:33], -v[46:47], v[116:117], v[32:33]
	s_lshl_b32 s13, s13, 3
	s_waitcnt lgkmcnt(0)
	v_fma_f64 v[32:33], -v[44:45], v[120:121], v[32:33]
	ds_read2_b64 v[120:123], v54 offset1:1
	v_mov_b32_e32 v54, s13
	s_sub_i32 s13, s16, 26
	s_add_i32 s14, s14, s13
	s_lshl_b32 s14, s14, 3
	s_add_i32 s15, s14, 0x1420
	ds_read2_b64 v[124:127], v54 offset1:1
	v_mov_b32_e32 v54, s15
	ds_read2_b64 v[128:131], v54 offset1:1
	s_add_i32 s15, s14, 0x1340
	v_mov_b32_e32 v54, s15
	ds_read2_b64 v[132:135], v54 offset1:1
	s_add_i32 s15, s14, 0x1260
	s_waitcnt lgkmcnt(1)
	v_mul_f64 v[54:55], v[102:103], v[130:131]
	s_waitcnt vmcnt(2)
	v_fma_f64 v[22:23], v[22:23], s[0:1], -v[54:55]
	v_mov_b32_e32 v54, s15
	s_add_i32 s15, s14, 0x1180
	v_mov_b32_e32 v55, s15
	ds_read2_b64 v[136:139], v54 offset1:1
	ds_read2_b64 v[140:143], v55 offset1:1
	s_addk_i32 s14, 0x10a0
	s_add_i32 s13, s13, s12
	v_mov_b32_e32 v54, s14
	s_lshl_b32 s13, s13, 3
	v_mov_b32_e32 v55, s13
	ds_read2_b64 v[144:147], v54 offset1:1
	ds_read2_b64 v[148:151], v55 offset1:1
	s_waitcnt lgkmcnt(4)
	v_fma_f64 v[22:23], -v[104:105], v[134:135], v[22:23]
	s_waitcnt lgkmcnt(3)
	v_fma_f64 v[22:23], -v[6:7], v[138:139], v[22:23]
	;; [unrolled: 2-line block ×5, first 2 shown]
	v_fma_f64 v[22:23], -v[14:15], v[52:53], v[22:23]
	v_fma_f64 v[22:23], -v[12:13], v[56:57], v[22:23]
	;; [unrolled: 1-line block ×12, first 2 shown]
	s_add_i32 s13, s9, 0xffffe958
	v_fma_f64 v[22:23], -v[50:51], v[94:95], v[22:23]
	v_mov_b32_e32 v52, s13
	v_fma_f64 v[22:23], -v[48:49], v[110:111], v[22:23]
	s_sub_i32 s13, s16, 27
	ds_read_b64 v[52:53], v52
	v_fma_f64 v[22:23], -v[46:47], v[114:115], v[22:23]
	s_add_i32 s12, s12, s13
	v_fma_f64 v[32:33], -v[34:35], v[122:123], v[32:33]
	v_fma_f64 v[22:23], -v[44:45], v[118:119], v[22:23]
	s_lshl_b32 s12, s12, 3
	v_mul_f64 v[32:33], v[126:127], v[32:33]
	v_fma_f64 v[22:23], -v[34:35], v[120:121], v[22:23]
	s_add_i32 s14, s12, 0xffffff20
	v_fma_f64 v[22:23], -v[32:33], v[124:125], v[22:23]
	v_mov_b32_e32 v54, s14
	ds_read2_b64 v[56:59], v54 offset1:1
	s_waitcnt lgkmcnt(1)
	v_mul_f64 v[22:23], v[52:53], v[22:23]
	v_mul_f64 v[52:53], v[102:103], v[128:129]
	v_fma_f64 v[20:21], v[20:21], s[0:1], -v[52:53]
	s_add_i32 s14, s12, 0xfffffe40
	v_fma_f64 v[20:21], -v[104:105], v[132:133], v[20:21]
	v_mov_b32_e32 v52, s14
	v_fma_f64 v[20:21], -v[6:7], v[136:137], v[20:21]
	ds_read2_b64 v[52:55], v52 offset1:1
	v_fma_f64 v[20:21], -v[4:5], v[140:141], v[20:21]
	v_fma_f64 v[20:21], -v[10:11], v[144:145], v[20:21]
	v_fma_f64 v[20:21], -v[8:9], v[148:149], v[20:21]
	s_add_i32 s14, s12, 0xfffffd60
	s_waitcnt lgkmcnt(1)
	v_fma_f64 v[20:21], -v[14:15], v[58:59], v[20:21]
	v_mov_b32_e32 v58, s14
	ds_read2_b64 v[58:61], v58 offset1:1
	s_add_i32 s14, s12, 0xfffffc80
	s_waitcnt lgkmcnt(1)
	v_fma_f64 v[20:21], -v[12:13], v[54:55], v[20:21]
	v_mov_b32_e32 v54, s14
	s_add_i32 s14, s12, 0xfffffba0
	ds_read2_b64 v[62:65], v54 offset1:1
	v_mov_b32_e32 v54, s14
	s_add_i32 s14, s12, 0xfffffac0
	ds_read2_b64 v[66:69], v54 offset1:1
	;; [unrolled: 3-line block ×10, first 2 shown]
	v_mov_b32_e32 v54, s14
	s_add_i32 s14, s12, 0xfffff2e0
	s_addk_i32 s8, 0xfd44
	ds_read2_b64 v[110:113], v54 offset1:1
	v_mov_b32_e32 v54, s14
	s_add_i32 s14, s12, 0xfffff200
	s_add_i32 s13, s13, s8
	ds_read2_b64 v[114:117], v54 offset1:1
	v_mov_b32_e32 v54, s14
	s_add_i32 s14, s12, 0xfffff120
	s_lshl_b32 s13, s13, 3
	v_mov_b32_e32 v55, s14
	ds_read2_b64 v[118:121], v54 offset1:1
	ds_read2_b64 v[122:125], v55 offset1:1
	v_mov_b32_e32 v54, s13
	s_sub_i32 s13, s16, 28
	s_add_i32 s8, s8, s13
	s_lshl_b32 s8, s8, 3
	s_add_i32 s13, s8, 0x15e0
	v_mov_b32_e32 v55, s13
	ds_read2_b64 v[126:129], v54 offset1:1
	ds_read2_b64 v[130:133], v55 offset1:1
	s_waitcnt lgkmcnt(14)
	v_fma_f64 v[20:21], -v[18:19], v[60:61], v[20:21]
	s_add_i32 s13, s12, 0xfffff040
	s_addk_i32 s12, 0xef60
	v_fma_f64 v[20:21], -v[16:17], v[64:65], v[20:21]
	v_mov_b32_e32 v65, s12
	s_add_i32 s12, s8, 0x1500
	s_waitcnt lgkmcnt(0)
	v_mul_f64 v[54:55], v[102:103], v[132:133]
	v_mov_b32_e32 v60, s12
	s_add_i32 s12, s8, 0x1420
	ds_read2_b64 v[132:135], v60 offset1:1
	s_waitcnt vmcnt(1)
	v_fma_f64 v[2:3], v[2:3], s[0:1], -v[54:55]
	v_mov_b32_e32 v54, s12
	ds_read2_b64 v[136:139], v54 offset1:1
	s_add_i32 s12, s8, 0x1340
	v_mov_b32_e32 v54, s12
	s_add_i32 s12, s8, 0x1260
	ds_read2_b64 v[140:143], v54 offset1:1
	v_mov_b32_e32 v54, s12
	s_add_i32 s12, s8, 0x1180
	ds_read2_b64 v[144:147], v54 offset1:1
	v_mov_b32_e32 v54, s12
	ds_read2_b64 v[148:151], v54 offset1:1
	s_waitcnt lgkmcnt(4)
	v_fma_f64 v[2:3], -v[104:105], v[134:135], v[2:3]
	s_waitcnt lgkmcnt(3)
	v_fma_f64 v[2:3], -v[6:7], v[138:139], v[2:3]
	s_waitcnt lgkmcnt(2)
	v_fma_f64 v[2:3], -v[4:5], v[142:143], v[2:3]
	v_fma_f64 v[20:21], -v[26:27], v[68:69], v[20:21]
	s_waitcnt lgkmcnt(1)
	v_fma_f64 v[2:3], -v[10:11], v[146:147], v[2:3]
	v_fma_f64 v[20:21], -v[24:25], v[72:73], v[20:21]
	s_waitcnt lgkmcnt(0)
	v_fma_f64 v[2:3], -v[8:9], v[150:151], v[2:3]
	v_fma_f64 v[20:21], -v[30:31], v[76:77], v[20:21]
	;; [unrolled: 1-line block ×12, first 2 shown]
	s_add_i32 s12, s9, 0xffffe788
	v_fma_f64 v[2:3], -v[24:25], v[70:71], v[2:3]
	v_fma_f64 v[20:21], -v[50:51], v[108:109], v[20:21]
	v_mov_b32_e32 v64, s13
	v_mov_b32_e32 v54, s12
	v_fma_f64 v[2:3], -v[30:31], v[74:75], v[2:3]
	v_fma_f64 v[20:21], -v[48:49], v[112:113], v[20:21]
	ds_read_b64 v[60:61], v54
	ds_read2_b64 v[54:57], v64 offset1:1
	ds_read2_b64 v[150:153], v65 offset1:1
	v_fma_f64 v[2:3], -v[28:29], v[78:79], v[2:3]
	v_fma_f64 v[20:21], -v[46:47], v[116:117], v[20:21]
	v_fma_f64 v[2:3], -v[38:39], v[82:83], v[2:3]
	v_fma_f64 v[20:21], -v[44:45], v[120:121], v[20:21]
	v_fma_f64 v[2:3], -v[36:37], v[86:87], v[2:3]
	v_mul_f64 v[52:53], v[102:103], v[130:131]
	v_fma_f64 v[20:21], -v[34:35], v[124:125], v[20:21]
	v_fma_f64 v[2:3], -v[42:43], v[90:91], v[2:3]
	v_fma_f64 v[0:1], v[0:1], s[0:1], -v[52:53]
	s_waitcnt lgkmcnt(1)
	v_fma_f64 v[20:21], -v[32:33], v[56:57], v[20:21]
	v_mov_b32_e32 v57, s7
	v_add_co_u32_e32 v56, vcc, s6, v98
	v_fma_f64 v[2:3], -v[40:41], v[94:95], v[2:3]
	v_fma_f64 v[0:1], -v[104:105], v[132:133], v[0:1]
	s_waitcnt lgkmcnt(0)
	v_fma_f64 v[20:21], -v[22:23], v[152:153], v[20:21]
	v_addc_co_u32_e32 v57, vcc, v99, v57, vcc
	v_fma_f64 v[2:3], -v[50:51], v[106:107], v[2:3]
	v_fma_f64 v[0:1], -v[6:7], v[136:137], v[0:1]
	v_mov_b32_e32 v58, s8
	v_mul_f64 v[20:21], v[128:129], v[20:21]
	global_store_dwordx2 v[56:57], v[104:105], off offset:-16
	global_store_dwordx4 v[56:57], v[4:7], off offset:-32
	global_store_dwordx4 v[56:57], v[8:11], off offset:-48
	;; [unrolled: 1-line block ×12, first 2 shown]
	v_fma_f64 v[2:3], -v[48:49], v[110:111], v[2:3]
	v_fma_f64 v[0:1], -v[4:5], v[140:141], v[0:1]
	v_add_u32_e32 v4, 0xc00, v58
	v_fma_f64 v[2:3], -v[46:47], v[114:115], v[2:3]
	ds_read2_b64 v[4:7], v4 offset0:120 offset1:148
	v_fma_f64 v[2:3], -v[44:45], v[118:119], v[2:3]
	v_fma_f64 v[2:3], -v[34:35], v[122:123], v[2:3]
	v_add_u32_e32 v59, 0x800, v58
	v_fma_f64 v[2:3], -v[32:33], v[54:55], v[2:3]
	v_fma_f64 v[0:1], -v[10:11], v[144:145], v[0:1]
	ds_read2_b64 v[52:55], v59 offset0:192 offset1:220
	v_fma_f64 v[0:1], -v[8:9], v[148:149], v[0:1]
	s_waitcnt lgkmcnt(1)
	v_fma_f64 v[0:1], -v[14:15], v[6:7], v[0:1]
	ds_read2_b64 v[6:9], v59 offset0:136 offset1:164
	v_fma_f64 v[0:1], -v[12:13], v[4:5], v[0:1]
	ds_read2_b64 v[10:13], v59 offset0:80 offset1:108
	s_waitcnt lgkmcnt(2)
	v_fma_f64 v[0:1], -v[18:19], v[54:55], v[0:1]
	v_fma_f64 v[0:1], -v[16:17], v[52:53], v[0:1]
	ds_read2_b64 v[14:17], v59 offset0:24 offset1:52
	s_waitcnt lgkmcnt(2)
	v_fma_f64 v[0:1], -v[26:27], v[8:9], v[0:1]
	;; [unrolled: 4-line block ×6, first 2 shown]
	v_fma_f64 v[0:1], -v[48:49], v[8:9], v[0:1]
	s_waitcnt lgkmcnt(1)
	v_fma_f64 v[0:1], -v[46:47], v[14:15], v[0:1]
	v_fma_f64 v[0:1], -v[44:45], v[12:13], v[0:1]
	s_waitcnt lgkmcnt(0)
	v_fma_f64 v[0:1], -v[34:35], v[6:7], v[0:1]
	ds_read2_b64 v[6:9], v58 offset1:28
	s_add_i32 s6, s8, 0xffffff20
	v_mov_b32_e32 v10, s6
	s_add_i32 s6, s9, 0xffffe6a0
	ds_read_b64 v[10:11], v10
	v_mov_b32_e32 v12, s6
	ds_read_b64 v[12:13], v12
	v_fma_f64 v[2:3], -v[22:23], v[150:151], v[2:3]
	v_fma_f64 v[0:1], -v[32:33], v[4:5], v[0:1]
	;; [unrolled: 1-line block ×3, first 2 shown]
	s_waitcnt lgkmcnt(2)
	v_fma_f64 v[0:1], -v[22:23], v[8:9], v[0:1]
	v_mul_f64 v[2:3], v[60:61], v[2:3]
	v_fma_f64 v[0:1], -v[20:21], v[6:7], v[0:1]
	s_waitcnt lgkmcnt(1)
	v_fma_f64 v[0:1], -v[2:3], v[10:11], v[0:1]
	s_waitcnt lgkmcnt(0)
	v_mul_f64 v[0:1], v[12:13], v[0:1]
	s_sub_i32 s6, s16, 29
	global_store_dwordx4 v[56:57], v[0:3], off offset:-224
.LBB98_35:
	s_cmp_gt_i32 s6, -1
	s_cbranch_scc0 .LBB98_54
; %bb.36:
	s_cmp_lt_u32 s6, 23
	s_cbranch_scc1 .LBB98_41
; %bb.37:
	s_mov_b32 s7, 0
	s_lshl_b64 s[8:9], s[6:7], 3
	v_mov_b32_e32 v1, s9
	v_add_co_u32_e32 v0, vcc, s8, v98
	v_addc_co_u32_e32 v1, vcc, v99, v1, vcc
	global_load_dwordx4 v[2:5], v[0:1], off offset:-8
	global_load_dwordx4 v[6:9], v[0:1], off offset:-24
	;; [unrolled: 1-line block ×12, first 2 shown]
	s_cmp_le_i32 s18, s6
	s_waitcnt vmcnt(11)
	v_mul_f64 v[36:37], v[4:5], s[0:1]
	v_mul_f64 v[34:35], v[2:3], s[0:1]
	s_waitcnt vmcnt(10)
	v_mul_f64 v[2:3], v[8:9], s[0:1]
	v_mul_f64 v[32:33], v[6:7], s[0:1]
	;; [unrolled: 3-line block ×12, first 2 shown]
	s_cbranch_scc1 .LBB98_40
; %bb.38:
	s_mul_i32 s7, s16, 0xe0
	s_lshl_b32 s8, s6, 3
	s_add_i32 s7, s7, s8
	s_ashr_i32 s19, s18, 31
	s_addk_i32 s7, 0xfe68
	s_lshl_b64 s[8:9], s[18:19], 3
	s_add_u32 s8, s10, s8
	s_addc_u32 s9, s11, s9
	s_add_u32 s8, s8, s4
	s_addc_u32 s9, s9, s5
	;; [unrolled: 2-line block ×3, first 2 shown]
	v_mov_b32_e32 v39, s9
	v_add_co_u32_e32 v38, vcc, s8, v100
	v_addc_co_u32_e32 v39, vcc, v39, v101, vcc
	s_mov_b32 s8, s18
.LBB98_39:                              ; =>This Inner Loop Header: Depth=1
	global_load_dwordx2 v[58:59], v[38:39], off
	v_mov_b32_e32 v68, s7
	ds_read2_b64 v[40:43], v68 offset0:22 offset1:23
	ds_read2_b64 v[44:47], v68 offset0:20 offset1:21
	;; [unrolled: 1-line block ×11, first 2 shown]
	ds_read2_b64 v[106:109], v68 offset1:1
	s_add_i32 s8, s8, -1
	s_addk_i32 s7, 0xff20
	v_add_co_u32_e32 v38, vcc, -8, v38
	v_addc_co_u32_e32 v39, vcc, -1, v39, vcc
	s_cmp_gt_i32 s8, s6
	s_waitcnt vmcnt(0) lgkmcnt(11)
	v_fma_f64 v[36:37], -v[58:59], v[42:43], v[36:37]
	v_fma_f64 v[34:35], -v[58:59], v[40:41], v[34:35]
	s_waitcnt lgkmcnt(10)
	v_fma_f64 v[2:3], -v[58:59], v[46:47], v[2:3]
	v_fma_f64 v[32:33], -v[58:59], v[44:45], v[32:33]
	s_waitcnt lgkmcnt(9)
	;; [unrolled: 3-line block ×11, first 2 shown]
	v_fma_f64 v[60:61], -v[58:59], v[108:109], v[60:61]
	v_fma_f64 v[70:71], -v[58:59], v[106:107], v[70:71]
	s_cbranch_scc1 .LBB98_39
.LBB98_40:
	s_mul_i32 s8, s6, 0xe8
	s_add_i32 s7, s8, -8
	v_mov_b32_e32 v38, s7
	ds_read2_b64 v[38:41], v38 offset1:1
	s_add_i32 s7, s8, 0xffffff18
	v_mov_b32_e32 v42, s7
	ds_read_b64 v[42:43], v42
	s_ashr_i32 s7, s6, 31
	s_waitcnt lgkmcnt(1)
	v_mul_f64 v[74:75], v[40:41], v[36:37]
	global_store_dwordx2 v[0:1], v[74:75], off
	v_fma_f64 v[0:1], -v[74:75], v[38:39], v[34:35]
	s_lshl_b64 s[12:13], s[6:7], 3
	s_mul_i32 s9, s6, 28
	s_waitcnt lgkmcnt(0)
	v_mul_f64 v[76:77], v[42:43], v[0:1]
	v_mov_b32_e32 v0, s13
	s_add_i32 s13, s6, -3
	s_add_i32 s7, s13, s9
	v_add_co_u32_e32 v72, vcc, s12, v98
	s_lshl_b32 s7, s7, 3
	v_addc_co_u32_e32 v73, vcc, v99, v0, vcc
	v_mov_b32_e32 v0, s7
	s_sub_i32 s7, s9, 28
	s_add_i32 s12, s13, s7
	s_lshl_b32 s12, s12, 3
	ds_read2_b64 v[34:37], v0 offset1:1
	v_mov_b32_e32 v0, s12
	ds_read2_b64 v[38:41], v0 offset1:1
	s_sub_i32 s12, s9, 56
	s_add_i32 s13, s13, s12
	s_lshl_b32 s13, s13, 3
	v_mov_b32_e32 v0, s13
	s_waitcnt lgkmcnt(1)
	v_fma_f64 v[36:37], -v[74:75], v[36:37], v[2:3]
	ds_read2_b64 v[0:3], v0 offset1:1
	s_add_i32 s13, s8, 0xfffffd48
	s_add_i32 s15, s6, -5
	s_waitcnt lgkmcnt(1)
	v_fma_f64 v[36:37], -v[76:77], v[40:41], v[36:37]
	v_mov_b32_e32 v40, s13
	ds_read_b64 v[40:41], v40
	s_add_i32 s13, s15, s9
	v_fma_f64 v[32:33], -v[74:75], v[34:35], v[32:33]
	s_lshl_b32 s13, s13, 3
	v_fma_f64 v[42:43], -v[76:77], v[38:39], v[32:33]
	v_mov_b32_e32 v32, s13
	s_add_i32 s13, s15, s7
	s_lshl_b32 s13, s13, 3
	global_store_dwordx2 v[72:73], v[76:77], off offset:-8
	s_waitcnt lgkmcnt(1)
	v_mul_f64 v[2:3], v[2:3], v[36:37]
	v_mov_b32_e32 v36, s13
	ds_read2_b64 v[32:35], v32 offset1:1
	ds_read2_b64 v[36:39], v36 offset1:1
	s_add_i32 s13, s15, s12
	s_lshl_b32 s13, s13, 3
	v_fma_f64 v[0:1], -v[2:3], v[0:1], v[42:43]
	s_waitcnt lgkmcnt(1)
	v_fma_f64 v[6:7], -v[74:75], v[34:35], v[6:7]
	v_mov_b32_e32 v34, s13
	s_add_i32 s13, s9, 0xffffffac
	s_add_i32 s14, s15, s13
	s_lshl_b32 s14, s14, 3
	v_mul_f64 v[0:1], v[40:41], v[0:1]
	s_waitcnt lgkmcnt(0)
	v_fma_f64 v[6:7], -v[76:77], v[38:39], v[6:7]
	ds_read2_b64 v[38:41], v34 offset1:1
	v_mov_b32_e32 v34, s14
	s_add_i32 s14, s9, 0xffffff90
	s_add_i32 s15, s15, s14
	s_lshl_b32 s15, s15, 3
	ds_read2_b64 v[42:45], v34 offset1:1
	v_mov_b32_e32 v34, s15
	s_add_i32 s15, s8, 0xfffffb78
	s_add_i32 s19, s6, -7
	ds_read2_b64 v[54:57], v34 offset1:1
	v_mov_b32_e32 v34, s15
	s_add_i32 s15, s19, s9
	s_lshl_b32 s15, s15, 3
	v_fma_f64 v[4:5], -v[74:75], v[32:33], v[4:5]
	v_mov_b32_e32 v32, s15
	s_add_i32 s15, s19, s7
	s_lshl_b32 s15, s15, 3
	global_store_dwordx4 v[72:73], v[0:3], off offset:-24
	v_fma_f64 v[4:5], -v[76:77], v[36:37], v[4:5]
	v_mov_b32_e32 v36, s15
	s_waitcnt lgkmcnt(2)
	v_fma_f64 v[6:7], -v[2:3], v[40:41], v[6:7]
	ds_read_b64 v[40:41], v34
	v_fma_f64 v[4:5], -v[2:3], v[38:39], v[4:5]
	ds_read2_b64 v[32:35], v32 offset1:1
	ds_read2_b64 v[36:39], v36 offset1:1
	s_add_i32 s15, s19, s12
	s_waitcnt lgkmcnt(4)
	v_fma_f64 v[6:7], -v[0:1], v[44:45], v[6:7]
	s_lshl_b32 s15, s15, 3
	s_waitcnt lgkmcnt(3)
	v_mul_f64 v[6:7], v[56:57], v[6:7]
	v_fma_f64 v[4:5], -v[0:1], v[42:43], v[4:5]
	s_waitcnt lgkmcnt(1)
	v_fma_f64 v[10:11], -v[74:75], v[34:35], v[10:11]
	v_mov_b32_e32 v34, s15
	s_add_i32 s15, s19, s13
	v_fma_f64 v[4:5], -v[6:7], v[54:55], v[4:5]
	s_lshl_b32 s15, s15, 3
	v_mul_f64 v[4:5], v[40:41], v[4:5]
	v_mov_b32_e32 v35, s15
	s_add_i32 s15, s19, s14
	global_store_dwordx4 v[72:73], v[4:7], off offset:-40
	s_lshl_b32 s15, s15, 3
	s_waitcnt lgkmcnt(0)
	v_fma_f64 v[10:11], -v[76:77], v[38:39], v[10:11]
	ds_read2_b64 v[38:41], v34 offset1:1
	ds_read2_b64 v[42:45], v35 offset1:1
	v_mov_b32_e32 v34, s15
	s_add_i32 s15, s9, 0xffffff74
	s_add_i32 s17, s19, s15
	s_lshl_b32 s17, s17, 3
	v_mov_b32_e32 v35, s17
	s_add_i32 s17, s8, 0xfffffa90
	ds_read2_b64 v[54:57], v34 offset1:1
	ds_read2_b64 v[64:67], v35 offset1:1
	v_mov_b32_e32 v34, s17
	ds_read_b64 v[34:35], v34
	s_waitcnt lgkmcnt(4)
	v_fma_f64 v[10:11], -v[2:3], v[40:41], v[10:11]
	s_add_i32 s17, s9, 0xffffff58
	s_waitcnt lgkmcnt(3)
	v_fma_f64 v[10:11], -v[0:1], v[44:45], v[10:11]
	s_add_i32 s19, s19, s17
	s_waitcnt lgkmcnt(2)
	v_fma_f64 v[10:11], -v[6:7], v[56:57], v[10:11]
	s_lshl_b32 s19, s19, 3
	s_waitcnt lgkmcnt(1)
	v_fma_f64 v[10:11], -v[4:5], v[66:67], v[10:11]
	v_fma_f64 v[8:9], -v[74:75], v[32:33], v[8:9]
	v_mov_b32_e32 v32, s19
	s_add_i32 s19, s8, 0xfffff9a8
	s_waitcnt lgkmcnt(0)
	v_mul_f64 v[10:11], v[34:35], v[10:11]
	v_fma_f64 v[8:9], -v[76:77], v[36:37], v[8:9]
	v_mov_b32_e32 v34, s19
	v_fma_f64 v[8:9], -v[2:3], v[38:39], v[8:9]
	ds_read_b64 v[32:33], v32
	ds_read_b64 v[34:35], v34
	v_fma_f64 v[8:9], -v[0:1], v[42:43], v[8:9]
	s_add_i32 s21, s6, -9
	v_fma_f64 v[8:9], -v[6:7], v[54:55], v[8:9]
	s_add_i32 s19, s21, s9
	v_fma_f64 v[8:9], -v[4:5], v[64:65], v[8:9]
	s_lshl_b32 s19, s19, 3
	s_waitcnt lgkmcnt(1)
	v_fma_f64 v[8:9], -v[10:11], v[32:33], v[8:9]
	v_mov_b32_e32 v32, s19
	s_waitcnt lgkmcnt(0)
	v_mul_f64 v[8:9], v[34:35], v[8:9]
	ds_read2_b64 v[32:35], v32 offset1:1
	s_add_i32 s19, s21, s7
	s_lshl_b32 s19, s19, 3
	v_mov_b32_e32 v36, s19
	ds_read2_b64 v[36:39], v36 offset1:1
	s_add_i32 s19, s21, s12
	s_lshl_b32 s19, s19, 3
	s_waitcnt lgkmcnt(1)
	v_fma_f64 v[14:15], -v[74:75], v[34:35], v[14:15]
	v_mov_b32_e32 v34, s19
	s_add_i32 s19, s21, s13
	s_lshl_b32 s19, s19, 3
	v_mov_b32_e32 v35, s19
	s_add_i32 s19, s21, s14
	global_store_dwordx4 v[72:73], v[8:11], off offset:-56
	s_lshl_b32 s19, s19, 3
	ds_read2_b64 v[40:43], v34 offset1:1
	ds_read2_b64 v[44:47], v35 offset1:1
	v_mov_b32_e32 v34, s19
	s_add_i32 s19, s21, s15
	s_lshl_b32 s19, s19, 3
	v_mov_b32_e32 v35, s19
	s_add_i32 s19, s21, s17
	ds_read2_b64 v[54:57], v34 offset1:1
	ds_read2_b64 v[64:67], v35 offset1:1
	s_lshl_b32 s19, s19, 3
	s_waitcnt lgkmcnt(4)
	v_fma_f64 v[14:15], -v[76:77], v[38:39], v[14:15]
	v_mov_b32_e32 v34, s19
	s_add_i32 s19, s9, 0xffffff3c
	s_waitcnt lgkmcnt(3)
	v_fma_f64 v[14:15], -v[2:3], v[42:43], v[14:15]
	s_add_i32 s20, s21, s19
	s_waitcnt lgkmcnt(2)
	v_fma_f64 v[14:15], -v[0:1], v[46:47], v[14:15]
	s_lshl_b32 s20, s20, 3
	s_waitcnt lgkmcnt(1)
	v_fma_f64 v[14:15], -v[6:7], v[56:57], v[14:15]
	ds_read2_b64 v[56:59], v34 offset1:1
	v_mov_b32_e32 v34, s20
	s_add_i32 s20, s9, 0xffffff20
	s_add_i32 s21, s21, s20
	s_lshl_b32 s21, s21, 3
	s_waitcnt lgkmcnt(1)
	v_fma_f64 v[14:15], -v[4:5], v[66:67], v[14:15]
	ds_read2_b64 v[66:69], v34 offset1:1
	v_mov_b32_e32 v34, s21
	s_add_i32 s21, s8, 0xfffff7d8
	s_add_i32 s23, s6, -11
	ds_read2_b64 v[78:81], v34 offset1:1
	v_mov_b32_e32 v34, s21
	s_add_i32 s21, s23, s9
	s_lshl_b32 s21, s21, 3
	v_fma_f64 v[12:13], -v[74:75], v[32:33], v[12:13]
	v_mov_b32_e32 v32, s21
	s_add_i32 s21, s23, s7
	s_lshl_b32 s21, s21, 3
	v_fma_f64 v[12:13], -v[76:77], v[36:37], v[12:13]
	v_mov_b32_e32 v36, s21
	ds_read_b64 v[42:43], v34
	ds_read2_b64 v[32:35], v32 offset1:1
	ds_read2_b64 v[36:39], v36 offset1:1
	v_fma_f64 v[12:13], -v[2:3], v[40:41], v[12:13]
	v_fma_f64 v[12:13], -v[0:1], v[44:45], v[12:13]
	s_add_i32 s21, s23, s12
	v_fma_f64 v[12:13], -v[6:7], v[54:55], v[12:13]
	s_lshl_b32 s21, s21, 3
	s_waitcnt lgkmcnt(5)
	v_fma_f64 v[14:15], -v[10:11], v[58:59], v[14:15]
	v_fma_f64 v[12:13], -v[4:5], v[64:65], v[12:13]
	s_waitcnt lgkmcnt(1)
	v_fma_f64 v[18:19], -v[74:75], v[34:35], v[18:19]
	v_mov_b32_e32 v34, s21
	s_add_i32 s21, s23, s13
	v_fma_f64 v[14:15], -v[8:9], v[68:69], v[14:15]
	v_fma_f64 v[12:13], -v[10:11], v[56:57], v[12:13]
	s_lshl_b32 s21, s21, 3
	v_mul_f64 v[14:15], v[80:81], v[14:15]
	v_fma_f64 v[12:13], -v[8:9], v[66:67], v[12:13]
	s_waitcnt lgkmcnt(0)
	v_fma_f64 v[18:19], -v[76:77], v[38:39], v[18:19]
	ds_read2_b64 v[38:41], v34 offset1:1
	v_mov_b32_e32 v34, s21
	s_add_i32 s21, s23, s14
	v_fma_f64 v[12:13], -v[14:15], v[78:79], v[12:13]
	s_lshl_b32 s21, s21, 3
	v_mul_f64 v[12:13], v[42:43], v[12:13]
	ds_read2_b64 v[42:45], v34 offset1:1
	v_mov_b32_e32 v34, s21
	s_add_i32 s21, s23, s15
	s_lshl_b32 s21, s21, 3
	v_mov_b32_e32 v35, s21
	s_add_i32 s21, s23, s17
	global_store_dwordx4 v[72:73], v[12:15], off offset:-72
	s_lshl_b32 s21, s21, 3
	ds_read2_b64 v[54:57], v34 offset1:1
	ds_read2_b64 v[64:67], v35 offset1:1
	v_mov_b32_e32 v34, s21
	s_add_i32 s21, s23, s19
	s_lshl_b32 s21, s21, 3
	v_mov_b32_e32 v35, s21
	s_add_i32 s21, s23, s20
	s_lshl_b32 s21, s21, 3
	ds_read2_b64 v[78:81], v34 offset1:1
	ds_read2_b64 v[82:85], v35 offset1:1
	v_mov_b32_e32 v34, s21
	s_add_i32 s21, s9, 0xffffff04
	s_add_i32 s22, s23, s21
	s_waitcnt lgkmcnt(5)
	v_fma_f64 v[18:19], -v[2:3], v[40:41], v[18:19]
	s_lshl_b32 s22, s22, 3
	s_waitcnt lgkmcnt(4)
	v_fma_f64 v[18:19], -v[0:1], v[44:45], v[18:19]
	ds_read2_b64 v[44:47], v34 offset1:1
	v_mov_b32_e32 v34, s22
	s_add_i32 s22, s9, 0xfffffee8
	v_fma_f64 v[16:17], -v[74:75], v[32:33], v[16:17]
	s_add_i32 s23, s23, s22
	v_fma_f64 v[16:17], -v[76:77], v[36:37], v[16:17]
	s_lshl_b32 s23, s23, 3
	v_fma_f64 v[16:17], -v[2:3], v[38:39], v[16:17]
	s_waitcnt lgkmcnt(4)
	v_fma_f64 v[18:19], -v[6:7], v[56:57], v[18:19]
	ds_read2_b64 v[56:59], v34 offset1:1
	v_mov_b32_e32 v34, s23
	v_fma_f64 v[16:17], -v[0:1], v[42:43], v[16:17]
	s_waitcnt lgkmcnt(4)
	v_fma_f64 v[18:19], -v[4:5], v[66:67], v[18:19]
	ds_read2_b64 v[66:69], v34 offset1:1
	s_add_i32 s23, s8, 0xfffff608
	v_fma_f64 v[16:17], -v[6:7], v[54:55], v[16:17]
	s_add_i32 s25, s6, -13
	s_waitcnt lgkmcnt(4)
	v_fma_f64 v[18:19], -v[10:11], v[80:81], v[18:19]
	v_mov_b32_e32 v34, s23
	v_fma_f64 v[16:17], -v[4:5], v[64:65], v[16:17]
	s_add_i32 s23, s25, s9
	s_waitcnt lgkmcnt(3)
	v_fma_f64 v[18:19], -v[8:9], v[84:85], v[18:19]
	ds_read_b64 v[34:35], v34
	v_fma_f64 v[16:17], -v[10:11], v[78:79], v[16:17]
	s_lshl_b32 s23, s23, 3
	s_waitcnt lgkmcnt(3)
	v_fma_f64 v[18:19], -v[14:15], v[46:47], v[18:19]
	v_fma_f64 v[16:17], -v[8:9], v[82:83], v[16:17]
	v_mov_b32_e32 v32, s23
	s_add_i32 s23, s25, s7
	s_waitcnt lgkmcnt(2)
	v_fma_f64 v[18:19], -v[12:13], v[58:59], v[18:19]
	v_fma_f64 v[16:17], -v[14:15], v[44:45], v[16:17]
	s_lshl_b32 s23, s23, 3
	s_waitcnt lgkmcnt(1)
	v_mul_f64 v[18:19], v[68:69], v[18:19]
	v_fma_f64 v[16:17], -v[12:13], v[56:57], v[16:17]
	v_mov_b32_e32 v36, s23
	s_add_i32 s23, s25, s12
	v_fma_f64 v[16:17], -v[18:19], v[66:67], v[16:17]
	s_lshl_b32 s23, s23, 3
	s_waitcnt lgkmcnt(0)
	v_mul_f64 v[16:17], v[34:35], v[16:17]
	ds_read2_b64 v[32:35], v32 offset1:1
	ds_read2_b64 v[36:39], v36 offset1:1
	v_mov_b32_e32 v40, s23
	s_add_i32 s23, s25, s13
	s_lshl_b32 s23, s23, 3
	v_mov_b32_e32 v44, s23
	s_add_i32 s23, s25, s14
	s_lshl_b32 s23, s23, 3
	s_waitcnt lgkmcnt(1)
	v_fma_f64 v[22:23], -v[74:75], v[34:35], v[22:23]
	v_mov_b32_e32 v34, s23
	s_add_i32 s23, s25, s15
	s_lshl_b32 s23, s23, 3
	ds_read2_b64 v[40:43], v40 offset1:1
	ds_read2_b64 v[44:47], v44 offset1:1
	;; [unrolled: 1-line block ×3, first 2 shown]
	v_mov_b32_e32 v34, s23
	s_add_i32 s23, s25, s17
	s_lshl_b32 s23, s23, 3
	ds_read2_b64 v[64:67], v34 offset1:1
	v_mov_b32_e32 v34, s23
	s_add_i32 s23, s25, s19
	s_waitcnt lgkmcnt(4)
	v_fma_f64 v[22:23], -v[76:77], v[38:39], v[22:23]
	s_lshl_b32 s23, s23, 3
	s_waitcnt lgkmcnt(3)
	v_fma_f64 v[22:23], -v[2:3], v[42:43], v[22:23]
	v_mov_b32_e32 v35, s23
	s_add_i32 s23, s25, s20
	global_store_dwordx4 v[72:73], v[16:19], off offset:-88
	s_waitcnt lgkmcnt(2)
	v_fma_f64 v[22:23], -v[0:1], v[46:47], v[22:23]
	s_lshl_b32 s23, s23, 3
	s_waitcnt lgkmcnt(1)
	v_fma_f64 v[22:23], -v[6:7], v[56:57], v[22:23]
	ds_read2_b64 v[56:59], v34 offset1:1
	ds_read2_b64 v[78:81], v35 offset1:1
	v_mov_b32_e32 v34, s23
	s_add_i32 s23, s25, s21
	s_lshl_b32 s23, s23, 3
	v_mov_b32_e32 v35, s23
	s_add_i32 s23, s25, s22
	s_lshl_b32 s23, s23, 3
	s_add_i32 s24, s9, 0xfffffecc
	ds_read2_b64 v[82:85], v34 offset1:1
	ds_read2_b64 v[86:89], v35 offset1:1
	v_mov_b32_e32 v34, s23
	s_add_i32 s23, s25, s24
	v_fma_f64 v[20:21], -v[74:75], v[32:33], v[20:21]
	s_waitcnt lgkmcnt(4)
	v_fma_f64 v[22:23], -v[4:5], v[66:67], v[22:23]
	s_lshl_b32 s23, s23, 3
	v_fma_f64 v[20:21], -v[76:77], v[36:37], v[20:21]
	s_waitcnt lgkmcnt(3)
	v_fma_f64 v[22:23], -v[10:11], v[58:59], v[22:23]
	ds_read2_b64 v[66:69], v34 offset1:1
	v_mov_b32_e32 v34, s23
	s_add_i32 s23, s9, 0xfffffeb0
	v_fma_f64 v[20:21], -v[2:3], v[40:41], v[20:21]
	s_waitcnt lgkmcnt(3)
	v_fma_f64 v[22:23], -v[8:9], v[80:81], v[22:23]
	s_add_i32 s25, s25, s23
	v_fma_f64 v[20:21], -v[0:1], v[44:45], v[20:21]
	s_waitcnt lgkmcnt(2)
	v_fma_f64 v[22:23], -v[14:15], v[84:85], v[22:23]
	s_lshl_b32 s25, s25, 3
	v_fma_f64 v[20:21], -v[6:7], v[54:55], v[20:21]
	s_waitcnt lgkmcnt(1)
	v_fma_f64 v[22:23], -v[12:13], v[88:89], v[22:23]
	ds_read2_b64 v[88:91], v34 offset1:1
	v_mov_b32_e32 v34, s25
	v_fma_f64 v[20:21], -v[4:5], v[64:65], v[20:21]
	ds_read2_b64 v[92:95], v34 offset1:1
	s_add_i32 s25, s8, 0xfffff438
	v_fma_f64 v[20:21], -v[10:11], v[56:57], v[20:21]
	v_mov_b32_e32 v34, s25
	v_fma_f64 v[20:21], -v[8:9], v[78:79], v[20:21]
	ds_read_b64 v[34:35], v34
	v_fma_f64 v[20:21], -v[14:15], v[82:83], v[20:21]
	s_waitcnt lgkmcnt(3)
	v_fma_f64 v[22:23], -v[18:19], v[68:69], v[22:23]
	v_fma_f64 v[20:21], -v[12:13], v[86:87], v[20:21]
	s_add_i32 s27, s6, -15
	s_waitcnt lgkmcnt(2)
	v_fma_f64 v[22:23], -v[16:17], v[90:91], v[22:23]
	v_fma_f64 v[20:21], -v[18:19], v[66:67], v[20:21]
	s_add_i32 s25, s27, s9
	s_waitcnt lgkmcnt(1)
	v_mul_f64 v[22:23], v[94:95], v[22:23]
	v_fma_f64 v[20:21], -v[16:17], v[88:89], v[20:21]
	s_lshl_b32 s25, s25, 3
	v_fma_f64 v[20:21], -v[22:23], v[92:93], v[20:21]
	v_mov_b32_e32 v32, s25
	s_waitcnt lgkmcnt(0)
	v_mul_f64 v[20:21], v[34:35], v[20:21]
	ds_read2_b64 v[32:35], v32 offset1:1
	s_add_i32 s25, s27, s7
	s_lshl_b32 s25, s25, 3
	v_mov_b32_e32 v36, s25
	ds_read2_b64 v[36:39], v36 offset1:1
	s_add_i32 s25, s27, s12
	s_lshl_b32 s25, s25, 3
	s_waitcnt lgkmcnt(1)
	v_fma_f64 v[26:27], -v[74:75], v[34:35], v[26:27]
	v_mov_b32_e32 v34, s25
	s_add_i32 s25, s27, s13
	s_lshl_b32 s25, s25, 3
	v_mov_b32_e32 v35, s25
	s_add_i32 s25, s27, s14
	global_store_dwordx4 v[72:73], v[20:23], off offset:-104
	s_lshl_b32 s25, s25, 3
	ds_read2_b64 v[40:43], v34 offset1:1
	ds_read2_b64 v[44:47], v35 offset1:1
	v_mov_b32_e32 v34, s25
	s_add_i32 s25, s27, s15
	s_lshl_b32 s25, s25, 3
	v_mov_b32_e32 v35, s25
	ds_read2_b64 v[54:57], v34 offset1:1
	ds_read2_b64 v[64:67], v35 offset1:1
	s_add_i32 s25, s27, s17
	s_waitcnt lgkmcnt(4)
	v_fma_f64 v[26:27], -v[76:77], v[38:39], v[26:27]
	s_lshl_b32 s25, s25, 3
	s_waitcnt lgkmcnt(3)
	v_fma_f64 v[26:27], -v[2:3], v[42:43], v[26:27]
	v_mov_b32_e32 v34, s25
	s_add_i32 s25, s27, s19
	s_waitcnt lgkmcnt(2)
	v_fma_f64 v[26:27], -v[0:1], v[46:47], v[26:27]
	s_lshl_b32 s25, s25, 3
	s_waitcnt lgkmcnt(1)
	v_fma_f64 v[26:27], -v[6:7], v[56:57], v[26:27]
	ds_read2_b64 v[56:59], v34 offset1:1
	v_mov_b32_e32 v34, s25
	s_add_i32 s25, s27, s20
	s_lshl_b32 s25, s25, 3
	s_waitcnt lgkmcnt(1)
	v_fma_f64 v[26:27], -v[4:5], v[66:67], v[26:27]
	ds_read2_b64 v[66:69], v34 offset1:1
	v_mov_b32_e32 v34, s25
	s_add_i32 s25, s27, s21
	s_lshl_b32 s25, s25, 3
	v_mov_b32_e32 v35, s25
	s_add_i32 s25, s27, s22
	s_lshl_b32 s25, s25, 3
	ds_read2_b64 v[78:81], v34 offset1:1
	ds_read2_b64 v[82:85], v35 offset1:1
	v_mov_b32_e32 v34, s25
	s_add_i32 s25, s27, s24
	s_lshl_b32 s25, s25, 3
	s_waitcnt lgkmcnt(3)
	v_fma_f64 v[26:27], -v[10:11], v[58:59], v[26:27]
	v_mov_b32_e32 v35, s25
	ds_read2_b64 v[86:89], v34 offset1:1
	ds_read2_b64 v[90:93], v35 offset1:1
	s_waitcnt lgkmcnt(4)
	v_fma_f64 v[26:27], -v[8:9], v[68:69], v[26:27]
	s_add_i32 s25, s27, s23
	s_waitcnt lgkmcnt(3)
	v_fma_f64 v[26:27], -v[14:15], v[80:81], v[26:27]
	s_lshl_b32 s25, s25, 3
	s_waitcnt lgkmcnt(2)
	v_fma_f64 v[26:27], -v[12:13], v[84:85], v[26:27]
	v_mov_b32_e32 v34, s25
	s_add_i32 s25, s9, 0xfffffe94
	s_waitcnt lgkmcnt(1)
	v_fma_f64 v[26:27], -v[18:19], v[88:89], v[26:27]
	s_add_i32 s26, s27, s25
	s_waitcnt lgkmcnt(0)
	v_fma_f64 v[26:27], -v[16:17], v[92:93], v[26:27]
	ds_read2_b64 v[92:95], v34 offset1:1
	s_lshl_b32 s26, s26, 3
	v_mov_b32_e32 v34, s26
	s_add_i32 s26, s9, 0xfffffe78
	s_add_i32 s27, s27, s26
	s_lshl_b32 s27, s27, 3
	v_fma_f64 v[24:25], -v[74:75], v[32:33], v[24:25]
	ds_read2_b64 v[102:105], v34 offset1:1
	v_mov_b32_e32 v34, s27
	s_add_i32 s27, s8, 0xfffff268
	v_fma_f64 v[24:25], -v[76:77], v[36:37], v[24:25]
	s_sub_i32 s29, s6, 17
	s_waitcnt lgkmcnt(1)
	v_fma_f64 v[26:27], -v[22:23], v[94:95], v[26:27]
	ds_read2_b64 v[94:97], v34 offset1:1
	v_mov_b32_e32 v34, s27
	v_fma_f64 v[24:25], -v[2:3], v[40:41], v[24:25]
	s_add_i32 s27, s29, s9
	v_fma_f64 v[24:25], -v[0:1], v[44:45], v[24:25]
	s_lshl_b32 s27, s27, 3
	v_fma_f64 v[24:25], -v[6:7], v[54:55], v[24:25]
	v_mov_b32_e32 v32, s27
	s_add_i32 s27, s29, s7
	v_fma_f64 v[24:25], -v[4:5], v[64:65], v[24:25]
	s_lshl_b32 s27, s27, 3
	v_fma_f64 v[24:25], -v[10:11], v[56:57], v[24:25]
	v_mov_b32_e32 v36, s27
	ds_read_b64 v[42:43], v34
	v_fma_f64 v[24:25], -v[8:9], v[66:67], v[24:25]
	ds_read2_b64 v[32:35], v32 offset1:1
	ds_read2_b64 v[36:39], v36 offset1:1
	v_fma_f64 v[24:25], -v[14:15], v[78:79], v[24:25]
	v_fma_f64 v[24:25], -v[12:13], v[82:83], v[24:25]
	s_add_i32 s27, s29, s12
	v_fma_f64 v[24:25], -v[18:19], v[86:87], v[24:25]
	s_lshl_b32 s27, s27, 3
	v_fma_f64 v[24:25], -v[16:17], v[90:91], v[24:25]
	s_waitcnt lgkmcnt(1)
	v_fma_f64 v[30:31], -v[74:75], v[34:35], v[30:31]
	v_mov_b32_e32 v34, s27
	s_add_i32 s27, s29, s13
	v_fma_f64 v[26:27], -v[20:21], v[104:105], v[26:27]
	v_fma_f64 v[24:25], -v[22:23], v[92:93], v[24:25]
	s_lshl_b32 s27, s27, 3
	v_mul_f64 v[26:27], v[96:97], v[26:27]
	v_fma_f64 v[24:25], -v[20:21], v[102:103], v[24:25]
	s_waitcnt lgkmcnt(0)
	v_fma_f64 v[30:31], -v[76:77], v[38:39], v[30:31]
	ds_read2_b64 v[38:41], v34 offset1:1
	v_mov_b32_e32 v34, s27
	s_add_i32 s27, s29, s14
	v_fma_f64 v[24:25], -v[26:27], v[94:95], v[24:25]
	s_lshl_b32 s27, s27, 3
	v_mul_f64 v[24:25], v[42:43], v[24:25]
	ds_read2_b64 v[42:45], v34 offset1:1
	v_mov_b32_e32 v34, s27
	s_add_i32 s27, s29, s15
	s_lshl_b32 s27, s27, 3
	v_mov_b32_e32 v35, s27
	s_add_i32 s27, s29, s17
	global_store_dwordx4 v[72:73], v[24:27], off offset:-120
	s_lshl_b32 s27, s27, 3
	ds_read2_b64 v[54:57], v34 offset1:1
	ds_read2_b64 v[64:67], v35 offset1:1
	v_mov_b32_e32 v34, s27
	s_add_i32 s27, s29, s19
	s_lshl_b32 s27, s27, 3
	v_mov_b32_e32 v35, s27
	s_add_i32 s27, s29, s20
	s_lshl_b32 s27, s27, 3
	ds_read2_b64 v[78:81], v34 offset1:1
	ds_read2_b64 v[82:85], v35 offset1:1
	v_mov_b32_e32 v34, s27
	s_add_i32 s27, s29, s21
	s_waitcnt lgkmcnt(5)
	v_fma_f64 v[30:31], -v[2:3], v[40:41], v[30:31]
	s_lshl_b32 s27, s27, 3
	s_waitcnt lgkmcnt(4)
	v_fma_f64 v[30:31], -v[0:1], v[44:45], v[30:31]
	ds_read2_b64 v[44:47], v34 offset1:1
	v_mov_b32_e32 v34, s27
	s_add_i32 s27, s29, s22
	s_lshl_b32 s27, s27, 3
	s_waitcnt lgkmcnt(4)
	v_fma_f64 v[30:31], -v[6:7], v[56:57], v[30:31]
	ds_read2_b64 v[56:59], v34 offset1:1
	v_mov_b32_e32 v34, s27
	s_add_i32 s27, s29, s24
	s_lshl_b32 s27, s27, 3
	s_waitcnt lgkmcnt(4)
	v_fma_f64 v[30:31], -v[4:5], v[66:67], v[30:31]
	v_mov_b32_e32 v35, s27
	s_add_i32 s27, s29, s23
	s_waitcnt lgkmcnt(3)
	v_fma_f64 v[30:31], -v[10:11], v[80:81], v[30:31]
	s_lshl_b32 s27, s27, 3
	s_waitcnt lgkmcnt(2)
	v_fma_f64 v[30:31], -v[8:9], v[84:85], v[30:31]
	ds_read2_b64 v[66:69], v34 offset1:1
	ds_read2_b64 v[84:87], v35 offset1:1
	v_mov_b32_e32 v34, s27
	s_add_i32 s27, s29, s25
	s_lshl_b32 s27, s27, 3
	v_fma_f64 v[28:29], -v[74:75], v[32:33], v[28:29]
	s_waitcnt lgkmcnt(3)
	v_fma_f64 v[30:31], -v[14:15], v[46:47], v[30:31]
	v_mov_b32_e32 v35, s27
	ds_read2_b64 v[88:91], v34 offset1:1
	ds_read2_b64 v[92:95], v35 offset1:1
	s_add_i32 s27, s29, s26
	v_fma_f64 v[28:29], -v[76:77], v[36:37], v[28:29]
	s_waitcnt lgkmcnt(4)
	v_fma_f64 v[30:31], -v[12:13], v[58:59], v[30:31]
	s_lshl_b32 s27, s27, 3
	v_fma_f64 v[28:29], -v[2:3], v[38:39], v[28:29]
	s_waitcnt lgkmcnt(3)
	v_fma_f64 v[30:31], -v[18:19], v[68:69], v[30:31]
	v_mov_b32_e32 v34, s27
	s_add_i32 s27, s9, 0xfffffe5c
	v_fma_f64 v[28:29], -v[0:1], v[42:43], v[28:29]
	s_waitcnt lgkmcnt(2)
	v_fma_f64 v[30:31], -v[16:17], v[86:87], v[30:31]
	s_add_i32 s28, s29, s27
	v_fma_f64 v[28:29], -v[6:7], v[54:55], v[28:29]
	s_waitcnt lgkmcnt(1)
	v_fma_f64 v[30:31], -v[22:23], v[90:91], v[30:31]
	s_lshl_b32 s28, s28, 3
	v_fma_f64 v[28:29], -v[4:5], v[64:65], v[28:29]
	s_waitcnt lgkmcnt(0)
	v_fma_f64 v[30:31], -v[20:21], v[94:95], v[30:31]
	ds_read2_b64 v[94:97], v34 offset1:1
	v_mov_b32_e32 v34, s28
	s_add_i32 s28, s9, 0xfffffe40
	v_fma_f64 v[28:29], -v[10:11], v[78:79], v[28:29]
	s_add_i32 s29, s29, s28
	v_fma_f64 v[28:29], -v[8:9], v[82:83], v[28:29]
	s_lshl_b32 s29, s29, 3
	v_fma_f64 v[28:29], -v[14:15], v[44:45], v[28:29]
	ds_read2_b64 v[102:105], v34 offset1:1
	v_mov_b32_e32 v34, s29
	v_fma_f64 v[28:29], -v[12:13], v[56:57], v[28:29]
	ds_read2_b64 v[106:109], v34 offset1:1
	s_add_i32 s29, s8, 0xfffff098
	v_fma_f64 v[28:29], -v[18:19], v[66:67], v[28:29]
	v_mov_b32_e32 v34, s29
	v_fma_f64 v[28:29], -v[16:17], v[84:85], v[28:29]
	s_sub_i32 s31, s6, 19
	ds_read_b64 v[34:35], v34
	v_fma_f64 v[28:29], -v[22:23], v[88:89], v[28:29]
	s_add_i32 s29, s31, s9
	s_waitcnt lgkmcnt(3)
	v_fma_f64 v[30:31], -v[26:27], v[96:97], v[30:31]
	v_fma_f64 v[28:29], -v[20:21], v[92:93], v[28:29]
	s_lshl_b32 s29, s29, 3
	s_waitcnt lgkmcnt(2)
	v_fma_f64 v[30:31], -v[24:25], v[104:105], v[30:31]
	v_fma_f64 v[28:29], -v[26:27], v[94:95], v[28:29]
	v_mov_b32_e32 v32, s29
	s_add_i32 s29, s31, s7
	s_waitcnt lgkmcnt(1)
	v_mul_f64 v[30:31], v[108:109], v[30:31]
	v_fma_f64 v[28:29], -v[24:25], v[102:103], v[28:29]
	s_lshl_b32 s29, s29, 3
	v_fma_f64 v[28:29], -v[30:31], v[106:107], v[28:29]
	v_mov_b32_e32 v36, s29
	s_add_i32 s29, s31, s12
	s_waitcnt lgkmcnt(0)
	v_mul_f64 v[28:29], v[34:35], v[28:29]
	ds_read2_b64 v[32:35], v32 offset1:1
	ds_read2_b64 v[36:39], v36 offset1:1
	s_lshl_b32 s29, s29, 3
	v_mov_b32_e32 v40, s29
	s_add_i32 s29, s31, s13
	s_lshl_b32 s29, s29, 3
	v_mov_b32_e32 v44, s29
	s_add_i32 s29, s31, s14
	s_waitcnt lgkmcnt(1)
	v_fma_f64 v[34:35], -v[74:75], v[34:35], v[52:53]
	s_lshl_b32 s29, s29, 3
	s_waitcnt lgkmcnt(0)
	v_fma_f64 v[34:35], -v[76:77], v[38:39], v[34:35]
	v_mov_b32_e32 v38, s29
	s_add_i32 s29, s31, s15
	s_lshl_b32 s29, s29, 3
	ds_read2_b64 v[40:43], v40 offset1:1
	ds_read2_b64 v[44:47], v44 offset1:1
	;; [unrolled: 1-line block ×3, first 2 shown]
	v_mov_b32_e32 v38, s29
	s_add_i32 s29, s31, s17
	s_lshl_b32 s29, s29, 3
	ds_read2_b64 v[56:59], v38 offset1:1
	v_mov_b32_e32 v38, s29
	s_add_i32 s29, s31, s19
	s_lshl_b32 s29, s29, 3
	v_mov_b32_e32 v39, s29
	s_add_i32 s29, s31, s20
	global_store_dwordx4 v[72:73], v[28:31], off offset:-136
	s_lshl_b32 s29, s29, 3
	ds_read2_b64 v[64:67], v38 offset1:1
	ds_read2_b64 v[78:81], v39 offset1:1
	v_mov_b32_e32 v38, s29
	s_add_i32 s29, s31, s21
	s_waitcnt lgkmcnt(5)
	v_fma_f64 v[34:35], -v[2:3], v[42:43], v[34:35]
	s_lshl_b32 s29, s29, 3
	s_waitcnt lgkmcnt(4)
	v_fma_f64 v[34:35], -v[0:1], v[46:47], v[34:35]
	v_mov_b32_e32 v39, s29
	s_add_i32 s29, s31, s22
	s_waitcnt lgkmcnt(3)
	v_fma_f64 v[34:35], -v[6:7], v[54:55], v[34:35]
	ds_read2_b64 v[82:85], v38 offset1:1
	ds_read2_b64 v[86:89], v39 offset1:1
	s_lshl_b32 s29, s29, 3
	s_waitcnt lgkmcnt(4)
	v_fma_f64 v[34:35], -v[4:5], v[58:59], v[34:35]
	v_mov_b32_e32 v38, s29
	s_add_i32 s29, s31, s24
	s_waitcnt lgkmcnt(3)
	v_fma_f64 v[34:35], -v[10:11], v[66:67], v[34:35]
	s_lshl_b32 s29, s29, 3
	s_waitcnt lgkmcnt(2)
	v_fma_f64 v[34:35], -v[8:9], v[80:81], v[34:35]
	ds_read2_b64 v[66:69], v38 offset1:1
	v_mov_b32_e32 v38, s29
	s_add_i32 s29, s31, s23
	s_waitcnt lgkmcnt(2)
	v_fma_f64 v[34:35], -v[14:15], v[84:85], v[34:35]
	s_lshl_b32 s29, s29, 3
	s_waitcnt lgkmcnt(1)
	v_fma_f64 v[34:35], -v[12:13], v[88:89], v[34:35]
	ds_read2_b64 v[88:91], v38 offset1:1
	v_mov_b32_e32 v38, s29
	s_add_i32 s29, s31, s25
	s_lshl_b32 s29, s29, 3
	v_mov_b32_e32 v39, s29
	s_add_i32 s29, s31, s26
	v_fma_f64 v[32:33], -v[74:75], v[32:33], v[50:51]
	s_lshl_b32 s29, s29, 3
	v_fma_f64 v[32:33], -v[76:77], v[36:37], v[32:33]
	ds_read2_b64 v[92:95], v38 offset1:1
	ds_read2_b64 v[102:105], v39 offset1:1
	v_mov_b32_e32 v38, s29
	s_add_i32 s29, s31, s27
	v_fma_f64 v[32:33], -v[2:3], v[40:41], v[32:33]
	s_lshl_b32 s29, s29, 3
	v_fma_f64 v[32:33], -v[0:1], v[44:45], v[32:33]
	v_mov_b32_e32 v39, s29
	s_add_i32 s29, s31, s28
	v_fma_f64 v[32:33], -v[6:7], v[52:53], v[32:33]
	s_lshl_b32 s29, s29, 3
	s_add_i32 s30, s9, 0xfffffe24
	v_fma_f64 v[32:33], -v[4:5], v[56:57], v[32:33]
	s_waitcnt lgkmcnt(3)
	v_fma_f64 v[34:35], -v[18:19], v[68:69], v[34:35]
	ds_read2_b64 v[106:109], v38 offset1:1
	ds_read2_b64 v[110:113], v39 offset1:1
	v_mov_b32_e32 v38, s29
	s_add_i32 s29, s31, s30
	v_fma_f64 v[32:33], -v[10:11], v[64:65], v[32:33]
	s_waitcnt lgkmcnt(4)
	v_fma_f64 v[34:35], -v[16:17], v[90:91], v[34:35]
	s_lshl_b32 s29, s29, 3
	v_fma_f64 v[32:33], -v[8:9], v[78:79], v[32:33]
	s_waitcnt lgkmcnt(3)
	v_fma_f64 v[34:35], -v[22:23], v[94:95], v[34:35]
	ds_read2_b64 v[94:97], v38 offset1:1
	v_mov_b32_e32 v38, s29
	s_add_i32 s29, s9, 0xfffffe08
	v_fma_f64 v[32:33], -v[14:15], v[82:83], v[32:33]
	s_waitcnt lgkmcnt(3)
	v_fma_f64 v[34:35], -v[20:21], v[104:105], v[34:35]
	s_add_i32 s31, s31, s29
	v_fma_f64 v[32:33], -v[12:13], v[86:87], v[32:33]
	s_waitcnt lgkmcnt(2)
	v_fma_f64 v[34:35], -v[26:27], v[108:109], v[34:35]
	s_lshl_b32 s31, s31, 3
	v_fma_f64 v[32:33], -v[18:19], v[66:67], v[32:33]
	s_waitcnt lgkmcnt(1)
	v_fma_f64 v[34:35], -v[24:25], v[112:113], v[34:35]
	ds_read2_b64 v[112:115], v38 offset1:1
	v_mov_b32_e32 v38, s31
	v_fma_f64 v[32:33], -v[16:17], v[88:89], v[32:33]
	ds_read2_b64 v[116:119], v38 offset1:1
	s_add_i32 s31, s8, 0xffffeec8
	v_fma_f64 v[32:33], -v[22:23], v[92:93], v[32:33]
	v_mov_b32_e32 v38, s31
	v_fma_f64 v[32:33], -v[20:21], v[102:103], v[32:33]
	ds_read_b64 v[38:39], v38
	v_fma_f64 v[32:33], -v[26:27], v[106:107], v[32:33]
	s_waitcnt lgkmcnt(3)
	v_fma_f64 v[34:35], -v[30:31], v[96:97], v[34:35]
	v_fma_f64 v[32:33], -v[24:25], v[110:111], v[32:33]
	s_sub_i32 s34, s6, 21
	s_waitcnt lgkmcnt(2)
	v_fma_f64 v[34:35], -v[28:29], v[114:115], v[34:35]
	v_fma_f64 v[32:33], -v[30:31], v[94:95], v[32:33]
	s_add_i32 s31, s34, s9
	s_waitcnt lgkmcnt(1)
	v_mul_f64 v[34:35], v[118:119], v[34:35]
	v_fma_f64 v[32:33], -v[28:29], v[112:113], v[32:33]
	s_lshl_b32 s31, s31, 3
	v_fma_f64 v[32:33], -v[34:35], v[116:117], v[32:33]
	v_mov_b32_e32 v36, s31
	s_add_i32 s31, s34, s7
	s_waitcnt lgkmcnt(0)
	v_mul_f64 v[32:33], v[38:39], v[32:33]
	ds_read2_b64 v[36:39], v36 offset1:1
	s_lshl_b32 s31, s31, 3
	v_mov_b32_e32 v40, s31
	ds_read2_b64 v[40:43], v40 offset1:1
	s_add_i32 s31, s34, s12
	s_lshl_b32 s31, s31, 3
	v_mov_b32_e32 v44, s31
	s_add_i32 s31, s34, s13
	s_lshl_b32 s31, s31, 3
	s_waitcnt lgkmcnt(1)
	v_fma_f64 v[38:39], -v[74:75], v[38:39], v[48:49]
	v_mov_b32_e32 v48, s31
	s_add_i32 s31, s34, s14
	s_lshl_b32 s31, s31, 3
	v_mov_b32_e32 v52, s31
	s_add_i32 s31, s34, s15
	s_lshl_b32 s31, s31, 3
	v_mov_b32_e32 v56, s31
	s_add_i32 s31, s34, s17
	global_store_dwordx4 v[72:73], v[32:35], off offset:-152
	s_lshl_b32 s31, s31, 3
	ds_read2_b64 v[44:47], v44 offset1:1
	ds_read2_b64 v[48:51], v48 offset1:1
	s_waitcnt lgkmcnt(2)
	v_fma_f64 v[38:39], -v[76:77], v[42:43], v[38:39]
	v_mov_b32_e32 v42, s31
	s_add_i32 s31, s34, s19
	s_lshl_b32 s31, s31, 3
	ds_read2_b64 v[52:55], v52 offset1:1
	ds_read2_b64 v[56:59], v56 offset1:1
	ds_read2_b64 v[64:67], v42 offset1:1
	v_mov_b32_e32 v42, s31
	s_add_i32 s31, s34, s20
	s_lshl_b32 s31, s31, 3
	s_waitcnt lgkmcnt(4)
	v_fma_f64 v[38:39], -v[2:3], v[46:47], v[38:39]
	ds_read2_b64 v[78:81], v42 offset1:1
	v_mov_b32_e32 v42, s31
	s_add_i32 s31, s34, s21
	s_waitcnt lgkmcnt(4)
	v_fma_f64 v[38:39], -v[0:1], v[50:51], v[38:39]
	s_lshl_b32 s31, s31, 3
	s_waitcnt lgkmcnt(3)
	v_fma_f64 v[38:39], -v[6:7], v[54:55], v[38:39]
	v_mov_b32_e32 v43, s31
	s_add_i32 s31, s34, s22
	s_waitcnt lgkmcnt(2)
	v_fma_f64 v[38:39], -v[4:5], v[58:59], v[38:39]
	s_lshl_b32 s31, s31, 3
	s_waitcnt lgkmcnt(1)
	v_fma_f64 v[38:39], -v[10:11], v[66:67], v[38:39]
	ds_read2_b64 v[66:69], v42 offset1:1
	ds_read2_b64 v[82:85], v43 offset1:1
	v_mov_b32_e32 v42, s31
	s_add_i32 s31, s34, s24
	s_lshl_b32 s31, s31, 3
	v_mov_b32_e32 v43, s31
	ds_read2_b64 v[86:89], v42 offset1:1
	ds_read2_b64 v[90:93], v43 offset1:1
	s_waitcnt lgkmcnt(4)
	v_fma_f64 v[38:39], -v[8:9], v[80:81], v[38:39]
	s_add_i32 s31, s34, s23
	s_waitcnt lgkmcnt(3)
	v_fma_f64 v[38:39], -v[14:15], v[68:69], v[38:39]
	s_lshl_b32 s31, s31, 3
	s_waitcnt lgkmcnt(2)
	v_fma_f64 v[38:39], -v[12:13], v[84:85], v[38:39]
	v_mov_b32_e32 v42, s31
	s_add_i32 s31, s34, s25
	s_waitcnt lgkmcnt(1)
	v_fma_f64 v[38:39], -v[18:19], v[88:89], v[38:39]
	s_lshl_b32 s31, s31, 3
	s_waitcnt lgkmcnt(0)
	v_fma_f64 v[38:39], -v[16:17], v[92:93], v[38:39]
	ds_read2_b64 v[92:95], v42 offset1:1
	v_mov_b32_e32 v42, s31
	s_add_i32 s31, s34, s26
	s_lshl_b32 s31, s31, 3
	ds_read2_b64 v[102:105], v42 offset1:1
	v_mov_b32_e32 v42, s31
	s_add_i32 s31, s34, s27
	s_lshl_b32 s31, s31, 3
	v_fma_f64 v[36:37], -v[74:75], v[36:37], v[62:63]
	v_mov_b32_e32 v43, s31
	s_add_i32 s31, s34, s28
	v_fma_f64 v[36:37], -v[76:77], v[40:41], v[36:37]
	s_lshl_b32 s31, s31, 3
	v_fma_f64 v[36:37], -v[2:3], v[44:45], v[36:37]
	s_waitcnt lgkmcnt(1)
	v_fma_f64 v[38:39], -v[22:23], v[94:95], v[38:39]
	ds_read2_b64 v[94:97], v42 offset1:1
	ds_read2_b64 v[106:109], v43 offset1:1
	v_mov_b32_e32 v42, s31
	s_add_i32 s31, s34, s30
	v_fma_f64 v[36:37], -v[0:1], v[48:49], v[36:37]
	s_lshl_b32 s31, s31, 3
	v_fma_f64 v[36:37], -v[6:7], v[52:53], v[36:37]
	v_mov_b32_e32 v43, s31
	ds_read2_b64 v[110:113], v42 offset1:1
	ds_read2_b64 v[114:117], v43 offset1:1
	s_add_i32 s31, s34, s29
	v_fma_f64 v[36:37], -v[4:5], v[56:57], v[36:37]
	s_waitcnt lgkmcnt(4)
	v_fma_f64 v[38:39], -v[20:21], v[104:105], v[38:39]
	s_lshl_b32 s31, s31, 3
	v_fma_f64 v[36:37], -v[10:11], v[64:65], v[36:37]
	s_waitcnt lgkmcnt(3)
	v_fma_f64 v[38:39], -v[26:27], v[96:97], v[38:39]
	v_mov_b32_e32 v42, s31
	s_add_i32 s31, s9, 0xfffffdec
	v_fma_f64 v[36:37], -v[8:9], v[78:79], v[36:37]
	s_waitcnt lgkmcnt(2)
	v_fma_f64 v[38:39], -v[24:25], v[108:109], v[38:39]
	s_add_i32 s33, s34, s31
	v_fma_f64 v[36:37], -v[14:15], v[66:67], v[36:37]
	s_waitcnt lgkmcnt(1)
	v_fma_f64 v[38:39], -v[30:31], v[112:113], v[38:39]
	s_lshl_b32 s33, s33, 3
	v_fma_f64 v[36:37], -v[12:13], v[82:83], v[36:37]
	s_waitcnt lgkmcnt(0)
	v_fma_f64 v[38:39], -v[28:29], v[116:117], v[38:39]
	ds_read2_b64 v[116:119], v42 offset1:1
	v_mov_b32_e32 v42, s33
	s_add_i32 s33, s9, 0xfffffdd0
	v_fma_f64 v[36:37], -v[18:19], v[86:87], v[36:37]
	s_add_i32 s34, s34, s33
	v_fma_f64 v[36:37], -v[16:17], v[90:91], v[36:37]
	s_lshl_b32 s34, s34, 3
	v_fma_f64 v[36:37], -v[22:23], v[92:93], v[36:37]
	ds_read2_b64 v[120:123], v42 offset1:1
	v_mov_b32_e32 v42, s34
	v_fma_f64 v[36:37], -v[20:21], v[102:103], v[36:37]
	ds_read2_b64 v[124:127], v42 offset1:1
	s_add_i32 s34, s8, 0xffffecf8
	v_fma_f64 v[36:37], -v[26:27], v[94:95], v[36:37]
	v_mov_b32_e32 v42, s34
	v_fma_f64 v[36:37], -v[24:25], v[106:107], v[36:37]
	s_sub_i32 s34, s6, 23
	ds_read_b64 v[42:43], v42
	v_fma_f64 v[36:37], -v[30:31], v[110:111], v[36:37]
	s_add_i32 s7, s34, s7
	s_waitcnt lgkmcnt(3)
	v_fma_f64 v[38:39], -v[34:35], v[118:119], v[38:39]
	v_fma_f64 v[36:37], -v[28:29], v[114:115], v[36:37]
	s_lshl_b32 s7, s7, 3
	s_waitcnt lgkmcnt(2)
	v_fma_f64 v[38:39], -v[32:33], v[122:123], v[38:39]
	v_fma_f64 v[36:37], -v[34:35], v[116:117], v[36:37]
	s_add_i32 s9, s34, s9
	v_mov_b32_e32 v44, s7
	s_add_i32 s7, s34, s12
	s_waitcnt lgkmcnt(1)
	v_mul_f64 v[38:39], v[126:127], v[38:39]
	v_fma_f64 v[36:37], -v[32:33], v[120:121], v[36:37]
	s_lshl_b32 s9, s9, 3
	s_lshl_b32 s7, s7, 3
	v_fma_f64 v[36:37], -v[38:39], v[124:125], v[36:37]
	v_mov_b32_e32 v40, s9
	v_mov_b32_e32 v48, s7
	s_add_i32 s7, s34, s13
	s_waitcnt lgkmcnt(0)
	v_mul_f64 v[36:37], v[42:43], v[36:37]
	ds_read2_b64 v[40:43], v40 offset1:1
	ds_read2_b64 v[44:47], v44 offset1:1
	s_lshl_b32 s7, s7, 3
	v_mov_b32_e32 v52, s7
	s_add_i32 s7, s34, s14
	s_lshl_b32 s7, s7, 3
	global_store_dwordx4 v[72:73], v[36:39], off offset:-168
	v_mov_b32_e32 v56, s7
	s_add_i32 s7, s34, s15
	ds_read2_b64 v[48:51], v48 offset1:1
	ds_read2_b64 v[52:55], v52 offset1:1
	s_lshl_b32 s7, s7, 3
	s_waitcnt lgkmcnt(3)
	v_fma_f64 v[42:43], -v[74:75], v[42:43], v[60:61]
	v_mov_b32_e32 v60, s7
	ds_read2_b64 v[56:59], v56 offset1:1
	ds_read2_b64 v[60:63], v60 offset1:1
	s_waitcnt lgkmcnt(4)
	v_fma_f64 v[42:43], -v[76:77], v[46:47], v[42:43]
	s_add_i32 s7, s34, s17
	s_waitcnt lgkmcnt(3)
	v_fma_f64 v[42:43], -v[2:3], v[50:51], v[42:43]
	s_lshl_b32 s7, s7, 3
	s_waitcnt lgkmcnt(2)
	v_fma_f64 v[42:43], -v[0:1], v[54:55], v[42:43]
	v_mov_b32_e32 v46, s7
	s_add_i32 s7, s34, s19
	s_waitcnt lgkmcnt(1)
	v_fma_f64 v[42:43], -v[6:7], v[58:59], v[42:43]
	s_lshl_b32 s7, s7, 3
	s_waitcnt lgkmcnt(0)
	v_fma_f64 v[42:43], -v[4:5], v[62:63], v[42:43]
	ds_read2_b64 v[62:65], v46 offset1:1
	v_mov_b32_e32 v46, s7
	s_add_i32 s7, s34, s20
	s_lshl_b32 s7, s7, 3
	ds_read2_b64 v[66:69], v46 offset1:1
	v_mov_b32_e32 v46, s7
	s_add_i32 s7, s34, s21
	s_lshl_b32 s7, s7, 3
	v_mov_b32_e32 v47, s7
	s_add_i32 s7, s34, s22
	s_lshl_b32 s7, s7, 3
	ds_read2_b64 v[78:81], v46 offset1:1
	ds_read2_b64 v[82:85], v47 offset1:1
	v_mov_b32_e32 v46, s7
	s_add_i32 s7, s34, s24
	s_lshl_b32 s7, s7, 3
	s_waitcnt lgkmcnt(3)
	v_fma_f64 v[42:43], -v[10:11], v[64:65], v[42:43]
	v_mov_b32_e32 v47, s7
	ds_read2_b64 v[86:89], v46 offset1:1
	ds_read2_b64 v[90:93], v47 offset1:1
	s_waitcnt lgkmcnt(4)
	v_fma_f64 v[42:43], -v[8:9], v[68:69], v[42:43]
	s_add_i32 s7, s34, s23
	s_waitcnt lgkmcnt(3)
	v_fma_f64 v[42:43], -v[14:15], v[80:81], v[42:43]
	s_lshl_b32 s7, s7, 3
	s_waitcnt lgkmcnt(2)
	v_fma_f64 v[42:43], -v[12:13], v[84:85], v[42:43]
	v_mov_b32_e32 v46, s7
	s_add_i32 s7, s34, s25
	s_waitcnt lgkmcnt(1)
	v_fma_f64 v[42:43], -v[18:19], v[88:89], v[42:43]
	s_lshl_b32 s7, s7, 3
	s_waitcnt lgkmcnt(0)
	v_fma_f64 v[42:43], -v[16:17], v[92:93], v[42:43]
	ds_read2_b64 v[92:95], v46 offset1:1
	v_mov_b32_e32 v46, s7
	s_add_i32 s7, s34, s26
	s_lshl_b32 s7, s7, 3
	v_fma_f64 v[40:41], -v[74:75], v[40:41], v[70:71]
	ds_read2_b64 v[102:105], v46 offset1:1
	v_mov_b32_e32 v46, s7
	s_add_i32 s7, s34, s27
	v_fma_f64 v[40:41], -v[76:77], v[44:45], v[40:41]
	s_lshl_b32 s7, s7, 3
	v_fma_f64 v[2:3], -v[2:3], v[48:49], v[40:41]
	v_mov_b32_e32 v47, s7
	s_add_i32 s7, s34, s28
	v_fma_f64 v[0:1], -v[0:1], v[52:53], v[2:3]
	s_lshl_b32 s7, s7, 3
	v_fma_f64 v[0:1], -v[6:7], v[56:57], v[0:1]
	s_waitcnt lgkmcnt(1)
	v_fma_f64 v[42:43], -v[22:23], v[94:95], v[42:43]
	ds_read2_b64 v[94:97], v46 offset1:1
	ds_read2_b64 v[106:109], v47 offset1:1
	v_mov_b32_e32 v46, s7
	s_add_i32 s7, s34, s30
	v_fma_f64 v[0:1], -v[4:5], v[60:61], v[0:1]
	s_lshl_b32 s7, s7, 3
	v_fma_f64 v[0:1], -v[10:11], v[62:63], v[0:1]
	v_mov_b32_e32 v47, s7
	ds_read2_b64 v[110:113], v46 offset1:1
	ds_read2_b64 v[114:117], v47 offset1:1
	v_fma_f64 v[0:1], -v[8:9], v[66:67], v[0:1]
	s_waitcnt lgkmcnt(4)
	v_fma_f64 v[42:43], -v[20:21], v[104:105], v[42:43]
	s_add_i32 s7, s34, s29
	v_fma_f64 v[0:1], -v[14:15], v[78:79], v[0:1]
	s_waitcnt lgkmcnt(3)
	v_fma_f64 v[42:43], -v[26:27], v[96:97], v[42:43]
	s_lshl_b32 s7, s7, 3
	v_fma_f64 v[0:1], -v[12:13], v[82:83], v[0:1]
	s_waitcnt lgkmcnt(2)
	v_fma_f64 v[42:43], -v[24:25], v[108:109], v[42:43]
	v_mov_b32_e32 v46, s7
	s_add_i32 s7, s34, s31
	v_fma_f64 v[0:1], -v[18:19], v[86:87], v[0:1]
	s_waitcnt lgkmcnt(1)
	v_fma_f64 v[42:43], -v[30:31], v[112:113], v[42:43]
	s_lshl_b32 s7, s7, 3
	s_add_i32 s34, s34, s33
	v_fma_f64 v[0:1], -v[16:17], v[90:91], v[0:1]
	s_waitcnt lgkmcnt(0)
	v_fma_f64 v[42:43], -v[28:29], v[116:117], v[42:43]
	ds_read2_b64 v[116:119], v46 offset1:1
	v_mov_b32_e32 v46, s7
	s_lshl_b32 s7, s34, 3
	v_fma_f64 v[0:1], -v[22:23], v[92:93], v[0:1]
	ds_read2_b64 v[120:123], v46 offset1:1
	v_mov_b32_e32 v46, s7
	s_add_i32 s9, s7, 0xffffff20
	v_fma_f64 v[0:1], -v[20:21], v[102:103], v[0:1]
	ds_read2_b64 v[124:127], v46 offset1:1
	v_mov_b32_e32 v46, s9
	s_addk_i32 s7, 0xfe40
	v_fma_f64 v[0:1], -v[26:27], v[94:95], v[0:1]
	ds_read2_b64 v[128:131], v46 offset1:1
	v_mov_b32_e32 v46, s7
	v_fma_f64 v[0:1], -v[24:25], v[106:107], v[0:1]
	ds_read2_b64 v[132:135], v46 offset1:1
	s_add_i32 s7, s8, 0xffffeb28
	v_fma_f64 v[0:1], -v[30:31], v[110:111], v[0:1]
	s_waitcnt lgkmcnt(4)
	v_fma_f64 v[42:43], -v[34:35], v[118:119], v[42:43]
	v_mov_b32_e32 v46, s7
	v_fma_f64 v[0:1], -v[28:29], v[114:115], v[0:1]
	s_waitcnt lgkmcnt(3)
	v_fma_f64 v[42:43], -v[32:33], v[122:123], v[42:43]
	ds_read_b64 v[46:47], v46
	v_fma_f64 v[0:1], -v[34:35], v[116:117], v[0:1]
	s_waitcnt lgkmcnt(3)
	v_fma_f64 v[42:43], -v[38:39], v[126:127], v[42:43]
	v_fma_f64 v[0:1], -v[32:33], v[120:121], v[0:1]
	s_waitcnt lgkmcnt(2)
	v_fma_f64 v[42:43], -v[36:37], v[130:131], v[42:43]
	v_fma_f64 v[0:1], -v[38:39], v[124:125], v[0:1]
	s_waitcnt lgkmcnt(1)
	v_mul_f64 v[42:43], v[134:135], v[42:43]
	v_fma_f64 v[0:1], -v[36:37], v[128:129], v[0:1]
	v_fma_f64 v[0:1], -v[42:43], v[132:133], v[0:1]
	s_waitcnt lgkmcnt(0)
	v_mul_f64 v[40:41], v[46:47], v[0:1]
	s_sub_i32 s6, s6, 24
	global_store_dwordx4 v[72:73], v[40:43], off offset:-184
.LBB98_41:
	s_cmp_lt_i32 s6, 0
	s_cbranch_scc1 .LBB98_54
; %bb.42:
	s_bitcmp1_b32 s6, 0
	s_cselect_b64 s[8:9], -1, 0
	s_and_b64 vcc, exec, s[8:9]
	s_mov_b32 s8, s6
	s_cbranch_vccnz .LBB98_47
; %bb.43:
	s_mov_b32 s7, 0
	s_lshl_b64 s[8:9], s[6:7], 3
	v_mov_b32_e32 v1, s9
	v_add_co_u32_e32 v0, vcc, s8, v98
	v_addc_co_u32_e32 v1, vcc, v99, v1, vcc
	global_load_dwordx2 v[2:3], v[0:1], off
	s_cmp_le_i32 s18, s6
	s_waitcnt vmcnt(0)
	v_mul_f64 v[2:3], v[2:3], s[0:1]
	s_cbranch_scc1 .LBB98_46
; %bb.44:
	s_mul_i32 s7, s16, 0xe0
	s_lshl_b32 s8, s6, 3
	s_add_i32 s7, s7, s8
	s_ashr_i32 s19, s18, 31
	s_addk_i32 s7, 0xff20
	s_lshl_b64 s[8:9], s[18:19], 3
	s_add_u32 s8, s10, s8
	s_addc_u32 s9, s11, s9
	s_add_u32 s8, s8, s4
	s_addc_u32 s9, s9, s5
	;; [unrolled: 2-line block ×3, first 2 shown]
	v_mov_b32_e32 v5, s9
	v_add_co_u32_e32 v4, vcc, s8, v100
	v_addc_co_u32_e32 v5, vcc, v5, v101, vcc
	s_mov_b32 s8, s18
.LBB98_45:                              ; =>This Inner Loop Header: Depth=1
	global_load_dwordx2 v[6:7], v[4:5], off
	v_mov_b32_e32 v8, s7
	ds_read_b64 v[8:9], v8
	s_add_i32 s8, s8, -1
	s_addk_i32 s7, 0xff20
	v_add_co_u32_e32 v4, vcc, -8, v4
	v_addc_co_u32_e32 v5, vcc, -1, v5, vcc
	s_cmp_gt_i32 s8, s6
	s_waitcnt vmcnt(0) lgkmcnt(0)
	v_fma_f64 v[2:3], -v[6:7], v[8:9], v[2:3]
	s_cbranch_scc1 .LBB98_45
.LBB98_46:
	s_mul_i32 s7, s6, 0xe8
	v_mov_b32_e32 v4, s7
	ds_read_b64 v[4:5], v4
	s_add_i32 s8, s6, -1
	s_waitcnt lgkmcnt(0)
	v_mul_f64 v[2:3], v[4:5], v[2:3]
	global_store_dwordx2 v[0:1], v[2:3], off
.LBB98_47:
	s_cmp_eq_u32 s6, 0
	s_mov_b32 s9, 0
	s_cbranch_scc1 .LBB98_54
; %bb.48:
	s_mul_i32 s6, s16, 0xe0
	s_lshl_b32 s7, s8, 3
	s_add_i32 s7, s6, s7
	s_ashr_i32 s19, s18, 31
	s_add_i32 s6, s7, 0xffffff20
	s_lshl_b64 s[12:13], s[18:19], 3
	s_add_u32 s10, s10, s12
	s_addc_u32 s11, s11, s13
	s_add_u32 s4, s10, s4
	s_addc_u32 s5, s11, s5
	s_add_u32 s2, s4, s2
	s_addc_u32 s3, s5, s3
	v_mov_b32_e32 v1, s3
	v_add_co_u32_e32 v0, vcc, s2, v100
	v_addc_co_u32_e32 v1, vcc, v1, v101, vcc
	s_add_i32 s2, s7, 0xffffff18
	s_branch .LBB98_50
.LBB98_49:                              ;   in Loop: Header=BB98_50 Depth=1
	s_addk_i32 s3, 0xff18
	v_mov_b32_e32 v6, s3
	ds_read_b64 v[6:7], v6
	s_add_i32 s3, s8, -2
	s_add_i32 s6, s6, -16
	;; [unrolled: 1-line block ×3, first 2 shown]
	s_cmp_lt_i32 s8, 2
	s_waitcnt lgkmcnt(0)
	v_mul_f64 v[2:3], v[6:7], v[2:3]
	s_mov_b32 s8, s3
	global_store_dwordx2 v[4:5], v[2:3], off offset:-8
	s_cbranch_scc1 .LBB98_54
.LBB98_50:                              ; =>This Loop Header: Depth=1
                                        ;     Child Loop BB98_51 Depth 2
                                        ;     Child Loop BB98_53 Depth 2
	s_lshl_b64 s[4:5], s[8:9], 3
	v_mov_b32_e32 v3, s5
	v_add_co_u32_e32 v2, vcc, s4, v98
	v_addc_co_u32_e32 v3, vcc, v99, v3, vcc
	global_load_dwordx2 v[2:3], v[2:3], off
	v_pk_mov_b32 v[4:5], v[0:1], v[0:1] op_sel:[0,1]
	s_mov_b32 s3, s6
	s_cmp_le_i32 s18, s8
	s_mov_b32 s4, s18
	s_waitcnt vmcnt(0)
	v_mul_f64 v[2:3], v[2:3], s[0:1]
	s_cbranch_scc1 .LBB98_52
.LBB98_51:                              ;   Parent Loop BB98_50 Depth=1
                                        ; =>  This Inner Loop Header: Depth=2
	global_load_dwordx2 v[6:7], v[4:5], off
	v_mov_b32_e32 v8, s3
	ds_read_b64 v[8:9], v8
	s_add_i32 s4, s4, -1
	s_addk_i32 s3, 0xff20
	v_add_co_u32_e32 v4, vcc, -8, v4
	v_addc_co_u32_e32 v5, vcc, -1, v5, vcc
	s_cmp_gt_i32 s4, s8
	s_waitcnt vmcnt(0) lgkmcnt(0)
	v_fma_f64 v[2:3], -v[6:7], v[8:9], v[2:3]
	s_cbranch_scc1 .LBB98_51
.LBB98_52:                              ;   in Loop: Header=BB98_50 Depth=1
	s_add_i32 s4, s8, -1
	s_mov_b32 s5, s9
	s_lshl_b64 s[4:5], s[4:5], 3
	v_mov_b32_e32 v5, s5
	v_add_co_u32_e32 v4, vcc, s4, v98
	v_addc_co_u32_e32 v5, vcc, v99, v5, vcc
	global_load_dwordx2 v[8:9], v[4:5], off
	s_mul_i32 s3, s8, 0xe8
	v_mov_b32_e32 v4, s3
	ds_read_b64 v[10:11], v4
	s_ashr_i32 s11, s8, 31
	s_mov_b32 s10, s8
	s_lshl_b64 s[10:11], s[10:11], 3
	v_mov_b32_e32 v5, s11
	v_add_co_u32_e32 v4, vcc, s10, v98
	v_addc_co_u32_e32 v5, vcc, v99, v5, vcc
	s_waitcnt lgkmcnt(0)
	v_mul_f64 v[2:3], v[10:11], v[2:3]
	v_pk_mov_b32 v[6:7], v[0:1], v[0:1] op_sel:[0,1]
	s_mov_b32 s4, s2
	s_cmp_lt_i32 s18, s8
	global_store_dwordx2 v[4:5], v[2:3], off
	s_mov_b32 s5, s16
	s_waitcnt vmcnt(1)
	v_mul_f64 v[2:3], v[8:9], s[0:1]
	s_cbranch_scc1 .LBB98_49
.LBB98_53:                              ;   Parent Loop BB98_50 Depth=1
                                        ; =>  This Inner Loop Header: Depth=2
	global_load_dwordx2 v[8:9], v[6:7], off
	v_mov_b32_e32 v10, s4
	ds_read_b64 v[10:11], v10
	s_add_i32 s5, s5, -1
	s_addk_i32 s4, 0xff20
	v_add_co_u32_e32 v6, vcc, -8, v6
	v_addc_co_u32_e32 v7, vcc, -1, v7, vcc
	s_cmp_gt_i32 s5, s8
	s_waitcnt vmcnt(0) lgkmcnt(0)
	v_fma_f64 v[2:3], -v[8:9], v[10:11], v[2:3]
	s_cbranch_scc1 .LBB98_53
	s_branch .LBB98_49
.LBB98_54:
	s_endpgm
	.section	.rodata,"a",@progbits
	.p2align	6, 0x0
	.amdhsa_kernel _ZL30rocblas_trsm_small_left_deviceILi28ELi28ELb0EddPKdPdEv13rocblas_fill_18rocblas_operation_17rocblas_diagonal_iiT3_T4_lilT5_lili
		.amdhsa_group_segment_fixed_size 6272
		.amdhsa_private_segment_fixed_size 0
		.amdhsa_kernarg_size 360
		.amdhsa_user_sgpr_count 6
		.amdhsa_user_sgpr_private_segment_buffer 1
		.amdhsa_user_sgpr_dispatch_ptr 0
		.amdhsa_user_sgpr_queue_ptr 0
		.amdhsa_user_sgpr_kernarg_segment_ptr 1
		.amdhsa_user_sgpr_dispatch_id 0
		.amdhsa_user_sgpr_flat_scratch_init 0
		.amdhsa_user_sgpr_kernarg_preload_length 0
		.amdhsa_user_sgpr_kernarg_preload_offset 0
		.amdhsa_user_sgpr_private_segment_size 0
		.amdhsa_uses_dynamic_stack 0
		.amdhsa_system_sgpr_private_segment_wavefront_offset 0
		.amdhsa_system_sgpr_workgroup_id_x 1
		.amdhsa_system_sgpr_workgroup_id_y 0
		.amdhsa_system_sgpr_workgroup_id_z 1
		.amdhsa_system_sgpr_workgroup_info 0
		.amdhsa_system_vgpr_workitem_id 0
		.amdhsa_next_free_vgpr 158
		.amdhsa_next_free_sgpr 37
		.amdhsa_accum_offset 160
		.amdhsa_reserve_vcc 1
		.amdhsa_reserve_flat_scratch 0
		.amdhsa_float_round_mode_32 0
		.amdhsa_float_round_mode_16_64 0
		.amdhsa_float_denorm_mode_32 3
		.amdhsa_float_denorm_mode_16_64 3
		.amdhsa_dx10_clamp 1
		.amdhsa_ieee_mode 1
		.amdhsa_fp16_overflow 0
		.amdhsa_tg_split 0
		.amdhsa_exception_fp_ieee_invalid_op 0
		.amdhsa_exception_fp_denorm_src 0
		.amdhsa_exception_fp_ieee_div_zero 0
		.amdhsa_exception_fp_ieee_overflow 0
		.amdhsa_exception_fp_ieee_underflow 0
		.amdhsa_exception_fp_ieee_inexact 0
		.amdhsa_exception_int_div_zero 0
	.end_amdhsa_kernel
	.section	.text._ZL30rocblas_trsm_small_left_deviceILi28ELi28ELb0EddPKdPdEv13rocblas_fill_18rocblas_operation_17rocblas_diagonal_iiT3_T4_lilT5_lili,"axG",@progbits,_ZL30rocblas_trsm_small_left_deviceILi28ELi28ELb0EddPKdPdEv13rocblas_fill_18rocblas_operation_17rocblas_diagonal_iiT3_T4_lilT5_lili,comdat
.Lfunc_end98:
	.size	_ZL30rocblas_trsm_small_left_deviceILi28ELi28ELb0EddPKdPdEv13rocblas_fill_18rocblas_operation_17rocblas_diagonal_iiT3_T4_lilT5_lili, .Lfunc_end98-_ZL30rocblas_trsm_small_left_deviceILi28ELi28ELb0EddPKdPdEv13rocblas_fill_18rocblas_operation_17rocblas_diagonal_iiT3_T4_lilT5_lili
                                        ; -- End function
	.section	.AMDGPU.csdata,"",@progbits
; Kernel info:
; codeLenInByte = 29528
; NumSgprs: 41
; NumVgprs: 158
; NumAgprs: 0
; TotalNumVgprs: 158
; ScratchSize: 0
; MemoryBound: 1
; FloatMode: 240
; IeeeMode: 1
; LDSByteSize: 6272 bytes/workgroup (compile time only)
; SGPRBlocks: 5
; VGPRBlocks: 19
; NumSGPRsForWavesPerEU: 41
; NumVGPRsForWavesPerEU: 158
; AccumOffset: 160
; Occupancy: 3
; WaveLimiterHint : 1
; COMPUTE_PGM_RSRC2:SCRATCH_EN: 0
; COMPUTE_PGM_RSRC2:USER_SGPR: 6
; COMPUTE_PGM_RSRC2:TRAP_HANDLER: 0
; COMPUTE_PGM_RSRC2:TGID_X_EN: 1
; COMPUTE_PGM_RSRC2:TGID_Y_EN: 0
; COMPUTE_PGM_RSRC2:TGID_Z_EN: 1
; COMPUTE_PGM_RSRC2:TIDIG_COMP_CNT: 0
; COMPUTE_PGM_RSRC3_GFX90A:ACCUM_OFFSET: 39
; COMPUTE_PGM_RSRC3_GFX90A:TG_SPLIT: 0
	.section	.text._ZL38rocblas_trsm_small_left_device_sharedBILi28ELi28ELb1EddPKdPdEv13rocblas_fill_18rocblas_operation_17rocblas_diagonal_iiT3_T4_lilT5_lili,"axG",@progbits,_ZL38rocblas_trsm_small_left_device_sharedBILi28ELi28ELb1EddPKdPdEv13rocblas_fill_18rocblas_operation_17rocblas_diagonal_iiT3_T4_lilT5_lili,comdat
	.globl	_ZL38rocblas_trsm_small_left_device_sharedBILi28ELi28ELb1EddPKdPdEv13rocblas_fill_18rocblas_operation_17rocblas_diagonal_iiT3_T4_lilT5_lili ; -- Begin function _ZL38rocblas_trsm_small_left_device_sharedBILi28ELi28ELb1EddPKdPdEv13rocblas_fill_18rocblas_operation_17rocblas_diagonal_iiT3_T4_lilT5_lili
	.p2align	8
	.type	_ZL38rocblas_trsm_small_left_device_sharedBILi28ELi28ELb1EddPKdPdEv13rocblas_fill_18rocblas_operation_17rocblas_diagonal_iiT3_T4_lilT5_lili,@function
_ZL38rocblas_trsm_small_left_device_sharedBILi28ELi28ELb1EddPKdPdEv13rocblas_fill_18rocblas_operation_17rocblas_diagonal_iiT3_T4_lilT5_lili: ; @_ZL38rocblas_trsm_small_left_device_sharedBILi28ELi28ELb1EddPKdPdEv13rocblas_fill_18rocblas_operation_17rocblas_diagonal_iiT3_T4_lilT5_lili
; %bb.0:
	s_load_dwordx4 s[8:11], s[4:5], 0x4
	s_load_dwordx4 s[12:15], s[4:5], 0x18
	s_load_dwordx2 s[20:21], s[4:5], 0x28
	s_load_dwordx4 s[0:3], s[4:5], 0x38
	s_load_dwordx2 s[16:17], s[4:5], 0x48
	s_waitcnt lgkmcnt(0)
	s_min_i32 s30, s10, 28
	s_mov_b32 s33, 0
	s_add_i32 s31, s30, -1
	v_cmp_gt_i32_e32 vcc, s30, v0
	s_and_saveexec_b64 s[18:19], vcc
	s_cbranch_execz .LBB99_10
; %bb.1:
	s_load_dword s22, s[4:5], 0x30
	s_mul_i32 s1, s7, s1
	s_mul_hi_u32 s24, s7, s0
	s_add_i32 s1, s24, s1
	s_mul_i32 s0, s7, s0
	s_waitcnt lgkmcnt(0)
	s_ashr_i32 s23, s22, 31
	s_cmp_lt_u32 s31, 3
	s_cbranch_scc1 .LBB99_4
; %bb.2:
	s_lshl_b64 s[24:25], s[0:1], 3
	s_add_u32 s26, s14, s24
	s_addc_u32 s27, s15, s25
	s_lshl_b64 s[24:25], s[20:21], 3
	s_add_u32 s24, s26, s24
	s_addc_u32 s25, s27, s25
	v_lshlrev_b32_e32 v1, 3, v0
	v_mov_b32_e32 v3, s25
	v_add_co_u32_e32 v2, vcc, s24, v1
	s_mul_hi_i32 s36, s22, 24
	s_lshl_b64 s[24:25], s[22:23], 5
	s_lshl_b64 s[26:27], s[22:23], 4
	;; [unrolled: 1-line block ×3, first 2 shown]
	v_addc_co_u32_e32 v3, vcc, 0, v3, vcc
	s_and_b32 s33, s30, -4
	s_mul_i32 s34, s22, 24
	s_mov_b32 s35, 0
	v_mov_b32_e32 v4, s29
	v_mov_b32_e32 v5, s27
	;; [unrolled: 1-line block ×4, first 2 shown]
.LBB99_3:                               ; =>This Inner Loop Header: Depth=1
	v_add_co_u32_e32 v10, vcc, s28, v2
	v_addc_co_u32_e32 v11, vcc, v3, v4, vcc
	v_add_co_u32_e32 v12, vcc, s26, v2
	v_addc_co_u32_e32 v13, vcc, v3, v5, vcc
	v_add_co_u32_e32 v14, vcc, s34, v2
	global_load_dwordx2 v[8:9], v[2:3], off
	v_addc_co_u32_e32 v15, vcc, v3, v6, vcc
	global_load_dwordx2 v[16:17], v[10:11], off
	global_load_dwordx2 v[18:19], v[12:13], off
	global_load_dwordx2 v[20:21], v[14:15], off
	s_add_i32 s35, s35, 4
	v_add_co_u32_e32 v2, vcc, s24, v2
	v_addc_co_u32_e32 v3, vcc, v3, v7, vcc
	s_cmp_eq_u32 s33, s35
	s_waitcnt vmcnt(2)
	ds_write2_b64 v1, v[8:9], v[16:17] offset1:28
	s_waitcnt vmcnt(0)
	ds_write2_b64 v1, v[18:19], v[20:21] offset0:56 offset1:84
	v_add_u32_e32 v1, 0x380, v1
	s_cbranch_scc0 .LBB99_3
.LBB99_4:
	s_and_b32 s24, s30, 3
	s_cmp_eq_u32 s24, 0
	s_cbranch_scc1 .LBB99_7
; %bb.5:
	s_mul_i32 s25, s33, 0xe0
	v_lshl_add_u32 v1, v0, 3, s25
	s_mul_i32 s25, s23, s33
	s_mul_hi_u32 s26, s22, s33
	s_add_i32 s27, s26, s25
	s_mul_i32 s26, s22, s33
	s_lshl_b64 s[0:1], s[0:1], 3
	s_lshl_b64 s[26:27], s[26:27], 3
	s_add_u32 s25, s0, s26
	s_addc_u32 s26, s1, s27
	s_lshl_b64 s[0:1], s[20:21], 3
	s_add_u32 s0, s25, s0
	s_addc_u32 s1, s26, s1
	s_add_u32 s0, s14, s0
	v_lshlrev_b32_e32 v2, 3, v0
	s_addc_u32 s1, s15, s1
	v_mov_b32_e32 v3, s1
	v_add_co_u32_e32 v2, vcc, s0, v2
	s_lshl_b64 s[0:1], s[22:23], 3
	v_addc_co_u32_e32 v3, vcc, 0, v3, vcc
	v_mov_b32_e32 v4, s1
.LBB99_6:                               ; =>This Inner Loop Header: Depth=1
	global_load_dwordx2 v[6:7], v[2:3], off
	v_add_co_u32_e32 v2, vcc, s0, v2
	s_add_i32 s24, s24, -1
	v_addc_co_u32_e32 v3, vcc, v3, v4, vcc
	s_cmp_lg_u32 s24, 0
	s_waitcnt vmcnt(0)
	ds_write_b64 v1, v[6:7]
	v_add_u32_e32 v1, 0xe0, v1
	s_cbranch_scc1 .LBB99_6
.LBB99_7:
	v_mul_u32_u24_e32 v1, 29, v0
	v_mov_b32_e32 v2, 0
	s_cmpk_lg_i32 s9, 0x84
	v_lshlrev_b32_e32 v1, 3, v1
	v_mov_b32_e32 v3, 0x3ff00000
	s_cbranch_scc0 .LBB99_9
; %bb.8:
	ds_read_b64 v[2:3], v1
	s_waitcnt lgkmcnt(0)
	v_div_scale_f64 v[4:5], s[0:1], v[2:3], v[2:3], 1.0
	v_rcp_f64_e32 v[6:7], v[4:5]
	v_div_scale_f64 v[8:9], vcc, 1.0, v[2:3], 1.0
	v_fma_f64 v[10:11], -v[4:5], v[6:7], 1.0
	v_fmac_f64_e32 v[6:7], v[6:7], v[10:11]
	v_fma_f64 v[10:11], -v[4:5], v[6:7], 1.0
	v_fmac_f64_e32 v[6:7], v[6:7], v[10:11]
	v_mul_f64 v[10:11], v[8:9], v[6:7]
	v_fma_f64 v[4:5], -v[4:5], v[10:11], v[8:9]
	v_div_fmas_f64 v[4:5], v[4:5], v[6:7], v[10:11]
	v_div_fixup_f64 v[2:3], v[4:5], v[2:3], 1.0
.LBB99_9:
	ds_write_b64 v1, v[2:3]
.LBB99_10:
	s_or_b64 exec, exec, s[18:19]
	s_load_dword s9, s[4:5], 0x68
	s_load_dword s22, s[4:5], 0x50
	s_load_dwordx2 s[0:1], s[4:5], 0x58
	s_mov_b32 s18, 0
	s_waitcnt lgkmcnt(0)
	s_ashr_i32 s23, s22, 31
	s_mul_i32 s1, s7, s1
	s_mul_hi_u32 s4, s7, s0
	s_mul_i32 s0, s7, s0
	s_add_i32 s1, s4, s1
	s_lshl_b64 s[0:1], s[0:1], 3
	s_add_u32 s7, s2, s0
	s_addc_u32 s14, s3, s1
	s_lshl_b64 s[4:5], s[16:17], 3
	s_add_u32 s16, s7, s4
	s_mul_i32 s7, s6, 0xffffffe4
	s_addc_u32 s17, s14, s5
	s_add_i32 s9, s9, -1
	s_add_i32 s7, s7, s11
	s_cmp_ge_u32 s6, s9
	s_mul_i32 s6, s6, 28
	s_mul_hi_i32 s15, s22, s6
	s_mul_i32 s14, s22, s6
	s_cselect_b32 s9, s7, 28
	s_ashr_i32 s7, s6, 31
	s_lshl_b64 s[14:15], s[14:15], 3
	s_add_u32 s11, s16, s14
	s_addc_u32 s24, s17, s15
	s_cmp_gt_i32 s10, 0
	v_cmp_gt_i32_e32 vcc, s9, v0
	s_cselect_b64 s[14:15], -1, 0
	s_and_b64 s[14:15], vcc, s[14:15]
	s_and_saveexec_b64 s[16:17], s[14:15]
	s_cbranch_execz .LBB99_17
; %bb.11:
	s_cmp_lt_i32 s10, 8
	s_cbranch_scc1 .LBB99_14
; %bb.12:
	v_mad_i64_i32 v[2:3], s[18:19], s22, v0, 0
	v_lshlrev_b64 v[2:3], 3, v[2:3]
	v_mov_b32_e32 v4, s24
	v_add_co_u32_e32 v1, vcc, s11, v2
	v_addc_co_u32_e32 v2, vcc, v4, v3, vcc
	v_mov_b32_e32 v3, 0x1880
	s_lshl_b32 s9, s30, 3
	v_lshl_add_u32 v3, v0, 3, v3
	s_and_b32 s9, s9, 0xc0
	s_mov_b32 s18, 0
	s_mov_b64 s[20:21], 0
.LBB99_13:                              ; =>This Inner Loop Header: Depth=1
	v_mov_b32_e32 v4, s21
	v_add_co_u32_e32 v20, vcc, s20, v1
	v_addc_co_u32_e32 v21, vcc, v2, v4, vcc
	global_load_dwordx4 v[4:7], v[20:21], off
	global_load_dwordx4 v[8:11], v[20:21], off offset:16
	global_load_dwordx4 v[12:15], v[20:21], off offset:32
	;; [unrolled: 1-line block ×3, first 2 shown]
	s_add_i32 s18, s18, 8
	s_add_u32 s20, s20, 64
	s_addc_u32 s21, s21, 0
	s_cmp_lg_u32 s9, s20
	s_waitcnt vmcnt(3)
	v_mul_f64 v[4:5], v[4:5], s[12:13]
	v_mul_f64 v[6:7], v[6:7], s[12:13]
	s_waitcnt vmcnt(2)
	v_mul_f64 v[8:9], v[8:9], s[12:13]
	v_mul_f64 v[10:11], v[10:11], s[12:13]
	;; [unrolled: 3-line block ×4, first 2 shown]
	ds_write2_b64 v3, v[4:5], v[6:7] offset1:28
	ds_write2_b64 v3, v[8:9], v[10:11] offset0:56 offset1:84
	ds_write2_b64 v3, v[12:13], v[14:15] offset0:112 offset1:140
	;; [unrolled: 1-line block ×3, first 2 shown]
	v_add_u32_e32 v3, 0x700, v3
	s_cbranch_scc1 .LBB99_13
.LBB99_14:
	s_and_b32 s9, s30, 7
	s_cmp_eq_u32 s9, 0
	s_mov_b32 s19, 0
	s_cbranch_scc1 .LBB99_17
; %bb.15:
	s_mul_i32 s20, s18, 0xe0
	v_lshl_add_u32 v1, v0, 3, s20
	s_lshl_b64 s[20:21], s[6:7], 3
	s_lshl_b64 s[18:19], s[18:19], 3
	s_add_u32 s18, s2, s18
	s_addc_u32 s19, s3, s19
	s_add_u32 s18, s18, s4
	s_addc_u32 s19, s19, s5
	v_lshlrev_b32_e32 v2, 3, v0
	s_add_u32 s18, s18, s0
	v_mov_b32_e32 v3, s21
	v_add_co_u32_e32 v4, vcc, s20, v2
	s_addc_u32 s19, s19, s1
	v_addc_co_u32_e32 v5, vcc, 0, v3, vcc
	v_pk_mov_b32 v[2:3], s[18:19], s[18:19] op_sel:[0,1]
	v_mad_u64_u32 v[2:3], s[18:19], v4, s22, v[2:3]
	v_mul_lo_u32 v4, v4, s23
	v_mul_lo_u32 v5, v5, s22
	v_add_u32_e32 v1, 0x1880, v1
	v_add3_u32 v3, v5, v3, v4
.LBB99_16:                              ; =>This Inner Loop Header: Depth=1
	global_load_dwordx2 v[4:5], v[2:3], off
	v_add_co_u32_e32 v2, vcc, 8, v2
	s_add_i32 s9, s9, -1
	v_addc_co_u32_e32 v3, vcc, 0, v3, vcc
	s_cmp_lg_u32 s9, 0
	s_waitcnt vmcnt(0)
	v_mul_f64 v[4:5], v[4:5], s[12:13]
	ds_write_b64 v1, v[4:5]
	v_add_u32_e32 v1, 0xe0, v1
	s_cbranch_scc1 .LBB99_16
.LBB99_17:
	s_or_b64 exec, exec, s[16:17]
	s_cmpk_eq_i32 s8, 0x6f
	s_mov_b64 s[8:9], -1
	s_waitcnt lgkmcnt(0)
	; wave barrier
	s_waitcnt lgkmcnt(0)
	s_cbranch_scc1 .LBB99_40
; %bb.18:
	s_cmp_gt_i32 s10, 27
	s_mov_b32 s8, s31
	s_cbranch_scc0 .LBB99_20
; %bb.19:
	s_mul_i32 s8, s31, 28
	s_mul_i32 s42, s30, 28
	v_add_lshl_u32 v1, s8, v0, 3
	s_sub_i32 s8, s42, 56
	s_add_i32 s45, s42, 0xffffff74
	s_add_i32 s38, s42, 0xffffff04
	;; [unrolled: 1-line block ×6, first 2 shown]
	s_mul_i32 s37, s31, 0xe8
	v_add_lshl_u32 v75, s8, v0, 3
	s_add_i32 s43, s42, 0xffffffac
	s_add_i32 s44, s42, 0xffffff90
	v_add_lshl_u32 v86, s45, v0, 3
	s_add_i32 s41, s42, 0xffffff58
	s_add_i32 s40, s42, 0xffffff3c
	s_add_i32 s39, s42, 0xffffff20
	v_add_lshl_u32 v93, s38, v0, 3
	s_add_i32 s36, s42, 0xfffffee8
	;; [unrolled: 4-line block ×6, first 2 shown]
	s_add_i32 s9, s42, 0xfffffd0c
	s_add_i32 s8, s42, 0xfffffcf0
	v_mov_b32_e32 v6, s37
	v_add_lshl_u32 v84, s43, v0, 3
	v_add_lshl_u32 v85, s44, v0, 3
	ds_read_b64 v[4:5], v1 offset:6272
	ds_read_b64 v[14:15], v75 offset:6272
	ds_read_b64 v[76:77], v84 offset:6272
	ds_read_b64 v[80:81], v85 offset:6272
	v_add_lshl_u32 v90, s41, v0, 3
	v_add_lshl_u32 v91, s40, v0, 3
	v_add_lshl_u32 v92, s39, v0, 3
	ds_read_b64 v[82:83], v86 offset:6272
	ds_read_b64 v[88:89], v90 offset:6272
	ds_read_b64 v[16:17], v91 offset:6272
	ds_read_b64 v[20:21], v92 offset:6272
	v_add_lshl_u32 v94, s36, v0, 3
	;; [unrolled: 7-line block ×6, first 2 shown]
	v_add_lshl_u32 v58, s9, v0, 3
	v_add_lshl_u32 v1, s8, v0, 3
	ds_read_b64 v[32:33], v60 offset:6272
	ds_read_b64 v[26:27], v59 offset:6272
	;; [unrolled: 1-line block ×4, first 2 shown]
	ds_read_b64 v[10:11], v6
	s_sub_i32 s42, s42, 28
	s_add_i32 s46, s37, 0xffffff18
	s_add_i32 s43, s43, s31
	v_mov_b32_e32 v6, s46
	s_waitcnt lgkmcnt(0)
	v_mul_f64 v[4:5], v[10:11], v[4:5]
	v_add_lshl_u32 v10, s42, v0, 3
	s_lshl_b32 s42, s43, 3
	ds_read2_b64 v[6:9], v6 offset1:1
	ds_write_b64 v10, v[4:5] offset:6272
	v_mov_b32_e32 v10, s42
	s_add_i32 s42, s37, 0xfffffe30
	v_mov_b32_e32 v11, s42
	ds_read_b64 v[78:79], v10
	ds_read2_b64 v[10:13], v11 offset1:1
	s_waitcnt lgkmcnt(3)
	v_fma_f64 v[8:9], -v[4:5], v[8:9], v[14:15]
	s_add_i32 s44, s44, s31
	v_mul_f64 v[6:7], v[6:7], v[8:9]
	s_waitcnt lgkmcnt(1)
	v_fma_f64 v[8:9], -v[4:5], v[78:79], v[76:77]
	s_lshl_b32 s42, s44, 3
	s_waitcnt lgkmcnt(0)
	v_fma_f64 v[8:9], -v[6:7], v[12:13], v[8:9]
	s_add_i32 s42, s42, -8
	v_mul_f64 v[8:9], v[10:11], v[8:9]
	v_mov_b32_e32 v10, s42
	ds_read2_b64 v[10:13], v10 offset1:1
	s_add_i32 s42, s37, 0xfffffd48
	v_mov_b32_e32 v14, s42
	ds_read2_b64 v[76:79], v14 offset1:1
	s_add_i32 s45, s45, s31
	s_waitcnt lgkmcnt(1)
	v_fma_f64 v[12:13], -v[4:5], v[12:13], v[80:81]
	s_lshl_b32 s42, s45, 3
	v_fma_f64 v[10:11], -v[6:7], v[10:11], v[12:13]
	v_mov_b32_e32 v12, s42
	s_add_i32 s42, s42, -16
	ds_write_b64 v75, v[6:7] offset:6272
	ds_write_b64 v84, v[8:9] offset:6272
	v_mov_b32_e32 v13, s42
	ds_read_b64 v[80:81], v12
	ds_read2_b64 v[12:15], v13 offset1:1
	s_waitcnt lgkmcnt(4)
	v_fma_f64 v[10:11], -v[8:9], v[78:79], v[10:11]
	v_mul_f64 v[10:11], v[76:77], v[10:11]
	s_add_i32 s42, s37, 0xfffffc60
	s_waitcnt lgkmcnt(1)
	v_fma_f64 v[76:77], -v[4:5], v[80:81], v[82:83]
	s_waitcnt lgkmcnt(0)
	v_fma_f64 v[14:15], -v[6:7], v[14:15], v[76:77]
	v_fma_f64 v[80:81], -v[8:9], v[12:13], v[14:15]
	v_mov_b32_e32 v12, s42
	ds_read2_b64 v[12:15], v12 offset1:1
	s_add_i32 s41, s41, s31
	s_lshl_b32 s41, s41, 3
	s_add_i32 s42, s41, -8
	v_mov_b32_e32 v75, s42
	ds_read2_b64 v[76:79], v75 offset1:1
	s_waitcnt lgkmcnt(1)
	v_fma_f64 v[14:15], -v[10:11], v[14:15], v[80:81]
	s_sub_i32 s41, s41, 24
	v_mul_f64 v[12:13], v[12:13], v[14:15]
	v_mov_b32_e32 v14, s41
	s_add_i32 s41, s37, 0xfffffb78
	ds_read2_b64 v[80:83], v14 offset1:1
	v_mov_b32_e32 v14, s41
	ds_write_b64 v85, v[10:11] offset:6272
	ds_write_b64 v86, v[12:13] offset:6272
	ds_read2_b64 v[84:87], v14 offset1:1
	s_waitcnt lgkmcnt(4)
	v_fma_f64 v[14:15], -v[4:5], v[78:79], v[88:89]
	v_fma_f64 v[14:15], -v[6:7], v[76:77], v[14:15]
	s_waitcnt lgkmcnt(3)
	v_fma_f64 v[14:15], -v[8:9], v[82:83], v[14:15]
	s_add_i32 s40, s40, s31
	v_fma_f64 v[14:15], -v[10:11], v[80:81], v[14:15]
	s_lshl_b32 s40, s40, 3
	s_waitcnt lgkmcnt(0)
	v_fma_f64 v[14:15], -v[12:13], v[86:87], v[14:15]
	s_add_i32 s41, s40, -8
	v_mul_f64 v[14:15], v[84:85], v[14:15]
	v_mov_b32_e32 v75, s41
	s_sub_i32 s41, s40, 24
	ds_write_b64 v90, v[14:15] offset:6272
	v_mov_b32_e32 v80, s41
	ds_read2_b64 v[76:79], v75 offset1:1
	ds_read2_b64 v[80:83], v80 offset1:1
	s_sub_i32 s40, s40, 40
	v_mov_b32_e32 v75, s40
	s_add_i32 s39, s39, s31
	s_waitcnt lgkmcnt(1)
	v_fma_f64 v[16:17], -v[4:5], v[78:79], v[16:17]
	ds_read2_b64 v[84:87], v75 offset1:1
	v_fma_f64 v[16:17], -v[6:7], v[76:77], v[16:17]
	s_add_i32 s40, s37, 0xfffffa90
	s_lshl_b32 s39, s39, 3
	s_waitcnt lgkmcnt(1)
	v_fma_f64 v[16:17], -v[8:9], v[82:83], v[16:17]
	v_mov_b32_e32 v75, s40
	s_add_i32 s40, s39, -16
	v_fma_f64 v[16:17], -v[10:11], v[80:81], v[16:17]
	ds_read_b64 v[80:81], v75
	v_mov_b32_e32 v75, s39
	v_mov_b32_e32 v76, s40
	ds_read_b64 v[82:83], v75
	ds_read2_b64 v[76:79], v76 offset1:1
	s_waitcnt lgkmcnt(3)
	v_fma_f64 v[16:17], -v[12:13], v[86:87], v[16:17]
	v_fma_f64 v[16:17], -v[14:15], v[84:85], v[16:17]
	s_waitcnt lgkmcnt(2)
	v_mul_f64 v[16:17], v[80:81], v[16:17]
	s_waitcnt lgkmcnt(1)
	v_fma_f64 v[20:21], -v[4:5], v[82:83], v[20:21]
	s_sub_i32 s40, s39, 32
	s_sub_i32 s39, s39, 48
	ds_write_b64 v91, v[16:17] offset:6272
	s_waitcnt lgkmcnt(1)
	v_fma_f64 v[20:21], -v[6:7], v[78:79], v[20:21]
	v_mov_b32_e32 v75, s40
	v_mov_b32_e32 v80, s39
	v_fma_f64 v[20:21], -v[8:9], v[76:77], v[20:21]
	ds_read2_b64 v[76:79], v75 offset1:1
	ds_read2_b64 v[80:83], v80 offset1:1
	s_add_i32 s38, s38, s31
	s_add_i32 s39, s37, 0xfffff9a8
	s_lshl_b32 s38, s38, 3
	v_mov_b32_e32 v75, s39
	s_add_i32 s39, s38, -8
	ds_read_b64 v[84:85], v75
	s_waitcnt lgkmcnt(2)
	v_fma_f64 v[20:21], -v[10:11], v[78:79], v[20:21]
	v_mov_b32_e32 v75, s39
	v_fma_f64 v[20:21], -v[12:13], v[76:77], v[20:21]
	ds_read2_b64 v[76:79], v75 offset1:1
	s_sub_i32 s39, s38, 24
	s_waitcnt lgkmcnt(2)
	v_fma_f64 v[20:21], -v[14:15], v[82:83], v[20:21]
	v_mov_b32_e32 v75, s39
	v_fma_f64 v[20:21], -v[16:17], v[80:81], v[20:21]
	ds_read2_b64 v[80:83], v75 offset1:1
	s_sub_i32 s39, s38, 40
	;; [unrolled: 6-line block ×3, first 2 shown]
	v_mov_b32_e32 v75, s38
	s_waitcnt lgkmcnt(1)
	v_fma_f64 v[22:23], -v[8:9], v[82:83], v[22:23]
	s_add_i32 s36, s36, s31
	v_mul_f64 v[20:21], v[84:85], v[20:21]
	ds_read2_b64 v[84:87], v75 offset1:1
	v_fma_f64 v[22:23], -v[10:11], v[80:81], v[22:23]
	s_add_i32 s38, s37, 0xfffff8c0
	s_lshl_b32 s36, s36, 3
	s_waitcnt lgkmcnt(1)
	v_fma_f64 v[22:23], -v[12:13], v[78:79], v[22:23]
	v_mov_b32_e32 v75, s38
	s_add_i32 s38, s36, -16
	ds_write_b64 v92, v[20:21] offset:6272
	v_fma_f64 v[22:23], -v[14:15], v[76:77], v[22:23]
	ds_read_b64 v[80:81], v75
	v_mov_b32_e32 v75, s36
	v_mov_b32_e32 v76, s38
	ds_read_b64 v[82:83], v75
	ds_read2_b64 v[76:79], v76 offset1:1
	s_waitcnt lgkmcnt(4)
	v_fma_f64 v[22:23], -v[16:17], v[86:87], v[22:23]
	v_fma_f64 v[22:23], -v[20:21], v[84:85], v[22:23]
	s_sub_i32 s38, s36, 32
	s_waitcnt lgkmcnt(2)
	v_mul_f64 v[22:23], v[80:81], v[22:23]
	s_waitcnt lgkmcnt(1)
	v_fma_f64 v[24:25], -v[4:5], v[82:83], v[24:25]
	v_mov_b32_e32 v75, s38
	s_sub_i32 s38, s36, 48
	ds_write_b64 v93, v[22:23] offset:6272
	s_waitcnt lgkmcnt(1)
	v_fma_f64 v[24:25], -v[6:7], v[78:79], v[24:25]
	v_mov_b32_e32 v80, s38
	v_fma_f64 v[24:25], -v[8:9], v[76:77], v[24:25]
	ds_read2_b64 v[76:79], v75 offset1:1
	ds_read2_b64 v[80:83], v80 offset1:1
	s_sub_i32 s36, s36, 64
	s_add_i32 s12, s12, s31
	v_mov_b32_e32 v75, s36
	s_waitcnt lgkmcnt(1)
	v_fma_f64 v[24:25], -v[10:11], v[78:79], v[24:25]
	v_fma_f64 v[24:25], -v[12:13], v[76:77], v[24:25]
	s_add_i32 s36, s37, 0xfffff7d8
	s_lshl_b32 s12, s12, 3
	ds_read2_b64 v[84:87], v75 offset1:1
	s_waitcnt lgkmcnt(1)
	v_fma_f64 v[24:25], -v[14:15], v[82:83], v[24:25]
	v_mov_b32_e32 v75, s36
	s_add_i32 s36, s12, -16
	v_fma_f64 v[24:25], -v[16:17], v[80:81], v[24:25]
	ds_read_b64 v[80:81], v75
	v_mov_b32_e32 v75, s12
	v_mov_b32_e32 v76, s36
	ds_read_b64 v[82:83], v75
	ds_read2_b64 v[76:79], v76 offset1:1
	s_waitcnt lgkmcnt(3)
	v_fma_f64 v[24:25], -v[20:21], v[86:87], v[24:25]
	s_sub_i32 s36, s12, 32
	v_fma_f64 v[24:25], -v[22:23], v[84:85], v[24:25]
	s_waitcnt lgkmcnt(1)
	v_fma_f64 v[28:29], -v[4:5], v[82:83], v[28:29]
	v_mov_b32_e32 v75, s36
	v_mul_f64 v[24:25], v[80:81], v[24:25]
	s_waitcnt lgkmcnt(0)
	v_fma_f64 v[28:29], -v[6:7], v[78:79], v[28:29]
	ds_read2_b64 v[78:81], v75 offset1:1
	s_sub_i32 s36, s12, 48
	v_mov_b32_e32 v75, s36
	v_fma_f64 v[28:29], -v[8:9], v[76:77], v[28:29]
	ds_read2_b64 v[82:85], v75 offset1:1
	s_sub_i32 s12, s12, 64
	s_waitcnt lgkmcnt(1)
	v_fma_f64 v[28:29], -v[10:11], v[80:81], v[28:29]
	v_mov_b32_e32 v75, s12
	s_mul_i32 s12, s30, 0xe8
	v_fma_f64 v[28:29], -v[12:13], v[78:79], v[28:29]
	s_add_i32 s36, s12, 0xfffff608
	ds_read2_b64 v[76:79], v75 offset1:1
	v_mov_b32_e32 v75, s36
	ds_read2_b64 v[86:89], v75 offset1:1
	s_add_i32 s35, s35, s31
	s_waitcnt lgkmcnt(2)
	v_fma_f64 v[28:29], -v[14:15], v[84:85], v[28:29]
	s_lshl_b32 s35, s35, 3
	v_fma_f64 v[28:29], -v[16:17], v[82:83], v[28:29]
	s_add_i32 s36, s35, -8
	s_waitcnt lgkmcnt(1)
	v_fma_f64 v[28:29], -v[20:21], v[78:79], v[28:29]
	v_mov_b32_e32 v75, s36
	v_fma_f64 v[28:29], -v[22:23], v[76:77], v[28:29]
	ds_read2_b64 v[76:79], v75 offset1:1
	s_waitcnt lgkmcnt(1)
	v_fma_f64 v[28:29], -v[24:25], v[88:89], v[28:29]
	v_mul_f64 v[28:29], v[86:87], v[28:29]
	s_sub_i32 s36, s35, 24
	ds_write_b64 v94, v[24:25] offset:6272
	ds_write_b64 v74, v[28:29] offset:6272
	v_mov_b32_e32 v74, s36
	ds_read2_b64 v[80:83], v74 offset1:1
	s_sub_i32 s36, s35, 40
	s_waitcnt lgkmcnt(3)
	v_fma_f64 v[30:31], -v[4:5], v[78:79], v[30:31]
	v_mov_b32_e32 v74, s36
	v_fma_f64 v[30:31], -v[6:7], v[76:77], v[30:31]
	ds_read2_b64 v[74:77], v74 offset1:1
	s_sub_i32 s36, s35, 56
	s_waitcnt lgkmcnt(1)
	v_fma_f64 v[30:31], -v[8:9], v[82:83], v[30:31]
	v_mov_b32_e32 v78, s36
	ds_read2_b64 v[84:87], v78 offset1:1
	v_fma_f64 v[30:31], -v[10:11], v[80:81], v[30:31]
	s_waitcnt lgkmcnt(1)
	v_fma_f64 v[30:31], -v[12:13], v[76:77], v[30:31]
	s_addk_i32 s35, 0xffb8
	v_fma_f64 v[30:31], -v[14:15], v[74:75], v[30:31]
	v_mov_b32_e32 v74, s35
	ds_read2_b64 v[74:77], v74 offset1:1
	s_add_i32 s35, s12, 0xfffff520
	s_waitcnt lgkmcnt(1)
	v_fma_f64 v[30:31], -v[16:17], v[86:87], v[30:31]
	v_mov_b32_e32 v78, s35
	ds_read2_b64 v[78:81], v78 offset1:1
	s_add_i32 s34, s34, s31
	v_fma_f64 v[30:31], -v[20:21], v[84:85], v[30:31]
	s_lshl_b32 s34, s34, 3
	s_waitcnt lgkmcnt(1)
	v_fma_f64 v[30:31], -v[22:23], v[76:77], v[30:31]
	s_add_i32 s35, s34, -16
	v_fma_f64 v[30:31], -v[24:25], v[74:75], v[30:31]
	v_mov_b32_e32 v74, s34
	v_mov_b32_e32 v75, s35
	ds_read_b64 v[82:83], v74
	ds_read2_b64 v[74:77], v75 offset1:1
	s_waitcnt lgkmcnt(2)
	v_fma_f64 v[30:31], -v[28:29], v[80:81], v[30:31]
	v_mul_f64 v[30:31], v[78:79], v[30:31]
	s_sub_i32 s35, s34, 32
	ds_write_b64 v73, v[30:31] offset:6272
	s_waitcnt lgkmcnt(2)
	v_fma_f64 v[34:35], -v[4:5], v[82:83], v[34:35]
	v_mov_b32_e32 v73, s35
	s_waitcnt lgkmcnt(1)
	v_fma_f64 v[34:35], -v[6:7], v[76:77], v[34:35]
	ds_read2_b64 v[76:79], v73 offset1:1
	s_sub_i32 s35, s34, 48
	v_mov_b32_e32 v73, s35
	v_fma_f64 v[34:35], -v[8:9], v[74:75], v[34:35]
	ds_read2_b64 v[80:83], v73 offset1:1
	s_sub_i32 s35, s34, 64
	s_waitcnt lgkmcnt(1)
	v_fma_f64 v[34:35], -v[10:11], v[78:79], v[34:35]
	v_mov_b32_e32 v73, s35
	v_fma_f64 v[34:35], -v[12:13], v[76:77], v[34:35]
	ds_read2_b64 v[74:77], v73 offset1:1
	s_addk_i32 s34, 0xffb0
	v_mov_b32_e32 v73, s34
	s_waitcnt lgkmcnt(1)
	v_fma_f64 v[34:35], -v[14:15], v[82:83], v[34:35]
	ds_read2_b64 v[84:87], v73 offset1:1
	v_fma_f64 v[34:35], -v[16:17], v[80:81], v[34:35]
	s_add_i32 s34, s12, 0xfffff438
	s_waitcnt lgkmcnt(1)
	v_fma_f64 v[34:35], -v[20:21], v[76:77], v[34:35]
	v_mov_b32_e32 v73, s34
	v_fma_f64 v[34:35], -v[22:23], v[74:75], v[34:35]
	ds_read2_b64 v[74:77], v73 offset1:1
	s_add_i32 s33, s33, s31
	s_waitcnt lgkmcnt(1)
	v_fma_f64 v[34:35], -v[24:25], v[86:87], v[34:35]
	s_lshl_b32 s33, s33, 3
	v_fma_f64 v[34:35], -v[28:29], v[84:85], v[34:35]
	s_add_i32 s34, s33, -8
	v_mov_b32_e32 v73, s34
	s_waitcnt lgkmcnt(0)
	v_fma_f64 v[34:35], -v[30:31], v[76:77], v[34:35]
	ds_read2_b64 v[78:81], v73 offset1:1
	v_mul_f64 v[34:35], v[74:75], v[34:35]
	s_sub_i32 s34, s33, 24
	ds_write_b64 v72, v[34:35] offset:6272
	v_mov_b32_e32 v72, s34
	ds_read2_b64 v[72:75], v72 offset1:1
	s_sub_i32 s34, s33, 40
	s_waitcnt lgkmcnt(2)
	v_fma_f64 v[36:37], -v[4:5], v[80:81], v[36:37]
	v_mov_b32_e32 v76, s34
	ds_read2_b64 v[82:85], v76 offset1:1
	v_fma_f64 v[36:37], -v[6:7], v[78:79], v[36:37]
	s_waitcnt lgkmcnt(1)
	v_fma_f64 v[36:37], -v[8:9], v[74:75], v[36:37]
	s_sub_i32 s34, s33, 56
	v_fma_f64 v[36:37], -v[10:11], v[72:73], v[36:37]
	v_mov_b32_e32 v72, s34
	ds_read2_b64 v[72:75], v72 offset1:1
	s_waitcnt lgkmcnt(1)
	v_fma_f64 v[36:37], -v[12:13], v[84:85], v[36:37]
	s_add_i32 s34, s33, 0xffffffb8
	v_fma_f64 v[36:37], -v[14:15], v[82:83], v[36:37]
	v_mov_b32_e32 v76, s34
	ds_read2_b64 v[76:79], v76 offset1:1
	s_waitcnt lgkmcnt(1)
	v_fma_f64 v[36:37], -v[16:17], v[74:75], v[36:37]
	s_addk_i32 s33, 0xffa8
	v_fma_f64 v[36:37], -v[20:21], v[72:73], v[36:37]
	v_mov_b32_e32 v72, s33
	s_add_i32 s33, s12, 0xfffff350
	ds_read2_b64 v[72:75], v72 offset1:1
	v_mov_b32_e32 v80, s33
	ds_read2_b64 v[80:83], v80 offset1:1
	s_waitcnt lgkmcnt(2)
	v_fma_f64 v[36:37], -v[22:23], v[78:79], v[36:37]
	v_fma_f64 v[36:37], -v[24:25], v[76:77], v[36:37]
	s_add_i32 s29, s29, s31
	s_waitcnt lgkmcnt(1)
	v_fma_f64 v[36:37], -v[28:29], v[74:75], v[36:37]
	s_lshl_b32 s29, s29, 3
	v_fma_f64 v[36:37], -v[30:31], v[72:73], v[36:37]
	v_mov_b32_e32 v72, s29
	s_waitcnt lgkmcnt(0)
	v_fma_f64 v[36:37], -v[34:35], v[82:83], v[36:37]
	ds_read_b64 v[76:77], v72
	v_mul_f64 v[36:37], v[80:81], v[36:37]
	s_add_i32 s33, s29, -16
	ds_write_b64 v71, v[36:37] offset:6272
	v_mov_b32_e32 v71, s33
	ds_read2_b64 v[72:75], v71 offset1:1
	s_sub_i32 s33, s29, 32
	v_mov_b32_e32 v71, s33
	s_waitcnt lgkmcnt(2)
	v_fma_f64 v[40:41], -v[4:5], v[76:77], v[40:41]
	s_sub_i32 s33, s29, 48
	ds_read2_b64 v[76:79], v71 offset1:1
	v_mov_b32_e32 v71, s33
	ds_read2_b64 v[80:83], v71 offset1:1
	s_sub_i32 s33, s29, 64
	s_waitcnt lgkmcnt(2)
	v_fma_f64 v[40:41], -v[6:7], v[74:75], v[40:41]
	v_mov_b32_e32 v71, s33
	v_fma_f64 v[40:41], -v[8:9], v[72:73], v[40:41]
	ds_read2_b64 v[72:75], v71 offset1:1
	s_waitcnt lgkmcnt(2)
	v_fma_f64 v[40:41], -v[10:11], v[78:79], v[40:41]
	v_fma_f64 v[40:41], -v[12:13], v[76:77], v[40:41]
	s_add_i32 s33, s29, 0xffffffb0
	s_waitcnt lgkmcnt(1)
	v_fma_f64 v[40:41], -v[14:15], v[82:83], v[40:41]
	v_mov_b32_e32 v71, s33
	v_fma_f64 v[40:41], -v[16:17], v[80:81], v[40:41]
	ds_read2_b64 v[76:79], v71 offset1:1
	s_addk_i32 s29, 0xffa0
	s_waitcnt lgkmcnt(1)
	v_fma_f64 v[40:41], -v[20:21], v[74:75], v[40:41]
	v_mov_b32_e32 v71, s29
	v_fma_f64 v[40:41], -v[22:23], v[72:73], v[40:41]
	s_add_i32 s29, s12, 0xfffff268
	ds_read2_b64 v[72:75], v71 offset1:1
	v_mov_b32_e32 v71, s29
	ds_read2_b64 v[80:83], v71 offset1:1
	s_add_i32 s28, s28, s31
	s_waitcnt lgkmcnt(2)
	v_fma_f64 v[40:41], -v[24:25], v[78:79], v[40:41]
	s_lshl_b32 s28, s28, 3
	v_fma_f64 v[40:41], -v[28:29], v[76:77], v[40:41]
	s_add_i32 s29, s28, -8
	s_waitcnt lgkmcnt(1)
	v_fma_f64 v[40:41], -v[30:31], v[74:75], v[40:41]
	v_mov_b32_e32 v71, s29
	v_fma_f64 v[40:41], -v[34:35], v[72:73], v[40:41]
	ds_read2_b64 v[72:75], v71 offset1:1
	s_waitcnt lgkmcnt(1)
	v_fma_f64 v[40:41], -v[36:37], v[82:83], v[40:41]
	v_mul_f64 v[40:41], v[80:81], v[40:41]
	s_sub_i32 s29, s28, 24
	ds_write_b64 v70, v[40:41] offset:6272
	v_mov_b32_e32 v70, s29
	ds_read2_b64 v[76:79], v70 offset1:1
	s_sub_i32 s29, s28, 40
	s_waitcnt lgkmcnt(2)
	v_fma_f64 v[42:43], -v[4:5], v[74:75], v[42:43]
	v_mov_b32_e32 v70, s29
	v_fma_f64 v[42:43], -v[6:7], v[72:73], v[42:43]
	ds_read2_b64 v[70:73], v70 offset1:1
	s_sub_i32 s29, s28, 56
	s_waitcnt lgkmcnt(1)
	v_fma_f64 v[42:43], -v[8:9], v[78:79], v[42:43]
	v_mov_b32_e32 v74, s29
	ds_read2_b64 v[80:83], v74 offset1:1
	v_fma_f64 v[42:43], -v[10:11], v[76:77], v[42:43]
	s_waitcnt lgkmcnt(1)
	v_fma_f64 v[42:43], -v[12:13], v[72:73], v[42:43]
	s_add_i32 s29, s28, 0xffffffb8
	v_fma_f64 v[42:43], -v[14:15], v[70:71], v[42:43]
	v_mov_b32_e32 v70, s29
	ds_read2_b64 v[70:73], v70 offset1:1
	s_waitcnt lgkmcnt(1)
	v_fma_f64 v[42:43], -v[16:17], v[82:83], v[42:43]
	s_add_i32 s29, s28, 0xffffffa8
	v_fma_f64 v[42:43], -v[20:21], v[80:81], v[42:43]
	v_mov_b32_e32 v74, s29
	ds_read2_b64 v[74:77], v74 offset1:1
	s_waitcnt lgkmcnt(1)
	v_fma_f64 v[42:43], -v[22:23], v[72:73], v[42:43]
	s_addk_i32 s28, 0xff98
	v_fma_f64 v[42:43], -v[24:25], v[70:71], v[42:43]
	v_mov_b32_e32 v70, s28
	s_add_i32 s28, s12, 0xfffff180
	ds_read2_b64 v[70:73], v70 offset1:1
	v_mov_b32_e32 v78, s28
	ds_read2_b64 v[78:81], v78 offset1:1
	s_waitcnt lgkmcnt(2)
	v_fma_f64 v[42:43], -v[28:29], v[76:77], v[42:43]
	v_fma_f64 v[42:43], -v[30:31], v[74:75], v[42:43]
	s_add_i32 s27, s27, s31
	s_waitcnt lgkmcnt(1)
	v_fma_f64 v[42:43], -v[34:35], v[72:73], v[42:43]
	s_lshl_b32 s27, s27, 3
	v_fma_f64 v[42:43], -v[36:37], v[70:71], v[42:43]
	v_mov_b32_e32 v70, s27
	s_waitcnt lgkmcnt(0)
	v_fma_f64 v[42:43], -v[40:41], v[80:81], v[42:43]
	ds_read_b64 v[74:75], v70
	v_mul_f64 v[42:43], v[78:79], v[42:43]
	s_add_i32 s28, s27, -16
	ds_write_b64 v69, v[42:43] offset:6272
	v_mov_b32_e32 v69, s28
	ds_read2_b64 v[70:73], v69 offset1:1
	s_sub_i32 s28, s27, 32
	v_mov_b32_e32 v69, s28
	s_waitcnt lgkmcnt(2)
	v_fma_f64 v[46:47], -v[4:5], v[74:75], v[46:47]
	s_sub_i32 s28, s27, 48
	ds_read2_b64 v[74:77], v69 offset1:1
	v_mov_b32_e32 v69, s28
	ds_read2_b64 v[78:81], v69 offset1:1
	s_sub_i32 s28, s27, 64
	s_waitcnt lgkmcnt(2)
	v_fma_f64 v[46:47], -v[6:7], v[72:73], v[46:47]
	v_mov_b32_e32 v69, s28
	v_fma_f64 v[46:47], -v[8:9], v[70:71], v[46:47]
	ds_read2_b64 v[70:73], v69 offset1:1
	s_waitcnt lgkmcnt(2)
	v_fma_f64 v[46:47], -v[10:11], v[76:77], v[46:47]
	v_fma_f64 v[46:47], -v[12:13], v[74:75], v[46:47]
	s_add_i32 s28, s27, 0xffffffb0
	s_waitcnt lgkmcnt(1)
	v_fma_f64 v[46:47], -v[14:15], v[80:81], v[46:47]
	v_mov_b32_e32 v69, s28
	v_fma_f64 v[46:47], -v[16:17], v[78:79], v[46:47]
	ds_read2_b64 v[74:77], v69 offset1:1
	s_add_i32 s28, s27, 0xffffffa0
	s_waitcnt lgkmcnt(1)
	v_fma_f64 v[46:47], -v[20:21], v[72:73], v[46:47]
	v_mov_b32_e32 v69, s28
	v_fma_f64 v[46:47], -v[22:23], v[70:71], v[46:47]
	ds_read2_b64 v[70:73], v69 offset1:1
	s_addk_i32 s27, 0xff90
	v_mov_b32_e32 v69, s27
	s_waitcnt lgkmcnt(1)
	v_fma_f64 v[46:47], -v[24:25], v[76:77], v[46:47]
	ds_read2_b64 v[78:81], v69 offset1:1
	v_fma_f64 v[46:47], -v[28:29], v[74:75], v[46:47]
	s_add_i32 s27, s12, 0xfffff098
	s_waitcnt lgkmcnt(1)
	v_fma_f64 v[46:47], -v[30:31], v[72:73], v[46:47]
	v_mov_b32_e32 v69, s27
	v_fma_f64 v[46:47], -v[34:35], v[70:71], v[46:47]
	ds_read2_b64 v[70:73], v69 offset1:1
	s_add_i32 s26, s26, s31
	s_waitcnt lgkmcnt(1)
	v_fma_f64 v[46:47], -v[36:37], v[80:81], v[46:47]
	s_lshl_b32 s26, s26, 3
	v_fma_f64 v[46:47], -v[40:41], v[78:79], v[46:47]
	s_add_i32 s27, s26, -8
	v_mov_b32_e32 v69, s27
	s_waitcnt lgkmcnt(0)
	v_fma_f64 v[46:47], -v[42:43], v[72:73], v[46:47]
	ds_read2_b64 v[74:77], v69 offset1:1
	v_mul_f64 v[46:47], v[70:71], v[46:47]
	s_sub_i32 s27, s26, 24
	ds_write_b64 v68, v[46:47] offset:6272
	v_mov_b32_e32 v68, s27
	ds_read2_b64 v[68:71], v68 offset1:1
	s_sub_i32 s27, s26, 40
	s_waitcnt lgkmcnt(2)
	v_fma_f64 v[50:51], -v[4:5], v[76:77], v[50:51]
	v_mov_b32_e32 v72, s27
	ds_read2_b64 v[78:81], v72 offset1:1
	v_fma_f64 v[50:51], -v[6:7], v[74:75], v[50:51]
	s_waitcnt lgkmcnt(1)
	v_fma_f64 v[50:51], -v[8:9], v[70:71], v[50:51]
	s_sub_i32 s27, s26, 56
	v_fma_f64 v[50:51], -v[10:11], v[68:69], v[50:51]
	v_mov_b32_e32 v68, s27
	ds_read2_b64 v[68:71], v68 offset1:1
	s_waitcnt lgkmcnt(1)
	v_fma_f64 v[50:51], -v[12:13], v[80:81], v[50:51]
	s_add_i32 s27, s26, 0xffffffb8
	v_fma_f64 v[50:51], -v[14:15], v[78:79], v[50:51]
	v_mov_b32_e32 v72, s27
	ds_read2_b64 v[72:75], v72 offset1:1
	s_waitcnt lgkmcnt(1)
	v_fma_f64 v[50:51], -v[16:17], v[70:71], v[50:51]
	s_add_i32 s27, s26, 0xffffffa8
	v_fma_f64 v[50:51], -v[20:21], v[68:69], v[50:51]
	v_mov_b32_e32 v68, s27
	ds_read2_b64 v[68:71], v68 offset1:1
	s_add_i32 s27, s26, 0xffffff98
	s_waitcnt lgkmcnt(1)
	v_fma_f64 v[50:51], -v[22:23], v[74:75], v[50:51]
	v_mov_b32_e32 v76, s27
	ds_read2_b64 v[76:79], v76 offset1:1
	v_fma_f64 v[50:51], -v[24:25], v[72:73], v[50:51]
	s_waitcnt lgkmcnt(1)
	v_fma_f64 v[50:51], -v[28:29], v[70:71], v[50:51]
	s_addk_i32 s26, 0xff88
	v_fma_f64 v[50:51], -v[30:31], v[68:69], v[50:51]
	v_mov_b32_e32 v68, s26
	ds_read2_b64 v[68:71], v68 offset1:1
	s_add_i32 s26, s12, 0xffffefb0
	s_waitcnt lgkmcnt(1)
	v_fma_f64 v[50:51], -v[34:35], v[78:79], v[50:51]
	v_mov_b32_e32 v72, s26
	ds_read2_b64 v[72:75], v72 offset1:1
	s_add_i32 s25, s25, s31
	v_fma_f64 v[50:51], -v[36:37], v[76:77], v[50:51]
	s_lshl_b32 s25, s25, 3
	s_waitcnt lgkmcnt(1)
	v_fma_f64 v[50:51], -v[40:41], v[70:71], v[50:51]
	s_add_i32 s26, s25, -16
	v_fma_f64 v[50:51], -v[42:43], v[68:69], v[50:51]
	v_mov_b32_e32 v68, s25
	v_mov_b32_e32 v69, s26
	ds_read_b64 v[76:77], v68
	ds_read2_b64 v[68:71], v69 offset1:1
	s_waitcnt lgkmcnt(2)
	v_fma_f64 v[50:51], -v[46:47], v[74:75], v[50:51]
	v_mul_f64 v[50:51], v[72:73], v[50:51]
	s_sub_i32 s26, s25, 32
	ds_write_b64 v67, v[50:51] offset:6272
	s_waitcnt lgkmcnt(2)
	v_fma_f64 v[54:55], -v[4:5], v[76:77], v[54:55]
	v_mov_b32_e32 v67, s26
	s_waitcnt lgkmcnt(1)
	v_fma_f64 v[54:55], -v[6:7], v[70:71], v[54:55]
	ds_read2_b64 v[70:73], v67 offset1:1
	s_sub_i32 s26, s25, 48
	v_mov_b32_e32 v67, s26
	v_fma_f64 v[54:55], -v[8:9], v[68:69], v[54:55]
	ds_read2_b64 v[74:77], v67 offset1:1
	s_sub_i32 s26, s25, 64
	s_waitcnt lgkmcnt(1)
	v_fma_f64 v[54:55], -v[10:11], v[72:73], v[54:55]
	v_mov_b32_e32 v67, s26
	v_fma_f64 v[54:55], -v[12:13], v[70:71], v[54:55]
	ds_read2_b64 v[68:71], v67 offset1:1
	s_add_i32 s26, s25, 0xffffffb0
	v_mov_b32_e32 v67, s26
	s_waitcnt lgkmcnt(1)
	v_fma_f64 v[54:55], -v[14:15], v[76:77], v[54:55]
	ds_read2_b64 v[78:81], v67 offset1:1
	v_fma_f64 v[54:55], -v[16:17], v[74:75], v[54:55]
	s_add_i32 s26, s25, 0xffffffa0
	s_waitcnt lgkmcnt(1)
	v_fma_f64 v[54:55], -v[20:21], v[70:71], v[54:55]
	v_mov_b32_e32 v67, s26
	v_fma_f64 v[54:55], -v[22:23], v[68:69], v[54:55]
	ds_read2_b64 v[68:71], v67 offset1:1
	s_add_i32 s26, s25, 0xffffff90
	s_waitcnt lgkmcnt(1)
	v_fma_f64 v[54:55], -v[24:25], v[80:81], v[54:55]
	v_mov_b32_e32 v67, s26
	v_fma_f64 v[54:55], -v[28:29], v[78:79], v[54:55]
	ds_read2_b64 v[72:75], v67 offset1:1
	s_addk_i32 s25, 0xff80
	s_waitcnt lgkmcnt(1)
	v_fma_f64 v[54:55], -v[30:31], v[70:71], v[54:55]
	v_mov_b32_e32 v67, s25
	v_fma_f64 v[54:55], -v[34:35], v[68:69], v[54:55]
	s_add_i32 s25, s12, 0xffffeec8
	ds_read2_b64 v[68:71], v67 offset1:1
	v_mov_b32_e32 v67, s25
	ds_read2_b64 v[76:79], v67 offset1:1
	s_add_i32 s21, s21, s31
	s_waitcnt lgkmcnt(2)
	v_fma_f64 v[54:55], -v[36:37], v[74:75], v[54:55]
	s_lshl_b32 s21, s21, 3
	v_fma_f64 v[54:55], -v[40:41], v[72:73], v[54:55]
	s_add_i32 s25, s21, -8
	s_waitcnt lgkmcnt(1)
	v_fma_f64 v[54:55], -v[42:43], v[70:71], v[54:55]
	v_mov_b32_e32 v67, s25
	v_fma_f64 v[54:55], -v[46:47], v[68:69], v[54:55]
	ds_read2_b64 v[68:71], v67 offset1:1
	s_waitcnt lgkmcnt(1)
	v_fma_f64 v[54:55], -v[50:51], v[78:79], v[54:55]
	v_mul_f64 v[54:55], v[76:77], v[54:55]
	s_sub_i32 s25, s21, 24
	ds_write_b64 v66, v[54:55] offset:6272
	v_mov_b32_e32 v66, s25
	ds_read2_b64 v[72:75], v66 offset1:1
	s_sub_i32 s25, s21, 40
	s_waitcnt lgkmcnt(2)
	v_fma_f64 v[56:57], -v[4:5], v[70:71], v[56:57]
	v_mov_b32_e32 v66, s25
	v_fma_f64 v[56:57], -v[6:7], v[68:69], v[56:57]
	ds_read2_b64 v[66:69], v66 offset1:1
	s_sub_i32 s25, s21, 56
	s_waitcnt lgkmcnt(1)
	v_fma_f64 v[56:57], -v[8:9], v[74:75], v[56:57]
	v_mov_b32_e32 v70, s25
	ds_read2_b64 v[76:79], v70 offset1:1
	v_fma_f64 v[56:57], -v[10:11], v[72:73], v[56:57]
	s_waitcnt lgkmcnt(1)
	v_fma_f64 v[56:57], -v[12:13], v[68:69], v[56:57]
	s_add_i32 s25, s21, 0xffffffb8
	v_fma_f64 v[56:57], -v[14:15], v[66:67], v[56:57]
	v_mov_b32_e32 v66, s25
	ds_read2_b64 v[66:69], v66 offset1:1
	s_waitcnt lgkmcnt(1)
	v_fma_f64 v[56:57], -v[16:17], v[78:79], v[56:57]
	s_add_i32 s25, s21, 0xffffffa8
	v_fma_f64 v[56:57], -v[20:21], v[76:77], v[56:57]
	v_mov_b32_e32 v70, s25
	ds_read2_b64 v[70:73], v70 offset1:1
	;; [unrolled: 6-line block ×3, first 2 shown]
	s_add_i32 s25, s21, 0xffffff88
	s_waitcnt lgkmcnt(1)
	v_fma_f64 v[56:57], -v[28:29], v[72:73], v[56:57]
	v_mov_b32_e32 v74, s25
	ds_read2_b64 v[74:77], v74 offset1:1
	v_fma_f64 v[56:57], -v[30:31], v[70:71], v[56:57]
	s_waitcnt lgkmcnt(1)
	v_fma_f64 v[56:57], -v[34:35], v[68:69], v[56:57]
	s_addk_i32 s21, 0xff78
	v_fma_f64 v[56:57], -v[36:37], v[66:67], v[56:57]
	v_mov_b32_e32 v66, s21
	ds_read2_b64 v[66:69], v66 offset1:1
	s_add_i32 s21, s12, 0xffffede0
	s_waitcnt lgkmcnt(1)
	v_fma_f64 v[56:57], -v[40:41], v[76:77], v[56:57]
	v_mov_b32_e32 v70, s21
	ds_read2_b64 v[70:73], v70 offset1:1
	s_add_i32 s20, s20, s31
	v_fma_f64 v[56:57], -v[42:43], v[74:75], v[56:57]
	s_lshl_b32 s20, s20, 3
	s_waitcnt lgkmcnt(1)
	v_fma_f64 v[56:57], -v[46:47], v[68:69], v[56:57]
	s_add_i32 s21, s20, -16
	v_fma_f64 v[56:57], -v[50:51], v[66:67], v[56:57]
	v_mov_b32_e32 v66, s20
	v_mov_b32_e32 v67, s21
	ds_read_b64 v[74:75], v66
	ds_read2_b64 v[66:69], v67 offset1:1
	s_waitcnt lgkmcnt(2)
	v_fma_f64 v[56:57], -v[54:55], v[72:73], v[56:57]
	v_mul_f64 v[56:57], v[70:71], v[56:57]
	s_sub_i32 s21, s20, 32
	ds_write_b64 v65, v[56:57] offset:6272
	s_waitcnt lgkmcnt(2)
	v_fma_f64 v[52:53], -v[4:5], v[74:75], v[52:53]
	v_mov_b32_e32 v65, s21
	s_waitcnt lgkmcnt(1)
	v_fma_f64 v[52:53], -v[6:7], v[68:69], v[52:53]
	ds_read2_b64 v[68:71], v65 offset1:1
	s_sub_i32 s21, s20, 48
	v_mov_b32_e32 v65, s21
	v_fma_f64 v[52:53], -v[8:9], v[66:67], v[52:53]
	ds_read2_b64 v[72:75], v65 offset1:1
	s_sub_i32 s21, s20, 64
	s_waitcnt lgkmcnt(1)
	v_fma_f64 v[52:53], -v[10:11], v[70:71], v[52:53]
	v_mov_b32_e32 v65, s21
	v_fma_f64 v[52:53], -v[12:13], v[68:69], v[52:53]
	ds_read2_b64 v[66:69], v65 offset1:1
	s_add_i32 s21, s20, 0xffffffb0
	v_mov_b32_e32 v65, s21
	s_waitcnt lgkmcnt(1)
	v_fma_f64 v[52:53], -v[14:15], v[74:75], v[52:53]
	ds_read2_b64 v[76:79], v65 offset1:1
	v_fma_f64 v[52:53], -v[16:17], v[72:73], v[52:53]
	s_add_i32 s21, s20, 0xffffffa0
	s_waitcnt lgkmcnt(1)
	v_fma_f64 v[52:53], -v[20:21], v[68:69], v[52:53]
	v_mov_b32_e32 v65, s21
	v_fma_f64 v[52:53], -v[22:23], v[66:67], v[52:53]
	ds_read2_b64 v[66:69], v65 offset1:1
	s_add_i32 s21, s20, 0xffffff90
	s_waitcnt lgkmcnt(1)
	v_fma_f64 v[52:53], -v[24:25], v[78:79], v[52:53]
	v_mov_b32_e32 v65, s21
	v_fma_f64 v[52:53], -v[28:29], v[76:77], v[52:53]
	ds_read2_b64 v[70:73], v65 offset1:1
	;; [unrolled: 6-line block ×3, first 2 shown]
	s_addk_i32 s20, 0xff70
	v_mov_b32_e32 v65, s20
	s_waitcnt lgkmcnt(1)
	v_fma_f64 v[52:53], -v[36:37], v[72:73], v[52:53]
	ds_read2_b64 v[74:77], v65 offset1:1
	v_fma_f64 v[52:53], -v[40:41], v[70:71], v[52:53]
	s_add_i32 s20, s12, 0xffffecf8
	s_waitcnt lgkmcnt(1)
	v_fma_f64 v[52:53], -v[42:43], v[68:69], v[52:53]
	v_mov_b32_e32 v65, s20
	v_fma_f64 v[52:53], -v[46:47], v[66:67], v[52:53]
	ds_read2_b64 v[66:69], v65 offset1:1
	s_add_i32 s19, s19, s31
	s_waitcnt lgkmcnt(1)
	v_fma_f64 v[52:53], -v[50:51], v[76:77], v[52:53]
	s_lshl_b32 s19, s19, 3
	v_fma_f64 v[52:53], -v[54:55], v[74:75], v[52:53]
	s_add_i32 s20, s19, -8
	v_mov_b32_e32 v65, s20
	s_waitcnt lgkmcnt(0)
	v_fma_f64 v[52:53], -v[56:57], v[68:69], v[52:53]
	ds_read2_b64 v[70:73], v65 offset1:1
	v_mul_f64 v[52:53], v[66:67], v[52:53]
	s_sub_i32 s20, s19, 24
	ds_write_b64 v64, v[52:53] offset:6272
	v_mov_b32_e32 v64, s20
	ds_read2_b64 v[64:67], v64 offset1:1
	s_sub_i32 s20, s19, 40
	s_waitcnt lgkmcnt(2)
	v_fma_f64 v[48:49], -v[4:5], v[72:73], v[48:49]
	v_mov_b32_e32 v68, s20
	ds_read2_b64 v[74:77], v68 offset1:1
	v_fma_f64 v[48:49], -v[6:7], v[70:71], v[48:49]
	s_waitcnt lgkmcnt(1)
	v_fma_f64 v[48:49], -v[8:9], v[66:67], v[48:49]
	s_sub_i32 s20, s19, 56
	v_fma_f64 v[48:49], -v[10:11], v[64:65], v[48:49]
	v_mov_b32_e32 v64, s20
	ds_read2_b64 v[64:67], v64 offset1:1
	s_waitcnt lgkmcnt(1)
	v_fma_f64 v[48:49], -v[12:13], v[76:77], v[48:49]
	s_add_i32 s20, s19, 0xffffffb8
	v_fma_f64 v[48:49], -v[14:15], v[74:75], v[48:49]
	v_mov_b32_e32 v68, s20
	ds_read2_b64 v[68:71], v68 offset1:1
	s_waitcnt lgkmcnt(1)
	v_fma_f64 v[48:49], -v[16:17], v[66:67], v[48:49]
	s_add_i32 s20, s19, 0xffffffa8
	v_fma_f64 v[48:49], -v[20:21], v[64:65], v[48:49]
	v_mov_b32_e32 v64, s20
	ds_read2_b64 v[64:67], v64 offset1:1
	s_add_i32 s20, s19, 0xffffff98
	s_waitcnt lgkmcnt(1)
	v_fma_f64 v[48:49], -v[22:23], v[70:71], v[48:49]
	v_mov_b32_e32 v72, s20
	ds_read2_b64 v[72:75], v72 offset1:1
	v_fma_f64 v[48:49], -v[24:25], v[68:69], v[48:49]
	s_waitcnt lgkmcnt(1)
	v_fma_f64 v[48:49], -v[28:29], v[66:67], v[48:49]
	s_add_i32 s20, s19, 0xffffff88
	v_fma_f64 v[48:49], -v[30:31], v[64:65], v[48:49]
	v_mov_b32_e32 v64, s20
	ds_read2_b64 v[64:67], v64 offset1:1
	s_waitcnt lgkmcnt(1)
	v_fma_f64 v[48:49], -v[34:35], v[74:75], v[48:49]
	s_add_i32 s20, s19, 0xffffff78
	v_fma_f64 v[48:49], -v[36:37], v[72:73], v[48:49]
	v_mov_b32_e32 v68, s20
	ds_read2_b64 v[68:71], v68 offset1:1
	s_waitcnt lgkmcnt(1)
	v_fma_f64 v[48:49], -v[40:41], v[66:67], v[48:49]
	s_addk_i32 s19, 0xff68
	v_fma_f64 v[48:49], -v[42:43], v[64:65], v[48:49]
	v_mov_b32_e32 v64, s19
	s_add_i32 s19, s12, 0xffffec10
	ds_read2_b64 v[64:67], v64 offset1:1
	v_mov_b32_e32 v72, s19
	ds_read2_b64 v[72:75], v72 offset1:1
	s_waitcnt lgkmcnt(2)
	v_fma_f64 v[48:49], -v[46:47], v[70:71], v[48:49]
	v_fma_f64 v[48:49], -v[50:51], v[68:69], v[48:49]
	s_add_i32 s18, s18, s31
	s_waitcnt lgkmcnt(1)
	v_fma_f64 v[48:49], -v[54:55], v[66:67], v[48:49]
	s_lshl_b32 s18, s18, 3
	v_fma_f64 v[48:49], -v[56:57], v[64:65], v[48:49]
	v_mov_b32_e32 v64, s18
	s_waitcnt lgkmcnt(0)
	v_fma_f64 v[48:49], -v[52:53], v[74:75], v[48:49]
	ds_read_b64 v[68:69], v64
	v_mul_f64 v[48:49], v[72:73], v[48:49]
	s_add_i32 s19, s18, -16
	ds_write_b64 v63, v[48:49] offset:6272
	v_mov_b32_e32 v63, s19
	ds_read2_b64 v[64:67], v63 offset1:1
	s_sub_i32 s19, s18, 32
	v_mov_b32_e32 v63, s19
	s_waitcnt lgkmcnt(2)
	v_fma_f64 v[44:45], -v[4:5], v[68:69], v[44:45]
	s_sub_i32 s19, s18, 48
	ds_read2_b64 v[68:71], v63 offset1:1
	v_mov_b32_e32 v63, s19
	ds_read2_b64 v[72:75], v63 offset1:1
	s_sub_i32 s19, s18, 64
	s_waitcnt lgkmcnt(2)
	v_fma_f64 v[44:45], -v[6:7], v[66:67], v[44:45]
	v_mov_b32_e32 v63, s19
	v_fma_f64 v[44:45], -v[8:9], v[64:65], v[44:45]
	ds_read2_b64 v[64:67], v63 offset1:1
	s_waitcnt lgkmcnt(2)
	v_fma_f64 v[44:45], -v[10:11], v[70:71], v[44:45]
	v_fma_f64 v[44:45], -v[12:13], v[68:69], v[44:45]
	s_add_i32 s19, s18, 0xffffffb0
	s_waitcnt lgkmcnt(1)
	v_fma_f64 v[44:45], -v[14:15], v[74:75], v[44:45]
	v_mov_b32_e32 v63, s19
	v_fma_f64 v[44:45], -v[16:17], v[72:73], v[44:45]
	ds_read2_b64 v[68:71], v63 offset1:1
	s_add_i32 s19, s18, 0xffffffa0
	s_waitcnt lgkmcnt(1)
	v_fma_f64 v[44:45], -v[20:21], v[66:67], v[44:45]
	v_mov_b32_e32 v63, s19
	v_fma_f64 v[44:45], -v[22:23], v[64:65], v[44:45]
	ds_read2_b64 v[64:67], v63 offset1:1
	s_add_i32 s19, s18, 0xffffff90
	v_mov_b32_e32 v63, s19
	s_waitcnt lgkmcnt(1)
	v_fma_f64 v[44:45], -v[24:25], v[70:71], v[44:45]
	ds_read2_b64 v[72:75], v63 offset1:1
	v_fma_f64 v[44:45], -v[28:29], v[68:69], v[44:45]
	s_add_i32 s19, s18, 0xffffff80
	s_waitcnt lgkmcnt(1)
	v_fma_f64 v[44:45], -v[30:31], v[66:67], v[44:45]
	v_mov_b32_e32 v63, s19
	v_fma_f64 v[44:45], -v[34:35], v[64:65], v[44:45]
	ds_read2_b64 v[64:67], v63 offset1:1
	s_add_i32 s19, s18, 0xffffff70
	s_waitcnt lgkmcnt(1)
	v_fma_f64 v[44:45], -v[36:37], v[74:75], v[44:45]
	v_mov_b32_e32 v63, s19
	v_fma_f64 v[44:45], -v[40:41], v[72:73], v[44:45]
	ds_read2_b64 v[68:71], v63 offset1:1
	s_addk_i32 s18, 0xff60
	s_waitcnt lgkmcnt(1)
	v_fma_f64 v[44:45], -v[42:43], v[66:67], v[44:45]
	v_mov_b32_e32 v63, s18
	v_fma_f64 v[44:45], -v[46:47], v[64:65], v[44:45]
	s_add_i32 s18, s12, 0xffffeb28
	ds_read2_b64 v[64:67], v63 offset1:1
	v_mov_b32_e32 v63, s18
	ds_read2_b64 v[72:75], v63 offset1:1
	s_add_i32 s17, s17, s31
	s_waitcnt lgkmcnt(2)
	v_fma_f64 v[44:45], -v[50:51], v[70:71], v[44:45]
	s_lshl_b32 s17, s17, 3
	v_fma_f64 v[44:45], -v[54:55], v[68:69], v[44:45]
	s_add_i32 s18, s17, -8
	s_waitcnt lgkmcnt(1)
	v_fma_f64 v[44:45], -v[56:57], v[66:67], v[44:45]
	v_mov_b32_e32 v63, s18
	v_fma_f64 v[44:45], -v[52:53], v[64:65], v[44:45]
	ds_read2_b64 v[64:67], v63 offset1:1
	s_waitcnt lgkmcnt(1)
	v_fma_f64 v[44:45], -v[48:49], v[74:75], v[44:45]
	v_mul_f64 v[44:45], v[72:73], v[44:45]
	s_sub_i32 s18, s17, 24
	ds_write_b64 v62, v[44:45] offset:6272
	v_mov_b32_e32 v62, s18
	ds_read2_b64 v[68:71], v62 offset1:1
	s_sub_i32 s18, s17, 40
	s_waitcnt lgkmcnt(2)
	v_fma_f64 v[38:39], -v[4:5], v[66:67], v[38:39]
	v_mov_b32_e32 v62, s18
	v_fma_f64 v[38:39], -v[6:7], v[64:65], v[38:39]
	ds_read2_b64 v[62:65], v62 offset1:1
	s_sub_i32 s18, s17, 56
	s_waitcnt lgkmcnt(1)
	v_fma_f64 v[38:39], -v[8:9], v[70:71], v[38:39]
	v_mov_b32_e32 v66, s18
	ds_read2_b64 v[72:75], v66 offset1:1
	v_fma_f64 v[38:39], -v[10:11], v[68:69], v[38:39]
	s_waitcnt lgkmcnt(1)
	v_fma_f64 v[38:39], -v[12:13], v[64:65], v[38:39]
	s_add_i32 s18, s17, 0xffffffb8
	v_fma_f64 v[38:39], -v[14:15], v[62:63], v[38:39]
	v_mov_b32_e32 v62, s18
	ds_read2_b64 v[62:65], v62 offset1:1
	s_waitcnt lgkmcnt(1)
	v_fma_f64 v[38:39], -v[16:17], v[74:75], v[38:39]
	s_add_i32 s18, s17, 0xffffffa8
	v_fma_f64 v[38:39], -v[20:21], v[72:73], v[38:39]
	v_mov_b32_e32 v66, s18
	ds_read2_b64 v[66:69], v66 offset1:1
	;; [unrolled: 6-line block ×3, first 2 shown]
	s_add_i32 s18, s17, 0xffffff88
	s_waitcnt lgkmcnt(1)
	v_fma_f64 v[38:39], -v[28:29], v[68:69], v[38:39]
	v_mov_b32_e32 v70, s18
	ds_read2_b64 v[70:73], v70 offset1:1
	v_fma_f64 v[38:39], -v[30:31], v[66:67], v[38:39]
	s_waitcnt lgkmcnt(1)
	v_fma_f64 v[38:39], -v[34:35], v[64:65], v[38:39]
	s_add_i32 s18, s17, 0xffffff78
	v_fma_f64 v[38:39], -v[36:37], v[62:63], v[38:39]
	v_mov_b32_e32 v62, s18
	ds_read2_b64 v[62:65], v62 offset1:1
	s_waitcnt lgkmcnt(1)
	v_fma_f64 v[38:39], -v[40:41], v[72:73], v[38:39]
	s_add_i32 s18, s17, 0xffffff68
	v_fma_f64 v[38:39], -v[42:43], v[70:71], v[38:39]
	v_mov_b32_e32 v66, s18
	ds_read2_b64 v[66:69], v66 offset1:1
	s_waitcnt lgkmcnt(1)
	v_fma_f64 v[38:39], -v[46:47], v[64:65], v[38:39]
	s_addk_i32 s17, 0xff58
	v_fma_f64 v[38:39], -v[50:51], v[62:63], v[38:39]
	v_mov_b32_e32 v62, s17
	s_add_i32 s17, s12, 0xffffea40
	ds_read2_b64 v[62:65], v62 offset1:1
	v_mov_b32_e32 v70, s17
	ds_read2_b64 v[70:73], v70 offset1:1
	s_waitcnt lgkmcnt(2)
	v_fma_f64 v[38:39], -v[54:55], v[68:69], v[38:39]
	v_fma_f64 v[38:39], -v[56:57], v[66:67], v[38:39]
	s_add_i32 s16, s16, s31
	s_waitcnt lgkmcnt(1)
	v_fma_f64 v[38:39], -v[52:53], v[64:65], v[38:39]
	s_lshl_b32 s16, s16, 3
	v_fma_f64 v[38:39], -v[48:49], v[62:63], v[38:39]
	v_mov_b32_e32 v62, s16
	s_waitcnt lgkmcnt(0)
	v_fma_f64 v[38:39], -v[44:45], v[72:73], v[38:39]
	ds_read_b64 v[66:67], v62
	v_mul_f64 v[38:39], v[70:71], v[38:39]
	s_add_i32 s17, s16, -16
	ds_write_b64 v61, v[38:39] offset:6272
	v_mov_b32_e32 v61, s17
	ds_read2_b64 v[62:65], v61 offset1:1
	s_sub_i32 s17, s16, 32
	v_mov_b32_e32 v61, s17
	s_waitcnt lgkmcnt(2)
	v_fma_f64 v[32:33], -v[4:5], v[66:67], v[32:33]
	s_sub_i32 s17, s16, 48
	ds_read2_b64 v[66:69], v61 offset1:1
	v_mov_b32_e32 v61, s17
	ds_read2_b64 v[70:73], v61 offset1:1
	s_sub_i32 s17, s16, 64
	s_waitcnt lgkmcnt(2)
	v_fma_f64 v[32:33], -v[6:7], v[64:65], v[32:33]
	v_mov_b32_e32 v61, s17
	v_fma_f64 v[32:33], -v[8:9], v[62:63], v[32:33]
	ds_read2_b64 v[62:65], v61 offset1:1
	s_waitcnt lgkmcnt(2)
	v_fma_f64 v[32:33], -v[10:11], v[68:69], v[32:33]
	v_fma_f64 v[32:33], -v[12:13], v[66:67], v[32:33]
	s_add_i32 s17, s16, 0xffffffb0
	s_waitcnt lgkmcnt(1)
	v_fma_f64 v[32:33], -v[14:15], v[72:73], v[32:33]
	v_mov_b32_e32 v61, s17
	v_fma_f64 v[32:33], -v[16:17], v[70:71], v[32:33]
	ds_read2_b64 v[66:69], v61 offset1:1
	s_add_i32 s17, s16, 0xffffffa0
	s_waitcnt lgkmcnt(1)
	v_fma_f64 v[32:33], -v[20:21], v[64:65], v[32:33]
	v_mov_b32_e32 v61, s17
	v_fma_f64 v[32:33], -v[22:23], v[62:63], v[32:33]
	ds_read2_b64 v[62:65], v61 offset1:1
	s_add_i32 s17, s16, 0xffffff90
	v_mov_b32_e32 v61, s17
	s_waitcnt lgkmcnt(1)
	v_fma_f64 v[32:33], -v[24:25], v[68:69], v[32:33]
	ds_read2_b64 v[70:73], v61 offset1:1
	v_fma_f64 v[32:33], -v[28:29], v[66:67], v[32:33]
	s_add_i32 s17, s16, 0xffffff80
	s_waitcnt lgkmcnt(1)
	v_fma_f64 v[32:33], -v[30:31], v[64:65], v[32:33]
	v_mov_b32_e32 v61, s17
	v_fma_f64 v[32:33], -v[34:35], v[62:63], v[32:33]
	ds_read2_b64 v[62:65], v61 offset1:1
	s_add_i32 s17, s16, 0xffffff70
	s_waitcnt lgkmcnt(1)
	v_fma_f64 v[32:33], -v[36:37], v[72:73], v[32:33]
	v_mov_b32_e32 v61, s17
	v_fma_f64 v[32:33], -v[40:41], v[70:71], v[32:33]
	ds_read2_b64 v[66:69], v61 offset1:1
	;; [unrolled: 6-line block ×3, first 2 shown]
	s_addk_i32 s16, 0xff50
	v_mov_b32_e32 v61, s16
	s_waitcnt lgkmcnt(1)
	v_fma_f64 v[32:33], -v[50:51], v[68:69], v[32:33]
	ds_read2_b64 v[70:73], v61 offset1:1
	v_fma_f64 v[32:33], -v[54:55], v[66:67], v[32:33]
	s_add_i32 s16, s12, 0xffffe958
	s_waitcnt lgkmcnt(1)
	v_fma_f64 v[32:33], -v[56:57], v[64:65], v[32:33]
	v_mov_b32_e32 v61, s16
	v_fma_f64 v[32:33], -v[52:53], v[62:63], v[32:33]
	ds_read2_b64 v[62:65], v61 offset1:1
	s_add_i32 s13, s13, s31
	s_waitcnt lgkmcnt(1)
	v_fma_f64 v[32:33], -v[48:49], v[72:73], v[32:33]
	s_lshl_b32 s13, s13, 3
	v_fma_f64 v[32:33], -v[44:45], v[70:71], v[32:33]
	s_add_i32 s16, s13, -8
	v_mov_b32_e32 v61, s16
	s_waitcnt lgkmcnt(0)
	v_fma_f64 v[32:33], -v[38:39], v[64:65], v[32:33]
	ds_read2_b64 v[66:69], v61 offset1:1
	v_mul_f64 v[32:33], v[62:63], v[32:33]
	s_sub_i32 s16, s13, 24
	ds_write_b64 v60, v[32:33] offset:6272
	v_mov_b32_e32 v60, s16
	ds_read2_b64 v[60:63], v60 offset1:1
	s_sub_i32 s16, s13, 40
	s_waitcnt lgkmcnt(2)
	v_fma_f64 v[26:27], -v[4:5], v[68:69], v[26:27]
	v_mov_b32_e32 v64, s16
	ds_read2_b64 v[70:73], v64 offset1:1
	v_fma_f64 v[26:27], -v[6:7], v[66:67], v[26:27]
	s_waitcnt lgkmcnt(1)
	v_fma_f64 v[26:27], -v[8:9], v[62:63], v[26:27]
	s_sub_i32 s16, s13, 56
	v_fma_f64 v[26:27], -v[10:11], v[60:61], v[26:27]
	v_mov_b32_e32 v60, s16
	ds_read2_b64 v[60:63], v60 offset1:1
	s_waitcnt lgkmcnt(1)
	v_fma_f64 v[26:27], -v[12:13], v[72:73], v[26:27]
	s_add_i32 s16, s13, 0xffffffb8
	v_fma_f64 v[26:27], -v[14:15], v[70:71], v[26:27]
	v_mov_b32_e32 v64, s16
	ds_read2_b64 v[64:67], v64 offset1:1
	s_waitcnt lgkmcnt(1)
	v_fma_f64 v[26:27], -v[16:17], v[62:63], v[26:27]
	s_add_i32 s16, s13, 0xffffffa8
	v_fma_f64 v[26:27], -v[20:21], v[60:61], v[26:27]
	v_mov_b32_e32 v60, s16
	ds_read2_b64 v[60:63], v60 offset1:1
	s_add_i32 s16, s13, 0xffffff98
	s_waitcnt lgkmcnt(1)
	v_fma_f64 v[26:27], -v[22:23], v[66:67], v[26:27]
	v_mov_b32_e32 v68, s16
	ds_read2_b64 v[68:71], v68 offset1:1
	v_fma_f64 v[26:27], -v[24:25], v[64:65], v[26:27]
	s_waitcnt lgkmcnt(1)
	v_fma_f64 v[26:27], -v[28:29], v[62:63], v[26:27]
	s_add_i32 s16, s13, 0xffffff88
	v_fma_f64 v[26:27], -v[30:31], v[60:61], v[26:27]
	v_mov_b32_e32 v60, s16
	ds_read2_b64 v[60:63], v60 offset1:1
	s_waitcnt lgkmcnt(1)
	v_fma_f64 v[26:27], -v[34:35], v[70:71], v[26:27]
	s_add_i32 s16, s13, 0xffffff78
	v_fma_f64 v[26:27], -v[36:37], v[68:69], v[26:27]
	v_mov_b32_e32 v64, s16
	ds_read2_b64 v[64:67], v64 offset1:1
	;; [unrolled: 6-line block ×3, first 2 shown]
	s_add_i32 s16, s13, 0xffffff58
	s_waitcnt lgkmcnt(1)
	v_fma_f64 v[26:27], -v[46:47], v[66:67], v[26:27]
	v_mov_b32_e32 v68, s16
	ds_read2_b64 v[68:71], v68 offset1:1
	v_fma_f64 v[26:27], -v[50:51], v[64:65], v[26:27]
	s_waitcnt lgkmcnt(1)
	v_fma_f64 v[26:27], -v[54:55], v[62:63], v[26:27]
	s_addk_i32 s13, 0xff48
	v_fma_f64 v[26:27], -v[56:57], v[60:61], v[26:27]
	v_mov_b32_e32 v60, s13
	ds_read2_b64 v[60:63], v60 offset1:1
	s_add_i32 s13, s12, 0xffffe870
	s_waitcnt lgkmcnt(1)
	v_fma_f64 v[26:27], -v[52:53], v[70:71], v[26:27]
	v_mov_b32_e32 v64, s13
	ds_read2_b64 v[64:67], v64 offset1:1
	s_add_i32 s9, s9, s31
	v_fma_f64 v[26:27], -v[48:49], v[68:69], v[26:27]
	s_lshl_b32 s9, s9, 3
	s_waitcnt lgkmcnt(1)
	v_fma_f64 v[26:27], -v[44:45], v[62:63], v[26:27]
	s_add_i32 s13, s9, -16
	v_fma_f64 v[26:27], -v[38:39], v[60:61], v[26:27]
	v_mov_b32_e32 v60, s9
	v_mov_b32_e32 v61, s13
	ds_read_b64 v[68:69], v60
	ds_read2_b64 v[60:63], v61 offset1:1
	s_waitcnt lgkmcnt(2)
	v_fma_f64 v[26:27], -v[32:33], v[66:67], v[26:27]
	v_mul_f64 v[26:27], v[64:65], v[26:27]
	s_sub_i32 s13, s9, 32
	ds_write_b64 v59, v[26:27] offset:6272
	s_waitcnt lgkmcnt(2)
	v_fma_f64 v[18:19], -v[4:5], v[68:69], v[18:19]
	v_mov_b32_e32 v59, s13
	s_waitcnt lgkmcnt(1)
	v_fma_f64 v[18:19], -v[6:7], v[62:63], v[18:19]
	ds_read2_b64 v[62:65], v59 offset1:1
	s_sub_i32 s13, s9, 48
	v_mov_b32_e32 v59, s13
	v_fma_f64 v[18:19], -v[8:9], v[60:61], v[18:19]
	ds_read2_b64 v[66:69], v59 offset1:1
	s_sub_i32 s13, s9, 64
	s_waitcnt lgkmcnt(1)
	v_fma_f64 v[18:19], -v[10:11], v[64:65], v[18:19]
	v_mov_b32_e32 v59, s13
	v_fma_f64 v[18:19], -v[12:13], v[62:63], v[18:19]
	ds_read2_b64 v[60:63], v59 offset1:1
	s_add_i32 s13, s9, 0xffffffb0
	v_mov_b32_e32 v59, s13
	s_waitcnt lgkmcnt(1)
	v_fma_f64 v[18:19], -v[14:15], v[68:69], v[18:19]
	ds_read2_b64 v[70:73], v59 offset1:1
	v_fma_f64 v[18:19], -v[16:17], v[66:67], v[18:19]
	s_add_i32 s13, s9, 0xffffffa0
	s_waitcnt lgkmcnt(1)
	v_fma_f64 v[18:19], -v[20:21], v[62:63], v[18:19]
	v_mov_b32_e32 v59, s13
	v_fma_f64 v[18:19], -v[22:23], v[60:61], v[18:19]
	ds_read2_b64 v[60:63], v59 offset1:1
	s_add_i32 s13, s9, 0xffffff90
	s_waitcnt lgkmcnt(1)
	v_fma_f64 v[18:19], -v[24:25], v[72:73], v[18:19]
	v_mov_b32_e32 v59, s13
	v_fma_f64 v[18:19], -v[28:29], v[70:71], v[18:19]
	ds_read2_b64 v[64:67], v59 offset1:1
	;; [unrolled: 6-line block ×3, first 2 shown]
	s_add_i32 s13, s9, 0xffffff70
	v_mov_b32_e32 v59, s13
	s_waitcnt lgkmcnt(1)
	v_fma_f64 v[18:19], -v[36:37], v[66:67], v[18:19]
	ds_read2_b64 v[68:71], v59 offset1:1
	v_fma_f64 v[18:19], -v[40:41], v[64:65], v[18:19]
	s_add_i32 s13, s9, 0xffffff60
	s_waitcnt lgkmcnt(1)
	v_fma_f64 v[18:19], -v[42:43], v[62:63], v[18:19]
	v_mov_b32_e32 v59, s13
	v_fma_f64 v[18:19], -v[46:47], v[60:61], v[18:19]
	ds_read2_b64 v[60:63], v59 offset1:1
	s_add_i32 s13, s9, 0xffffff50
	s_waitcnt lgkmcnt(1)
	v_fma_f64 v[18:19], -v[50:51], v[70:71], v[18:19]
	v_mov_b32_e32 v59, s13
	v_fma_f64 v[18:19], -v[54:55], v[68:69], v[18:19]
	ds_read2_b64 v[64:67], v59 offset1:1
	s_addk_i32 s9, 0xff40
	s_waitcnt lgkmcnt(1)
	v_fma_f64 v[18:19], -v[56:57], v[62:63], v[18:19]
	v_mov_b32_e32 v59, s9
	v_fma_f64 v[18:19], -v[52:53], v[60:61], v[18:19]
	ds_read2_b64 v[60:63], v59 offset1:1
	s_add_i32 s8, s8, s31
	s_add_i32 s9, s12, 0xffffe788
	s_waitcnt lgkmcnt(1)
	v_fma_f64 v[18:19], -v[48:49], v[66:67], v[18:19]
	s_lshl_b32 s8, s8, 3
	v_mov_b32_e32 v59, s9
	v_fma_f64 v[18:19], -v[44:45], v[64:65], v[18:19]
	s_add_i32 s9, s8, -8
	ds_read2_b64 v[68:71], v59 offset1:1
	s_waitcnt lgkmcnt(1)
	v_fma_f64 v[18:19], -v[38:39], v[62:63], v[18:19]
	v_mov_b32_e32 v59, s9
	v_fma_f64 v[18:19], -v[32:33], v[60:61], v[18:19]
	s_sub_i32 s9, s8, 24
	ds_read2_b64 v[60:63], v59 offset1:1
	v_mov_b32_e32 v59, s9
	ds_read2_b64 v[64:67], v59 offset1:1
	s_sub_i32 s9, s8, 40
	s_waitcnt lgkmcnt(2)
	v_fma_f64 v[18:19], -v[26:27], v[70:71], v[18:19]
	s_waitcnt lgkmcnt(1)
	v_fma_f64 v[2:3], -v[4:5], v[62:63], v[2:3]
	v_fma_f64 v[2:3], -v[6:7], v[60:61], v[2:3]
	s_waitcnt lgkmcnt(0)
	v_fma_f64 v[6:7], -v[8:9], v[66:67], v[2:3]
	v_mov_b32_e32 v2, s9
	ds_read2_b64 v[2:5], v2 offset1:1
	s_sub_i32 s9, s8, 56
	v_fma_f64 v[10:11], -v[10:11], v[64:65], v[6:7]
	v_mov_b32_e32 v6, s9
	ds_read2_b64 v[6:9], v6 offset1:1
	s_waitcnt lgkmcnt(1)
	v_fma_f64 v[4:5], -v[12:13], v[4:5], v[10:11]
	s_add_i32 s9, s8, 0xffffffb8
	v_fma_f64 v[14:15], -v[14:15], v[2:3], v[4:5]
	v_mov_b32_e32 v2, s9
	s_add_i32 s9, s8, 0xffffffa8
	ds_read2_b64 v[2:5], v2 offset1:1
	v_mov_b32_e32 v10, s9
	ds_read2_b64 v[10:13], v10 offset1:1
	s_waitcnt lgkmcnt(2)
	v_fma_f64 v[8:9], -v[16:17], v[8:9], v[14:15]
	v_fma_f64 v[6:7], -v[20:21], v[6:7], v[8:9]
	s_waitcnt lgkmcnt(1)
	v_fma_f64 v[4:5], -v[22:23], v[4:5], v[6:7]
	v_fma_f64 v[2:3], -v[24:25], v[2:3], v[4:5]
	s_add_i32 s9, s8, 0xffffff98
	s_waitcnt lgkmcnt(0)
	v_fma_f64 v[6:7], -v[28:29], v[12:13], v[2:3]
	v_mov_b32_e32 v2, s9
	ds_read2_b64 v[2:5], v2 offset1:1
	s_add_i32 s9, s8, 0xffffff88
	v_fma_f64 v[10:11], -v[30:31], v[10:11], v[6:7]
	v_mov_b32_e32 v6, s9
	ds_read2_b64 v[6:9], v6 offset1:1
	s_waitcnt lgkmcnt(1)
	v_fma_f64 v[4:5], -v[34:35], v[4:5], v[10:11]
	s_add_i32 s9, s8, 0xffffff78
	v_fma_f64 v[14:15], -v[36:37], v[2:3], v[4:5]
	v_mov_b32_e32 v2, s9
	s_add_i32 s9, s8, 0xffffff68
	ds_read2_b64 v[2:5], v2 offset1:1
	v_mov_b32_e32 v10, s9
	ds_read2_b64 v[10:13], v10 offset1:1
	s_waitcnt lgkmcnt(2)
	v_fma_f64 v[8:9], -v[40:41], v[8:9], v[14:15]
	v_fma_f64 v[6:7], -v[42:43], v[6:7], v[8:9]
	s_waitcnt lgkmcnt(1)
	v_fma_f64 v[4:5], -v[46:47], v[4:5], v[6:7]
	v_fma_f64 v[2:3], -v[50:51], v[2:3], v[4:5]
	s_add_i32 s9, s8, 0xffffff58
	s_waitcnt lgkmcnt(0)
	v_fma_f64 v[6:7], -v[54:55], v[12:13], v[2:3]
	v_mov_b32_e32 v2, s9
	ds_read2_b64 v[2:5], v2 offset1:1
	s_add_i32 s9, s8, 0xffffff48
	v_fma_f64 v[10:11], -v[56:57], v[10:11], v[6:7]
	v_mov_b32_e32 v6, s9
	ds_read2_b64 v[6:9], v6 offset1:1
	s_waitcnt lgkmcnt(1)
	v_fma_f64 v[4:5], -v[52:53], v[4:5], v[10:11]
	s_addk_i32 s8, 0xff38
	v_fma_f64 v[14:15], -v[48:49], v[2:3], v[4:5]
	v_mov_b32_e32 v2, s8
	s_add_i32 s8, s12, 0xffffe6a0
	ds_read2_b64 v[2:5], v2 offset1:1
	v_mov_b32_e32 v10, s8
	ds_read2_b64 v[10:13], v10 offset1:1
	s_waitcnt lgkmcnt(2)
	v_fma_f64 v[8:9], -v[44:45], v[8:9], v[14:15]
	v_fma_f64 v[6:7], -v[38:39], v[6:7], v[8:9]
	s_waitcnt lgkmcnt(1)
	v_fma_f64 v[4:5], -v[32:33], v[4:5], v[6:7]
	v_mul_f64 v[18:19], v[68:69], v[18:19]
	v_fma_f64 v[2:3], -v[26:27], v[2:3], v[4:5]
	s_waitcnt lgkmcnt(0)
	v_fma_f64 v[2:3], -v[18:19], v[12:13], v[2:3]
	v_mul_f64 v[2:3], v[10:11], v[2:3]
	s_sub_i32 s8, s30, 29
	ds_write_b64 v58, v[18:19] offset:6272
	ds_write_b64 v1, v[2:3] offset:6272
.LBB99_20:
	s_cmp_gt_i32 s8, -1
	s_cbranch_scc0 .LBB99_39
; %bb.21:
	s_cmp_lt_u32 s8, 23
	s_cbranch_scc1 .LBB99_26
; %bb.22:
	s_mul_i32 s9, s8, 28
	s_sub_i32 s12, s9, 56
	v_add_lshl_u32 v1, s12, v0, 3
	s_add_i32 s12, s9, 0xffffffac
	v_add_lshl_u32 v62, s9, v0, 3
	s_sub_i32 s33, s9, 28
	v_add_lshl_u32 v2, s12, v0, 3
	s_add_i32 s12, s9, 0xffffff90
	v_add_lshl_u32 v63, s33, v0, 3
	ds_read_b64 v[8:9], v62 offset:6272
	ds_read_b64 v[10:11], v63 offset:6272
	;; [unrolled: 1-line block ×4, first 2 shown]
	v_add_lshl_u32 v1, s12, v0, 3
	s_add_i32 s12, s9, 0xffffff74
	v_add_lshl_u32 v2, s12, v0, 3
	s_add_i32 s12, s9, 0xffffff58
	;; [unrolled: 2-line block ×4, first 2 shown]
	ds_read_b64 v[16:17], v1 offset:6272
	ds_read_b64 v[18:19], v2 offset:6272
	;; [unrolled: 1-line block ×4, first 2 shown]
	v_add_lshl_u32 v1, s12, v0, 3
	s_add_i32 s12, s9, 0xffffff04
	v_add_lshl_u32 v2, s12, v0, 3
	s_add_i32 s12, s9, 0xfffffee8
	s_add_i32 s28, s9, 0xfffffeb0
	;; [unrolled: 1-line block ×4, first 2 shown]
	v_add_lshl_u32 v3, s12, v0, 3
	s_add_i32 s29, s9, 0xfffffecc
	v_add_lshl_u32 v60, s28, v0, 3
	s_add_i32 s27, s9, 0xfffffe94
	s_add_i32 s26, s9, 0xfffffe78
	s_add_i32 s25, s9, 0xfffffe5c
	v_add_lshl_u32 v56, s21, v0, 3
	s_add_i32 s20, s9, 0xfffffe24
	s_add_i32 s19, s9, 0xfffffe08
	;; [unrolled: 4-line block ×3, first 2 shown]
	s_addk_i32 s9, 0xfd7c
	v_add_lshl_u32 v61, s29, v0, 3
	ds_read_b64 v[26:27], v1 offset:6272
	ds_read_b64 v[30:31], v2 offset:6272
	ds_read_b64 v[32:33], v3 offset:6272
	ds_read_b64 v[36:37], v61 offset:6272
	v_add_lshl_u32 v59, s27, v0, 3
	v_add_lshl_u32 v58, s26, v0, 3
	v_add_lshl_u32 v57, s25, v0, 3
	ds_read_b64 v[38:39], v60 offset:6272
	ds_read_b64 v[42:43], v59 offset:6272
	ds_read_b64 v[46:47], v58 offset:6272
	ds_read_b64 v[48:49], v57 offset:6272
	v_add_lshl_u32 v55, s20, v0, 3
	v_add_lshl_u32 v54, s19, v0, 3
	;; [unrolled: 7-line block ×3, first 2 shown]
	v_add_lshl_u32 v1, s9, v0, 3
	ds_read_b64 v[22:23], v52 offset:6272
	ds_read_b64 v[12:13], v51 offset:6272
	;; [unrolled: 1-line block ×4, first 2 shown]
	s_cmp_le_i32 s31, s8
	s_cbranch_scc1 .LBB99_25
; %bb.23:
	s_mul_i32 s12, s8, 0xe0
	s_lshl_b32 s34, s30, 3
	s_add_i32 s12, s12, s34
	s_mul_i32 s34, s30, 0xe0
	v_lshl_add_u32 v64, v0, 3, s34
	s_addk_i32 s12, 0xebd8
	v_add_u32_e32 v64, 0x17a0, v64
	s_mov_b32 s34, s31
.LBB99_24:                              ; =>This Inner Loop Header: Depth=1
	v_mov_b32_e32 v65, s12
	v_add_u32_e32 v90, 0x1000, v65
	v_add_u32_e32 v94, 0xc00, v65
	;; [unrolled: 1-line block ×3, first 2 shown]
	ds_read_b64 v[114:115], v64
	ds_read2_b64 v[66:69], v65 offset0:224 offset1:252
	ds_read2_b64 v[70:73], v65 offset0:168 offset1:196
	;; [unrolled: 1-line block ×4, first 2 shown]
	ds_read2_b64 v[82:85], v65 offset1:28
	ds_read2_b64 v[86:89], v90 offset0:104 offset1:132
	ds_read2_b64 v[90:93], v90 offset0:48 offset1:76
	ds_read2_b64 v[94:97], v94 offset0:120 offset1:148
	ds_read2_b64 v[98:101], v110 offset0:192 offset1:220
	ds_read2_b64 v[102:105], v110 offset0:136 offset1:164
	ds_read2_b64 v[106:109], v110 offset0:80 offset1:108
	ds_read2_b64 v[110:113], v110 offset0:24 offset1:52
	s_add_i32 s34, s34, -1
	s_add_i32 s12, s12, -8
	v_add_u32_e32 v64, 0xffffff20, v64
	s_cmp_gt_i32 s34, s8
	s_waitcnt lgkmcnt(11)
	v_fma_f64 v[46:47], -v[114:115], v[68:69], v[46:47]
	v_fma_f64 v[48:49], -v[114:115], v[66:67], v[48:49]
	s_waitcnt lgkmcnt(10)
	v_fma_f64 v[44:45], -v[114:115], v[72:73], v[44:45]
	v_fma_f64 v[40:41], -v[114:115], v[70:71], v[40:41]
	;; [unrolled: 3-line block ×12, first 2 shown]
	s_cbranch_scc1 .LBB99_24
.LBB99_25:
	s_mul_i32 s12, s8, 0xe8
	v_add_u32_e32 v64, 0x1880, v62
	v_add_u32_e32 v62, 0x1880, v63
	v_mov_b32_e32 v63, s12
	ds_read_b64 v[70:71], v63
	s_add_i32 s35, s12, 0xffffff18
	s_sub_i32 s34, s33, 28
	v_mov_b32_e32 v63, s35
	ds_read2_b64 v[66:69], v63 offset1:1
	s_add_i32 s35, s34, s8
	s_lshl_b32 s35, s35, 3
	s_waitcnt lgkmcnt(1)
	v_mul_f64 v[8:9], v[70:71], v[8:9]
	v_mov_b32_e32 v63, s35
	s_add_i32 s35, s12, 0xfffffe30
	ds_write_b64 v64, v[8:9]
	v_mov_b32_e32 v70, s35
	s_sub_i32 s35, s33, 56
	ds_read_b64 v[64:65], v63
	ds_read2_b64 v[70:73], v70 offset1:1
	s_add_i32 s36, s35, s8
	s_waitcnt lgkmcnt(3)
	v_fma_f64 v[10:11], -v[8:9], v[68:69], v[10:11]
	s_lshl_b32 s36, s36, 3
	v_mul_f64 v[10:11], v[66:67], v[10:11]
	s_add_i32 s36, s36, -8
	ds_write_b64 v62, v[10:11]
	v_mov_b32_e32 v62, s36
	s_waitcnt lgkmcnt(2)
	v_fma_f64 v[6:7], -v[8:9], v[64:65], v[6:7]
	ds_read2_b64 v[62:65], v62 offset1:1
	s_add_i32 s36, s12, 0xfffffd48
	s_waitcnt lgkmcnt(2)
	v_fma_f64 v[6:7], -v[10:11], v[72:73], v[6:7]
	v_mov_b32_e32 v66, s36
	ds_read2_b64 v[66:69], v66 offset1:1
	v_mul_f64 v[6:7], v[70:71], v[6:7]
	v_add_lshl_u32 v70, s34, v0, 3
	s_add_i32 s34, s33, 0xffffffac
	s_add_i32 s36, s34, s8
	s_waitcnt lgkmcnt(1)
	v_fma_f64 v[14:15], -v[8:9], v[64:65], v[14:15]
	s_lshl_b32 s36, s36, 3
	v_fma_f64 v[14:15], -v[10:11], v[62:63], v[14:15]
	v_mov_b32_e32 v62, s36
	s_add_i32 s36, s36, -16
	ds_write_b64 v70, v[6:7] offset:6272
	v_mov_b32_e32 v63, s36
	s_waitcnt lgkmcnt(1)
	v_fma_f64 v[14:15], -v[6:7], v[68:69], v[14:15]
	ds_read_b64 v[68:69], v62
	ds_read2_b64 v[62:65], v63 offset1:1
	v_mul_f64 v[14:15], v[66:67], v[14:15]
	v_add_lshl_u32 v66, s35, v0, 3
	s_add_i32 s35, s12, 0xfffffc60
	s_waitcnt lgkmcnt(1)
	v_fma_f64 v[16:17], -v[8:9], v[68:69], v[16:17]
	s_waitcnt lgkmcnt(0)
	v_fma_f64 v[16:17], -v[10:11], v[64:65], v[16:17]
	v_fma_f64 v[16:17], -v[6:7], v[62:63], v[16:17]
	v_mov_b32_e32 v62, s35
	s_add_i32 s35, s33, 0xffffff90
	ds_read2_b64 v[62:65], v62 offset1:1
	s_add_i32 s36, s35, s8
	s_lshl_b32 s36, s36, 3
	s_add_i32 s37, s36, -8
	ds_write_b64 v66, v[14:15] offset:6272
	v_mov_b32_e32 v66, s37
	ds_read2_b64 v[66:69], v66 offset1:1
	s_waitcnt lgkmcnt(2)
	v_fma_f64 v[16:17], -v[14:15], v[64:65], v[16:17]
	v_mul_f64 v[16:17], v[62:63], v[16:17]
	v_add_lshl_u32 v62, s34, v0, 3
	s_sub_i32 s34, s36, 24
	ds_write_b64 v62, v[16:17] offset:6272
	v_mov_b32_e32 v62, s34
	s_add_i32 s34, s12, 0xfffffb78
	ds_read2_b64 v[62:65], v62 offset1:1
	v_mov_b32_e32 v70, s34
	ds_read2_b64 v[70:73], v70 offset1:1
	s_waitcnt lgkmcnt(3)
	v_fma_f64 v[18:19], -v[8:9], v[68:69], v[18:19]
	v_fma_f64 v[18:19], -v[10:11], v[66:67], v[18:19]
	s_waitcnt lgkmcnt(1)
	v_fma_f64 v[18:19], -v[6:7], v[64:65], v[18:19]
	s_add_i32 s34, s33, 0xffffff74
	v_fma_f64 v[18:19], -v[14:15], v[62:63], v[18:19]
	v_add_lshl_u32 v62, s35, v0, 3
	s_add_i32 s35, s34, s8
	s_waitcnt lgkmcnt(0)
	v_fma_f64 v[18:19], -v[16:17], v[72:73], v[18:19]
	s_lshl_b32 s35, s35, 3
	v_mul_f64 v[18:19], v[70:71], v[18:19]
	s_add_i32 s36, s35, -8
	ds_write_b64 v62, v[18:19] offset:6272
	v_mov_b32_e32 v62, s36
	s_sub_i32 s36, s35, 24
	v_mov_b32_e32 v66, s36
	ds_read2_b64 v[62:65], v62 offset1:1
	ds_read2_b64 v[66:69], v66 offset1:1
	s_sub_i32 s35, s35, 40
	v_mov_b32_e32 v70, s35
	s_add_i32 s35, s12, 0xfffffa90
	s_waitcnt lgkmcnt(1)
	v_fma_f64 v[20:21], -v[8:9], v[64:65], v[20:21]
	v_fma_f64 v[20:21], -v[10:11], v[62:63], v[20:21]
	v_mov_b32_e32 v62, s35
	s_add_i32 s35, s33, 0xffffff58
	s_add_i32 s36, s35, s8
	s_lshl_b32 s36, s36, 3
	ds_read2_b64 v[70:73], v70 offset1:1
	s_waitcnt lgkmcnt(1)
	v_fma_f64 v[20:21], -v[6:7], v[68:69], v[20:21]
	s_add_i32 s37, s36, -16
	v_fma_f64 v[20:21], -v[14:15], v[66:67], v[20:21]
	ds_read_b64 v[66:67], v62
	v_mov_b32_e32 v62, s36
	v_mov_b32_e32 v63, s37
	ds_read_b64 v[68:69], v62
	ds_read2_b64 v[62:65], v63 offset1:1
	s_waitcnt lgkmcnt(3)
	v_fma_f64 v[20:21], -v[16:17], v[72:73], v[20:21]
	v_fma_f64 v[20:21], -v[18:19], v[70:71], v[20:21]
	s_waitcnt lgkmcnt(2)
	v_mul_f64 v[20:21], v[66:67], v[20:21]
	s_waitcnt lgkmcnt(1)
	v_fma_f64 v[24:25], -v[8:9], v[68:69], v[24:25]
	v_add_lshl_u32 v66, s34, v0, 3
	s_waitcnt lgkmcnt(0)
	v_fma_f64 v[24:25], -v[10:11], v[64:65], v[24:25]
	s_sub_i32 s34, s36, 32
	v_fma_f64 v[24:25], -v[6:7], v[62:63], v[24:25]
	v_mov_b32_e32 v62, s34
	s_sub_i32 s34, s36, 48
	ds_write_b64 v66, v[20:21] offset:6272
	v_mov_b32_e32 v66, s34
	ds_read2_b64 v[62:65], v62 offset1:1
	ds_read2_b64 v[66:69], v66 offset1:1
	s_add_i32 s34, s12, 0xfffff9a8
	v_mov_b32_e32 v70, s34
	s_add_i32 s34, s33, 0xffffff3c
	s_waitcnt lgkmcnt(1)
	v_fma_f64 v[24:25], -v[14:15], v[64:65], v[24:25]
	v_fma_f64 v[24:25], -v[16:17], v[62:63], v[24:25]
	s_waitcnt lgkmcnt(0)
	v_fma_f64 v[24:25], -v[18:19], v[68:69], v[24:25]
	v_fma_f64 v[24:25], -v[20:21], v[66:67], v[24:25]
	v_add_lshl_u32 v66, s35, v0, 3
	s_add_i32 s35, s34, s8
	s_lshl_b32 s35, s35, 3
	ds_read_b64 v[70:71], v70
	s_add_i32 s36, s35, -8
	v_mov_b32_e32 v62, s36
	ds_read2_b64 v[62:65], v62 offset1:1
	s_sub_i32 s36, s35, 24
	s_waitcnt lgkmcnt(1)
	v_mul_f64 v[24:25], v[70:71], v[24:25]
	ds_write_b64 v66, v[24:25] offset:6272
	v_mov_b32_e32 v66, s36
	ds_read2_b64 v[66:69], v66 offset1:1
	s_waitcnt lgkmcnt(2)
	v_fma_f64 v[26:27], -v[8:9], v[64:65], v[26:27]
	s_sub_i32 s36, s35, 40
	v_fma_f64 v[26:27], -v[10:11], v[62:63], v[26:27]
	v_mov_b32_e32 v62, s36
	ds_read2_b64 v[62:65], v62 offset1:1
	s_sub_i32 s35, s35, 56
	s_waitcnt lgkmcnt(1)
	v_fma_f64 v[26:27], -v[6:7], v[68:69], v[26:27]
	v_mov_b32_e32 v70, s35
	ds_read2_b64 v[70:73], v70 offset1:1
	v_fma_f64 v[26:27], -v[14:15], v[66:67], v[26:27]
	s_waitcnt lgkmcnt(1)
	v_fma_f64 v[26:27], -v[16:17], v[64:65], v[26:27]
	s_add_i32 s35, s12, 0xfffff8c0
	v_fma_f64 v[26:27], -v[18:19], v[62:63], v[26:27]
	v_mov_b32_e32 v62, s35
	s_add_i32 s35, s33, 0xffffff20
	s_add_i32 s36, s35, s8
	s_lshl_b32 s36, s36, 3
	s_add_i32 s37, s36, -16
	ds_read_b64 v[66:67], v62
	v_mov_b32_e32 v62, s36
	v_mov_b32_e32 v63, s37
	ds_read_b64 v[68:69], v62
	ds_read2_b64 v[62:65], v63 offset1:1
	s_waitcnt lgkmcnt(3)
	v_fma_f64 v[26:27], -v[20:21], v[72:73], v[26:27]
	v_fma_f64 v[26:27], -v[24:25], v[70:71], v[26:27]
	s_waitcnt lgkmcnt(2)
	v_mul_f64 v[26:27], v[66:67], v[26:27]
	s_waitcnt lgkmcnt(1)
	v_fma_f64 v[30:31], -v[8:9], v[68:69], v[30:31]
	v_add_lshl_u32 v66, s34, v0, 3
	s_waitcnt lgkmcnt(0)
	v_fma_f64 v[30:31], -v[10:11], v[64:65], v[30:31]
	s_sub_i32 s34, s36, 32
	v_fma_f64 v[30:31], -v[6:7], v[62:63], v[30:31]
	v_mov_b32_e32 v62, s34
	s_sub_i32 s34, s36, 48
	ds_write_b64 v66, v[26:27] offset:6272
	v_mov_b32_e32 v66, s34
	ds_read2_b64 v[62:65], v62 offset1:1
	ds_read2_b64 v[66:69], v66 offset1:1
	s_sub_i32 s34, s36, 64
	v_mov_b32_e32 v70, s34
	s_add_i32 s34, s12, 0xfffff7d8
	s_waitcnt lgkmcnt(1)
	v_fma_f64 v[30:31], -v[14:15], v[64:65], v[30:31]
	s_addk_i32 s33, 0xff04
	v_fma_f64 v[30:31], -v[16:17], v[62:63], v[30:31]
	v_mov_b32_e32 v62, s34
	s_add_i32 s34, s33, s8
	ds_read2_b64 v[70:73], v70 offset1:1
	s_lshl_b32 s34, s34, 3
	s_waitcnt lgkmcnt(1)
	v_fma_f64 v[30:31], -v[18:19], v[68:69], v[30:31]
	s_add_i32 s36, s34, -16
	v_fma_f64 v[30:31], -v[20:21], v[66:67], v[30:31]
	ds_read_b64 v[66:67], v62
	v_mov_b32_e32 v62, s34
	v_mov_b32_e32 v63, s36
	ds_read_b64 v[68:69], v62
	ds_read2_b64 v[62:65], v63 offset1:1
	s_waitcnt lgkmcnt(3)
	v_fma_f64 v[30:31], -v[24:25], v[72:73], v[30:31]
	v_fma_f64 v[30:31], -v[26:27], v[70:71], v[30:31]
	s_waitcnt lgkmcnt(2)
	v_mul_f64 v[30:31], v[66:67], v[30:31]
	v_add_lshl_u32 v66, s35, v0, 3
	s_waitcnt lgkmcnt(1)
	v_fma_f64 v[32:33], -v[8:9], v[68:69], v[32:33]
	s_sub_i32 s35, s34, 32
	s_waitcnt lgkmcnt(0)
	v_fma_f64 v[32:33], -v[10:11], v[64:65], v[32:33]
	v_mov_b32_e32 v64, s35
	ds_write_b64 v66, v[30:31] offset:6272
	ds_read2_b64 v[64:67], v64 offset1:1
	s_sub_i32 s35, s34, 48
	v_fma_f64 v[32:33], -v[6:7], v[62:63], v[32:33]
	v_mov_b32_e32 v62, s35
	ds_read2_b64 v[68:71], v62 offset1:1
	s_sub_i32 s34, s34, 64
	s_waitcnt lgkmcnt(1)
	v_fma_f64 v[32:33], -v[14:15], v[66:67], v[32:33]
	v_mov_b32_e32 v62, s34
	v_fma_f64 v[32:33], -v[16:17], v[64:65], v[32:33]
	ds_read2_b64 v[62:65], v62 offset1:1
	s_add_i32 s34, s12, 0xfffff6f0
	v_mov_b32_e32 v66, s34
	ds_read2_b64 v[72:75], v66 offset1:1
	s_waitcnt lgkmcnt(2)
	v_fma_f64 v[32:33], -v[18:19], v[70:71], v[32:33]
	s_add_i32 s29, s29, s8
	v_fma_f64 v[32:33], -v[20:21], v[68:69], v[32:33]
	s_lshl_b32 s29, s29, 3
	s_waitcnt lgkmcnt(1)
	v_fma_f64 v[32:33], -v[24:25], v[64:65], v[32:33]
	v_add_lshl_u32 v66, s33, v0, 3
	s_add_i32 s33, s29, -8
	v_fma_f64 v[32:33], -v[26:27], v[62:63], v[32:33]
	v_mov_b32_e32 v62, s33
	ds_read2_b64 v[62:65], v62 offset1:1
	s_waitcnt lgkmcnt(1)
	v_fma_f64 v[32:33], -v[30:31], v[74:75], v[32:33]
	v_mul_f64 v[32:33], v[72:73], v[32:33]
	s_sub_i32 s33, s29, 24
	ds_write_b64 v66, v[32:33] offset:6272
	v_mov_b32_e32 v66, s33
	ds_read2_b64 v[66:69], v66 offset1:1
	s_waitcnt lgkmcnt(2)
	v_fma_f64 v[36:37], -v[8:9], v[64:65], v[36:37]
	s_sub_i32 s33, s29, 40
	v_fma_f64 v[36:37], -v[10:11], v[62:63], v[36:37]
	v_mov_b32_e32 v62, s33
	ds_read2_b64 v[62:65], v62 offset1:1
	s_sub_i32 s33, s29, 56
	s_waitcnt lgkmcnt(1)
	v_fma_f64 v[36:37], -v[6:7], v[68:69], v[36:37]
	v_mov_b32_e32 v70, s33
	ds_read2_b64 v[70:73], v70 offset1:1
	v_fma_f64 v[36:37], -v[14:15], v[66:67], v[36:37]
	s_waitcnt lgkmcnt(1)
	v_fma_f64 v[36:37], -v[16:17], v[64:65], v[36:37]
	s_addk_i32 s29, 0xffb8
	v_fma_f64 v[36:37], -v[18:19], v[62:63], v[36:37]
	v_mov_b32_e32 v62, s29
	ds_read2_b64 v[62:65], v62 offset1:1
	s_add_i32 s29, s12, 0xfffff608
	s_waitcnt lgkmcnt(1)
	v_fma_f64 v[36:37], -v[20:21], v[72:73], v[36:37]
	v_mov_b32_e32 v66, s29
	ds_read2_b64 v[66:69], v66 offset1:1
	s_add_i32 s28, s28, s8
	v_fma_f64 v[36:37], -v[24:25], v[70:71], v[36:37]
	s_lshl_b32 s28, s28, 3
	s_waitcnt lgkmcnt(1)
	v_fma_f64 v[36:37], -v[26:27], v[64:65], v[36:37]
	s_add_i32 s29, s28, -16
	v_fma_f64 v[36:37], -v[30:31], v[62:63], v[36:37]
	v_mov_b32_e32 v62, s28
	v_mov_b32_e32 v63, s29
	ds_read_b64 v[70:71], v62
	ds_read2_b64 v[62:65], v63 offset1:1
	s_waitcnt lgkmcnt(2)
	v_fma_f64 v[36:37], -v[32:33], v[68:69], v[36:37]
	v_mul_f64 v[36:37], v[66:67], v[36:37]
	s_sub_i32 s29, s28, 32
	ds_write_b64 v61, v[36:37] offset:6272
	s_waitcnt lgkmcnt(2)
	v_fma_f64 v[38:39], -v[8:9], v[70:71], v[38:39]
	v_mov_b32_e32 v61, s29
	s_waitcnt lgkmcnt(1)
	v_fma_f64 v[38:39], -v[10:11], v[64:65], v[38:39]
	ds_read2_b64 v[64:67], v61 offset1:1
	s_sub_i32 s29, s28, 48
	v_mov_b32_e32 v61, s29
	v_fma_f64 v[38:39], -v[6:7], v[62:63], v[38:39]
	ds_read2_b64 v[68:71], v61 offset1:1
	s_sub_i32 s29, s28, 64
	s_waitcnt lgkmcnt(1)
	v_fma_f64 v[38:39], -v[14:15], v[66:67], v[38:39]
	v_mov_b32_e32 v61, s29
	v_fma_f64 v[38:39], -v[16:17], v[64:65], v[38:39]
	ds_read2_b64 v[62:65], v61 offset1:1
	s_addk_i32 s28, 0xffb0
	v_mov_b32_e32 v61, s28
	s_waitcnt lgkmcnt(1)
	v_fma_f64 v[38:39], -v[18:19], v[70:71], v[38:39]
	ds_read2_b64 v[72:75], v61 offset1:1
	v_fma_f64 v[38:39], -v[20:21], v[68:69], v[38:39]
	s_add_i32 s28, s12, 0xfffff520
	s_waitcnt lgkmcnt(1)
	v_fma_f64 v[38:39], -v[24:25], v[64:65], v[38:39]
	v_mov_b32_e32 v61, s28
	v_fma_f64 v[38:39], -v[26:27], v[62:63], v[38:39]
	ds_read2_b64 v[62:65], v61 offset1:1
	s_add_i32 s27, s27, s8
	s_waitcnt lgkmcnt(1)
	v_fma_f64 v[38:39], -v[30:31], v[74:75], v[38:39]
	s_lshl_b32 s27, s27, 3
	v_fma_f64 v[38:39], -v[32:33], v[72:73], v[38:39]
	s_add_i32 s28, s27, -8
	v_mov_b32_e32 v61, s28
	s_waitcnt lgkmcnt(0)
	v_fma_f64 v[38:39], -v[36:37], v[64:65], v[38:39]
	ds_read2_b64 v[66:69], v61 offset1:1
	v_mul_f64 v[38:39], v[62:63], v[38:39]
	s_sub_i32 s28, s27, 24
	ds_write_b64 v60, v[38:39] offset:6272
	v_mov_b32_e32 v60, s28
	ds_read2_b64 v[60:63], v60 offset1:1
	s_sub_i32 s28, s27, 40
	s_waitcnt lgkmcnt(2)
	v_fma_f64 v[42:43], -v[8:9], v[68:69], v[42:43]
	v_mov_b32_e32 v64, s28
	ds_read2_b64 v[70:73], v64 offset1:1
	v_fma_f64 v[42:43], -v[10:11], v[66:67], v[42:43]
	s_waitcnt lgkmcnt(1)
	v_fma_f64 v[42:43], -v[6:7], v[62:63], v[42:43]
	s_sub_i32 s28, s27, 56
	v_fma_f64 v[42:43], -v[14:15], v[60:61], v[42:43]
	v_mov_b32_e32 v60, s28
	ds_read2_b64 v[60:63], v60 offset1:1
	s_waitcnt lgkmcnt(1)
	v_fma_f64 v[42:43], -v[16:17], v[72:73], v[42:43]
	s_add_i32 s28, s27, 0xffffffb8
	v_fma_f64 v[42:43], -v[18:19], v[70:71], v[42:43]
	v_mov_b32_e32 v64, s28
	ds_read2_b64 v[64:67], v64 offset1:1
	s_waitcnt lgkmcnt(1)
	v_fma_f64 v[42:43], -v[20:21], v[62:63], v[42:43]
	s_addk_i32 s27, 0xffa8
	v_fma_f64 v[42:43], -v[24:25], v[60:61], v[42:43]
	v_mov_b32_e32 v60, s27
	s_add_i32 s27, s12, 0xfffff438
	ds_read2_b64 v[60:63], v60 offset1:1
	v_mov_b32_e32 v68, s27
	ds_read2_b64 v[68:71], v68 offset1:1
	s_waitcnt lgkmcnt(2)
	v_fma_f64 v[42:43], -v[26:27], v[66:67], v[42:43]
	v_fma_f64 v[42:43], -v[30:31], v[64:65], v[42:43]
	s_add_i32 s26, s26, s8
	s_waitcnt lgkmcnt(1)
	v_fma_f64 v[42:43], -v[32:33], v[62:63], v[42:43]
	s_lshl_b32 s26, s26, 3
	v_fma_f64 v[42:43], -v[36:37], v[60:61], v[42:43]
	v_mov_b32_e32 v60, s26
	s_waitcnt lgkmcnt(0)
	v_fma_f64 v[42:43], -v[38:39], v[70:71], v[42:43]
	ds_read_b64 v[64:65], v60
	v_mul_f64 v[42:43], v[68:69], v[42:43]
	s_add_i32 s27, s26, -16
	ds_write_b64 v59, v[42:43] offset:6272
	v_mov_b32_e32 v59, s27
	ds_read2_b64 v[60:63], v59 offset1:1
	s_sub_i32 s27, s26, 32
	v_mov_b32_e32 v59, s27
	s_waitcnt lgkmcnt(2)
	v_fma_f64 v[46:47], -v[8:9], v[64:65], v[46:47]
	s_sub_i32 s27, s26, 48
	ds_read2_b64 v[64:67], v59 offset1:1
	v_mov_b32_e32 v59, s27
	ds_read2_b64 v[68:71], v59 offset1:1
	s_sub_i32 s27, s26, 64
	s_waitcnt lgkmcnt(2)
	v_fma_f64 v[46:47], -v[10:11], v[62:63], v[46:47]
	v_mov_b32_e32 v59, s27
	v_fma_f64 v[46:47], -v[6:7], v[60:61], v[46:47]
	ds_read2_b64 v[60:63], v59 offset1:1
	s_waitcnt lgkmcnt(2)
	v_fma_f64 v[46:47], -v[14:15], v[66:67], v[46:47]
	v_fma_f64 v[46:47], -v[16:17], v[64:65], v[46:47]
	s_add_i32 s27, s26, 0xffffffb0
	s_waitcnt lgkmcnt(1)
	v_fma_f64 v[46:47], -v[18:19], v[70:71], v[46:47]
	v_mov_b32_e32 v59, s27
	v_fma_f64 v[46:47], -v[20:21], v[68:69], v[46:47]
	ds_read2_b64 v[64:67], v59 offset1:1
	s_addk_i32 s26, 0xffa0
	s_waitcnt lgkmcnt(1)
	v_fma_f64 v[46:47], -v[24:25], v[62:63], v[46:47]
	v_mov_b32_e32 v59, s26
	v_fma_f64 v[46:47], -v[26:27], v[60:61], v[46:47]
	s_add_i32 s26, s12, 0xfffff350
	ds_read2_b64 v[60:63], v59 offset1:1
	v_mov_b32_e32 v59, s26
	ds_read2_b64 v[68:71], v59 offset1:1
	s_add_i32 s25, s25, s8
	s_waitcnt lgkmcnt(2)
	v_fma_f64 v[46:47], -v[30:31], v[66:67], v[46:47]
	s_lshl_b32 s25, s25, 3
	v_fma_f64 v[46:47], -v[32:33], v[64:65], v[46:47]
	s_add_i32 s26, s25, -8
	s_waitcnt lgkmcnt(1)
	v_fma_f64 v[46:47], -v[36:37], v[62:63], v[46:47]
	v_mov_b32_e32 v59, s26
	v_fma_f64 v[46:47], -v[38:39], v[60:61], v[46:47]
	ds_read2_b64 v[60:63], v59 offset1:1
	s_waitcnt lgkmcnt(1)
	v_fma_f64 v[46:47], -v[42:43], v[70:71], v[46:47]
	v_mul_f64 v[46:47], v[68:69], v[46:47]
	s_sub_i32 s26, s25, 24
	ds_write_b64 v58, v[46:47] offset:6272
	v_mov_b32_e32 v58, s26
	ds_read2_b64 v[64:67], v58 offset1:1
	s_sub_i32 s26, s25, 40
	s_waitcnt lgkmcnt(2)
	v_fma_f64 v[48:49], -v[8:9], v[62:63], v[48:49]
	v_mov_b32_e32 v58, s26
	v_fma_f64 v[48:49], -v[10:11], v[60:61], v[48:49]
	ds_read2_b64 v[58:61], v58 offset1:1
	s_sub_i32 s26, s25, 56
	s_waitcnt lgkmcnt(1)
	v_fma_f64 v[48:49], -v[6:7], v[66:67], v[48:49]
	v_mov_b32_e32 v62, s26
	ds_read2_b64 v[68:71], v62 offset1:1
	v_fma_f64 v[48:49], -v[14:15], v[64:65], v[48:49]
	s_waitcnt lgkmcnt(1)
	v_fma_f64 v[48:49], -v[16:17], v[60:61], v[48:49]
	s_add_i32 s26, s25, 0xffffffb8
	v_fma_f64 v[48:49], -v[18:19], v[58:59], v[48:49]
	v_mov_b32_e32 v58, s26
	ds_read2_b64 v[58:61], v58 offset1:1
	s_waitcnt lgkmcnt(1)
	v_fma_f64 v[48:49], -v[20:21], v[70:71], v[48:49]
	s_add_i32 s26, s25, 0xffffffa8
	v_fma_f64 v[48:49], -v[24:25], v[68:69], v[48:49]
	v_mov_b32_e32 v62, s26
	ds_read2_b64 v[62:65], v62 offset1:1
	s_waitcnt lgkmcnt(1)
	v_fma_f64 v[48:49], -v[26:27], v[60:61], v[48:49]
	s_addk_i32 s25, 0xff98
	v_fma_f64 v[48:49], -v[30:31], v[58:59], v[48:49]
	v_mov_b32_e32 v58, s25
	s_add_i32 s25, s12, 0xfffff268
	ds_read2_b64 v[58:61], v58 offset1:1
	v_mov_b32_e32 v66, s25
	ds_read2_b64 v[66:69], v66 offset1:1
	s_waitcnt lgkmcnt(2)
	v_fma_f64 v[48:49], -v[32:33], v[64:65], v[48:49]
	v_fma_f64 v[48:49], -v[36:37], v[62:63], v[48:49]
	s_add_i32 s21, s21, s8
	s_waitcnt lgkmcnt(1)
	v_fma_f64 v[48:49], -v[38:39], v[60:61], v[48:49]
	s_lshl_b32 s21, s21, 3
	v_fma_f64 v[48:49], -v[42:43], v[58:59], v[48:49]
	v_mov_b32_e32 v58, s21
	s_waitcnt lgkmcnt(0)
	v_fma_f64 v[48:49], -v[46:47], v[68:69], v[48:49]
	ds_read_b64 v[62:63], v58
	v_mul_f64 v[48:49], v[66:67], v[48:49]
	s_add_i32 s25, s21, -16
	ds_write_b64 v57, v[48:49] offset:6272
	v_mov_b32_e32 v57, s25
	ds_read2_b64 v[58:61], v57 offset1:1
	s_sub_i32 s25, s21, 32
	v_mov_b32_e32 v57, s25
	s_waitcnt lgkmcnt(2)
	v_fma_f64 v[44:45], -v[8:9], v[62:63], v[44:45]
	s_sub_i32 s25, s21, 48
	ds_read2_b64 v[62:65], v57 offset1:1
	v_mov_b32_e32 v57, s25
	ds_read2_b64 v[66:69], v57 offset1:1
	s_sub_i32 s25, s21, 64
	s_waitcnt lgkmcnt(2)
	v_fma_f64 v[44:45], -v[10:11], v[60:61], v[44:45]
	v_mov_b32_e32 v57, s25
	v_fma_f64 v[44:45], -v[6:7], v[58:59], v[44:45]
	ds_read2_b64 v[58:61], v57 offset1:1
	s_waitcnt lgkmcnt(2)
	v_fma_f64 v[44:45], -v[14:15], v[64:65], v[44:45]
	v_fma_f64 v[44:45], -v[16:17], v[62:63], v[44:45]
	s_add_i32 s25, s21, 0xffffffb0
	s_waitcnt lgkmcnt(1)
	v_fma_f64 v[44:45], -v[18:19], v[68:69], v[44:45]
	v_mov_b32_e32 v57, s25
	v_fma_f64 v[44:45], -v[20:21], v[66:67], v[44:45]
	ds_read2_b64 v[62:65], v57 offset1:1
	s_add_i32 s25, s21, 0xffffffa0
	s_waitcnt lgkmcnt(1)
	v_fma_f64 v[44:45], -v[24:25], v[60:61], v[44:45]
	v_mov_b32_e32 v57, s25
	v_fma_f64 v[44:45], -v[26:27], v[58:59], v[44:45]
	ds_read2_b64 v[58:61], v57 offset1:1
	s_addk_i32 s21, 0xff90
	v_mov_b32_e32 v57, s21
	s_waitcnt lgkmcnt(1)
	v_fma_f64 v[44:45], -v[30:31], v[64:65], v[44:45]
	ds_read2_b64 v[66:69], v57 offset1:1
	v_fma_f64 v[44:45], -v[32:33], v[62:63], v[44:45]
	s_add_i32 s21, s12, 0xfffff180
	s_waitcnt lgkmcnt(1)
	v_fma_f64 v[44:45], -v[36:37], v[60:61], v[44:45]
	v_mov_b32_e32 v57, s21
	v_fma_f64 v[44:45], -v[38:39], v[58:59], v[44:45]
	ds_read2_b64 v[58:61], v57 offset1:1
	s_add_i32 s20, s20, s8
	s_waitcnt lgkmcnt(1)
	v_fma_f64 v[44:45], -v[42:43], v[68:69], v[44:45]
	s_lshl_b32 s20, s20, 3
	v_fma_f64 v[44:45], -v[46:47], v[66:67], v[44:45]
	s_add_i32 s21, s20, -8
	v_mov_b32_e32 v57, s21
	s_waitcnt lgkmcnt(0)
	v_fma_f64 v[44:45], -v[48:49], v[60:61], v[44:45]
	ds_read2_b64 v[62:65], v57 offset1:1
	v_mul_f64 v[44:45], v[58:59], v[44:45]
	s_sub_i32 s21, s20, 24
	ds_write_b64 v56, v[44:45] offset:6272
	v_mov_b32_e32 v56, s21
	ds_read2_b64 v[56:59], v56 offset1:1
	s_sub_i32 s21, s20, 40
	s_waitcnt lgkmcnt(2)
	v_fma_f64 v[40:41], -v[8:9], v[64:65], v[40:41]
	v_mov_b32_e32 v60, s21
	ds_read2_b64 v[66:69], v60 offset1:1
	v_fma_f64 v[40:41], -v[10:11], v[62:63], v[40:41]
	s_waitcnt lgkmcnt(1)
	v_fma_f64 v[40:41], -v[6:7], v[58:59], v[40:41]
	s_sub_i32 s21, s20, 56
	v_fma_f64 v[40:41], -v[14:15], v[56:57], v[40:41]
	v_mov_b32_e32 v56, s21
	ds_read2_b64 v[56:59], v56 offset1:1
	s_waitcnt lgkmcnt(1)
	v_fma_f64 v[40:41], -v[16:17], v[68:69], v[40:41]
	s_add_i32 s21, s20, 0xffffffb8
	v_fma_f64 v[40:41], -v[18:19], v[66:67], v[40:41]
	v_mov_b32_e32 v60, s21
	ds_read2_b64 v[60:63], v60 offset1:1
	s_waitcnt lgkmcnt(1)
	v_fma_f64 v[40:41], -v[20:21], v[58:59], v[40:41]
	s_add_i32 s21, s20, 0xffffffa8
	v_fma_f64 v[40:41], -v[24:25], v[56:57], v[40:41]
	v_mov_b32_e32 v56, s21
	ds_read2_b64 v[56:59], v56 offset1:1
	s_add_i32 s21, s20, 0xffffff98
	s_waitcnt lgkmcnt(1)
	v_fma_f64 v[40:41], -v[26:27], v[62:63], v[40:41]
	v_mov_b32_e32 v64, s21
	ds_read2_b64 v[64:67], v64 offset1:1
	v_fma_f64 v[40:41], -v[30:31], v[60:61], v[40:41]
	s_waitcnt lgkmcnt(1)
	v_fma_f64 v[40:41], -v[32:33], v[58:59], v[40:41]
	s_addk_i32 s20, 0xff88
	v_fma_f64 v[40:41], -v[36:37], v[56:57], v[40:41]
	v_mov_b32_e32 v56, s20
	ds_read2_b64 v[56:59], v56 offset1:1
	s_add_i32 s20, s12, 0xfffff098
	s_waitcnt lgkmcnt(1)
	v_fma_f64 v[40:41], -v[38:39], v[66:67], v[40:41]
	v_mov_b32_e32 v60, s20
	ds_read2_b64 v[60:63], v60 offset1:1
	s_add_i32 s19, s19, s8
	v_fma_f64 v[40:41], -v[42:43], v[64:65], v[40:41]
	s_lshl_b32 s19, s19, 3
	s_waitcnt lgkmcnt(1)
	v_fma_f64 v[40:41], -v[46:47], v[58:59], v[40:41]
	s_add_i32 s20, s19, -16
	v_fma_f64 v[40:41], -v[48:49], v[56:57], v[40:41]
	v_mov_b32_e32 v56, s19
	v_mov_b32_e32 v57, s20
	ds_read_b64 v[64:65], v56
	ds_read2_b64 v[56:59], v57 offset1:1
	s_waitcnt lgkmcnt(2)
	v_fma_f64 v[40:41], -v[44:45], v[62:63], v[40:41]
	v_mul_f64 v[40:41], v[60:61], v[40:41]
	s_sub_i32 s20, s19, 32
	ds_write_b64 v55, v[40:41] offset:6272
	s_waitcnt lgkmcnt(2)
	v_fma_f64 v[34:35], -v[8:9], v[64:65], v[34:35]
	v_mov_b32_e32 v55, s20
	s_waitcnt lgkmcnt(1)
	v_fma_f64 v[34:35], -v[10:11], v[58:59], v[34:35]
	ds_read2_b64 v[58:61], v55 offset1:1
	s_sub_i32 s20, s19, 48
	v_mov_b32_e32 v55, s20
	v_fma_f64 v[34:35], -v[6:7], v[56:57], v[34:35]
	ds_read2_b64 v[62:65], v55 offset1:1
	s_sub_i32 s20, s19, 64
	s_waitcnt lgkmcnt(1)
	v_fma_f64 v[34:35], -v[14:15], v[60:61], v[34:35]
	v_mov_b32_e32 v55, s20
	v_fma_f64 v[34:35], -v[16:17], v[58:59], v[34:35]
	ds_read2_b64 v[56:59], v55 offset1:1
	s_add_i32 s20, s19, 0xffffffb0
	v_mov_b32_e32 v55, s20
	s_waitcnt lgkmcnt(1)
	v_fma_f64 v[34:35], -v[18:19], v[64:65], v[34:35]
	ds_read2_b64 v[66:69], v55 offset1:1
	v_fma_f64 v[34:35], -v[20:21], v[62:63], v[34:35]
	s_add_i32 s20, s19, 0xffffffa0
	s_waitcnt lgkmcnt(1)
	v_fma_f64 v[34:35], -v[24:25], v[58:59], v[34:35]
	v_mov_b32_e32 v55, s20
	v_fma_f64 v[34:35], -v[26:27], v[56:57], v[34:35]
	ds_read2_b64 v[56:59], v55 offset1:1
	s_add_i32 s20, s19, 0xffffff90
	s_waitcnt lgkmcnt(1)
	v_fma_f64 v[34:35], -v[30:31], v[68:69], v[34:35]
	v_mov_b32_e32 v55, s20
	v_fma_f64 v[34:35], -v[32:33], v[66:67], v[34:35]
	ds_read2_b64 v[60:63], v55 offset1:1
	s_addk_i32 s19, 0xff80
	s_waitcnt lgkmcnt(1)
	v_fma_f64 v[34:35], -v[36:37], v[58:59], v[34:35]
	v_mov_b32_e32 v55, s19
	v_fma_f64 v[34:35], -v[38:39], v[56:57], v[34:35]
	s_add_i32 s19, s12, 0xffffefb0
	ds_read2_b64 v[56:59], v55 offset1:1
	v_mov_b32_e32 v55, s19
	ds_read2_b64 v[64:67], v55 offset1:1
	s_add_i32 s18, s18, s8
	s_waitcnt lgkmcnt(2)
	v_fma_f64 v[34:35], -v[42:43], v[62:63], v[34:35]
	s_lshl_b32 s18, s18, 3
	v_fma_f64 v[34:35], -v[46:47], v[60:61], v[34:35]
	s_add_i32 s19, s18, -8
	s_waitcnt lgkmcnt(1)
	v_fma_f64 v[34:35], -v[48:49], v[58:59], v[34:35]
	v_mov_b32_e32 v55, s19
	v_fma_f64 v[34:35], -v[44:45], v[56:57], v[34:35]
	ds_read2_b64 v[56:59], v55 offset1:1
	s_waitcnt lgkmcnt(1)
	v_fma_f64 v[34:35], -v[40:41], v[66:67], v[34:35]
	v_mul_f64 v[34:35], v[64:65], v[34:35]
	s_sub_i32 s19, s18, 24
	ds_write_b64 v54, v[34:35] offset:6272
	v_mov_b32_e32 v54, s19
	ds_read2_b64 v[60:63], v54 offset1:1
	s_sub_i32 s19, s18, 40
	s_waitcnt lgkmcnt(2)
	v_fma_f64 v[28:29], -v[8:9], v[58:59], v[28:29]
	v_mov_b32_e32 v54, s19
	v_fma_f64 v[28:29], -v[10:11], v[56:57], v[28:29]
	ds_read2_b64 v[54:57], v54 offset1:1
	s_sub_i32 s19, s18, 56
	s_waitcnt lgkmcnt(1)
	v_fma_f64 v[28:29], -v[6:7], v[62:63], v[28:29]
	v_mov_b32_e32 v58, s19
	ds_read2_b64 v[64:67], v58 offset1:1
	v_fma_f64 v[28:29], -v[14:15], v[60:61], v[28:29]
	s_waitcnt lgkmcnt(1)
	v_fma_f64 v[28:29], -v[16:17], v[56:57], v[28:29]
	s_add_i32 s19, s18, 0xffffffb8
	v_fma_f64 v[28:29], -v[18:19], v[54:55], v[28:29]
	v_mov_b32_e32 v54, s19
	ds_read2_b64 v[54:57], v54 offset1:1
	s_waitcnt lgkmcnt(1)
	v_fma_f64 v[28:29], -v[20:21], v[66:67], v[28:29]
	s_add_i32 s19, s18, 0xffffffa8
	v_fma_f64 v[28:29], -v[24:25], v[64:65], v[28:29]
	v_mov_b32_e32 v58, s19
	ds_read2_b64 v[58:61], v58 offset1:1
	;; [unrolled: 6-line block ×3, first 2 shown]
	s_add_i32 s19, s18, 0xffffff88
	s_waitcnt lgkmcnt(1)
	v_fma_f64 v[28:29], -v[32:33], v[60:61], v[28:29]
	v_mov_b32_e32 v62, s19
	ds_read2_b64 v[62:65], v62 offset1:1
	v_fma_f64 v[28:29], -v[36:37], v[58:59], v[28:29]
	s_waitcnt lgkmcnt(1)
	v_fma_f64 v[28:29], -v[38:39], v[56:57], v[28:29]
	s_addk_i32 s18, 0xff78
	v_fma_f64 v[28:29], -v[42:43], v[54:55], v[28:29]
	v_mov_b32_e32 v54, s18
	ds_read2_b64 v[54:57], v54 offset1:1
	s_add_i32 s18, s12, 0xffffeec8
	s_waitcnt lgkmcnt(1)
	v_fma_f64 v[28:29], -v[46:47], v[64:65], v[28:29]
	v_mov_b32_e32 v58, s18
	ds_read2_b64 v[58:61], v58 offset1:1
	s_add_i32 s17, s17, s8
	v_fma_f64 v[28:29], -v[48:49], v[62:63], v[28:29]
	s_lshl_b32 s17, s17, 3
	s_waitcnt lgkmcnt(1)
	v_fma_f64 v[28:29], -v[44:45], v[56:57], v[28:29]
	s_add_i32 s18, s17, -16
	v_fma_f64 v[28:29], -v[40:41], v[54:55], v[28:29]
	v_mov_b32_e32 v54, s17
	v_mov_b32_e32 v55, s18
	ds_read_b64 v[62:63], v54
	ds_read2_b64 v[54:57], v55 offset1:1
	s_waitcnt lgkmcnt(2)
	v_fma_f64 v[28:29], -v[34:35], v[60:61], v[28:29]
	v_mul_f64 v[28:29], v[58:59], v[28:29]
	s_sub_i32 s18, s17, 32
	ds_write_b64 v53, v[28:29] offset:6272
	s_waitcnt lgkmcnt(2)
	v_fma_f64 v[22:23], -v[8:9], v[62:63], v[22:23]
	v_mov_b32_e32 v53, s18
	s_waitcnt lgkmcnt(1)
	v_fma_f64 v[22:23], -v[10:11], v[56:57], v[22:23]
	ds_read2_b64 v[56:59], v53 offset1:1
	s_sub_i32 s18, s17, 48
	v_mov_b32_e32 v53, s18
	v_fma_f64 v[22:23], -v[6:7], v[54:55], v[22:23]
	ds_read2_b64 v[60:63], v53 offset1:1
	s_sub_i32 s18, s17, 64
	s_waitcnt lgkmcnt(1)
	v_fma_f64 v[22:23], -v[14:15], v[58:59], v[22:23]
	v_mov_b32_e32 v53, s18
	v_fma_f64 v[22:23], -v[16:17], v[56:57], v[22:23]
	ds_read2_b64 v[54:57], v53 offset1:1
	s_add_i32 s18, s17, 0xffffffb0
	v_mov_b32_e32 v53, s18
	s_waitcnt lgkmcnt(1)
	v_fma_f64 v[22:23], -v[18:19], v[62:63], v[22:23]
	ds_read2_b64 v[64:67], v53 offset1:1
	v_fma_f64 v[22:23], -v[20:21], v[60:61], v[22:23]
	s_add_i32 s18, s17, 0xffffffa0
	s_waitcnt lgkmcnt(1)
	v_fma_f64 v[22:23], -v[24:25], v[56:57], v[22:23]
	v_mov_b32_e32 v53, s18
	v_fma_f64 v[22:23], -v[26:27], v[54:55], v[22:23]
	ds_read2_b64 v[54:57], v53 offset1:1
	s_add_i32 s18, s17, 0xffffff90
	s_waitcnt lgkmcnt(1)
	v_fma_f64 v[22:23], -v[30:31], v[66:67], v[22:23]
	v_mov_b32_e32 v53, s18
	v_fma_f64 v[22:23], -v[32:33], v[64:65], v[22:23]
	ds_read2_b64 v[58:61], v53 offset1:1
	;; [unrolled: 6-line block ×3, first 2 shown]
	s_addk_i32 s17, 0xff70
	v_mov_b32_e32 v53, s17
	s_waitcnt lgkmcnt(1)
	v_fma_f64 v[22:23], -v[42:43], v[60:61], v[22:23]
	ds_read2_b64 v[62:65], v53 offset1:1
	v_fma_f64 v[22:23], -v[46:47], v[58:59], v[22:23]
	s_add_i32 s17, s12, 0xffffede0
	s_waitcnt lgkmcnt(1)
	v_fma_f64 v[22:23], -v[48:49], v[56:57], v[22:23]
	v_mov_b32_e32 v53, s17
	v_fma_f64 v[22:23], -v[44:45], v[54:55], v[22:23]
	ds_read2_b64 v[54:57], v53 offset1:1
	s_add_i32 s16, s16, s8
	s_waitcnt lgkmcnt(1)
	v_fma_f64 v[22:23], -v[40:41], v[64:65], v[22:23]
	s_lshl_b32 s16, s16, 3
	v_fma_f64 v[22:23], -v[34:35], v[62:63], v[22:23]
	s_add_i32 s17, s16, -8
	v_mov_b32_e32 v53, s17
	s_waitcnt lgkmcnt(0)
	v_fma_f64 v[22:23], -v[28:29], v[56:57], v[22:23]
	ds_read2_b64 v[58:61], v53 offset1:1
	v_mul_f64 v[22:23], v[54:55], v[22:23]
	s_sub_i32 s17, s16, 24
	ds_write_b64 v52, v[22:23] offset:6272
	v_mov_b32_e32 v52, s17
	ds_read2_b64 v[52:55], v52 offset1:1
	s_sub_i32 s17, s16, 40
	s_waitcnt lgkmcnt(2)
	v_fma_f64 v[12:13], -v[8:9], v[60:61], v[12:13]
	v_mov_b32_e32 v56, s17
	ds_read2_b64 v[62:65], v56 offset1:1
	v_fma_f64 v[12:13], -v[10:11], v[58:59], v[12:13]
	s_waitcnt lgkmcnt(1)
	v_fma_f64 v[12:13], -v[6:7], v[54:55], v[12:13]
	s_sub_i32 s17, s16, 56
	v_fma_f64 v[12:13], -v[14:15], v[52:53], v[12:13]
	v_mov_b32_e32 v52, s17
	ds_read2_b64 v[52:55], v52 offset1:1
	s_waitcnt lgkmcnt(1)
	v_fma_f64 v[12:13], -v[16:17], v[64:65], v[12:13]
	s_add_i32 s17, s16, 0xffffffb8
	v_fma_f64 v[12:13], -v[18:19], v[62:63], v[12:13]
	v_mov_b32_e32 v56, s17
	ds_read2_b64 v[56:59], v56 offset1:1
	s_waitcnt lgkmcnt(1)
	v_fma_f64 v[12:13], -v[20:21], v[54:55], v[12:13]
	s_add_i32 s17, s16, 0xffffffa8
	v_fma_f64 v[12:13], -v[24:25], v[52:53], v[12:13]
	v_mov_b32_e32 v52, s17
	ds_read2_b64 v[52:55], v52 offset1:1
	s_add_i32 s17, s16, 0xffffff98
	s_waitcnt lgkmcnt(1)
	v_fma_f64 v[12:13], -v[26:27], v[58:59], v[12:13]
	v_mov_b32_e32 v60, s17
	ds_read2_b64 v[60:63], v60 offset1:1
	v_fma_f64 v[12:13], -v[30:31], v[56:57], v[12:13]
	s_waitcnt lgkmcnt(1)
	v_fma_f64 v[12:13], -v[32:33], v[54:55], v[12:13]
	s_add_i32 s17, s16, 0xffffff88
	v_fma_f64 v[12:13], -v[36:37], v[52:53], v[12:13]
	v_mov_b32_e32 v52, s17
	ds_read2_b64 v[52:55], v52 offset1:1
	s_waitcnt lgkmcnt(1)
	v_fma_f64 v[12:13], -v[38:39], v[62:63], v[12:13]
	s_add_i32 s17, s16, 0xffffff78
	v_fma_f64 v[12:13], -v[42:43], v[60:61], v[12:13]
	v_mov_b32_e32 v56, s17
	ds_read2_b64 v[56:59], v56 offset1:1
	s_waitcnt lgkmcnt(1)
	v_fma_f64 v[12:13], -v[46:47], v[54:55], v[12:13]
	s_addk_i32 s16, 0xff68
	v_fma_f64 v[12:13], -v[48:49], v[52:53], v[12:13]
	v_mov_b32_e32 v52, s16
	s_add_i32 s16, s12, 0xffffecf8
	ds_read2_b64 v[52:55], v52 offset1:1
	v_mov_b32_e32 v60, s16
	ds_read2_b64 v[60:63], v60 offset1:1
	s_waitcnt lgkmcnt(2)
	v_fma_f64 v[12:13], -v[44:45], v[58:59], v[12:13]
	v_fma_f64 v[12:13], -v[40:41], v[56:57], v[12:13]
	s_add_i32 s13, s13, s8
	s_waitcnt lgkmcnt(1)
	v_fma_f64 v[12:13], -v[34:35], v[54:55], v[12:13]
	s_lshl_b32 s13, s13, 3
	v_fma_f64 v[12:13], -v[28:29], v[52:53], v[12:13]
	v_mov_b32_e32 v52, s13
	s_waitcnt lgkmcnt(0)
	v_fma_f64 v[12:13], -v[22:23], v[62:63], v[12:13]
	ds_read_b64 v[56:57], v52
	v_mul_f64 v[12:13], v[60:61], v[12:13]
	s_add_i32 s16, s13, -16
	ds_write_b64 v51, v[12:13] offset:6272
	v_mov_b32_e32 v51, s16
	ds_read2_b64 v[52:55], v51 offset1:1
	s_sub_i32 s16, s13, 32
	v_mov_b32_e32 v51, s16
	s_waitcnt lgkmcnt(2)
	v_fma_f64 v[4:5], -v[8:9], v[56:57], v[4:5]
	s_sub_i32 s16, s13, 48
	ds_read2_b64 v[56:59], v51 offset1:1
	v_mov_b32_e32 v51, s16
	ds_read2_b64 v[60:63], v51 offset1:1
	s_sub_i32 s16, s13, 64
	s_waitcnt lgkmcnt(2)
	v_fma_f64 v[4:5], -v[10:11], v[54:55], v[4:5]
	v_mov_b32_e32 v51, s16
	v_fma_f64 v[4:5], -v[6:7], v[52:53], v[4:5]
	ds_read2_b64 v[52:55], v51 offset1:1
	s_waitcnt lgkmcnt(2)
	v_fma_f64 v[4:5], -v[14:15], v[58:59], v[4:5]
	v_fma_f64 v[4:5], -v[16:17], v[56:57], v[4:5]
	s_add_i32 s16, s13, 0xffffffb0
	s_waitcnt lgkmcnt(1)
	v_fma_f64 v[4:5], -v[18:19], v[62:63], v[4:5]
	v_mov_b32_e32 v51, s16
	v_fma_f64 v[4:5], -v[20:21], v[60:61], v[4:5]
	ds_read2_b64 v[56:59], v51 offset1:1
	s_add_i32 s16, s13, 0xffffffa0
	s_waitcnt lgkmcnt(1)
	v_fma_f64 v[4:5], -v[24:25], v[54:55], v[4:5]
	v_mov_b32_e32 v51, s16
	v_fma_f64 v[4:5], -v[26:27], v[52:53], v[4:5]
	ds_read2_b64 v[52:55], v51 offset1:1
	s_add_i32 s16, s13, 0xffffff90
	v_mov_b32_e32 v51, s16
	s_waitcnt lgkmcnt(1)
	v_fma_f64 v[4:5], -v[30:31], v[58:59], v[4:5]
	ds_read2_b64 v[60:63], v51 offset1:1
	v_fma_f64 v[4:5], -v[32:33], v[56:57], v[4:5]
	s_add_i32 s16, s13, 0xffffff80
	s_waitcnt lgkmcnt(1)
	v_fma_f64 v[4:5], -v[36:37], v[54:55], v[4:5]
	v_mov_b32_e32 v51, s16
	v_fma_f64 v[4:5], -v[38:39], v[52:53], v[4:5]
	ds_read2_b64 v[52:55], v51 offset1:1
	s_add_i32 s16, s13, 0xffffff70
	s_waitcnt lgkmcnt(1)
	v_fma_f64 v[4:5], -v[42:43], v[62:63], v[4:5]
	v_mov_b32_e32 v51, s16
	v_fma_f64 v[4:5], -v[46:47], v[60:61], v[4:5]
	ds_read2_b64 v[56:59], v51 offset1:1
	s_addk_i32 s13, 0xff60
	s_waitcnt lgkmcnt(1)
	v_fma_f64 v[4:5], -v[48:49], v[54:55], v[4:5]
	v_mov_b32_e32 v51, s13
	v_fma_f64 v[4:5], -v[44:45], v[52:53], v[4:5]
	s_add_i32 s13, s12, 0xffffec10
	ds_read2_b64 v[52:55], v51 offset1:1
	v_mov_b32_e32 v51, s13
	ds_read2_b64 v[60:63], v51 offset1:1
	s_waitcnt lgkmcnt(2)
	v_fma_f64 v[4:5], -v[40:41], v[58:59], v[4:5]
	v_fma_f64 v[4:5], -v[34:35], v[56:57], v[4:5]
	s_waitcnt lgkmcnt(1)
	v_fma_f64 v[4:5], -v[28:29], v[54:55], v[4:5]
	s_add_i32 s9, s9, s8
	v_fma_f64 v[4:5], -v[22:23], v[52:53], v[4:5]
	s_lshl_b32 s9, s9, 3
	s_waitcnt lgkmcnt(0)
	v_fma_f64 v[4:5], -v[12:13], v[62:63], v[4:5]
	s_add_i32 s13, s9, -8
	v_mul_f64 v[60:61], v[60:61], v[4:5]
	v_mov_b32_e32 v4, s13
	ds_read2_b64 v[52:55], v4 offset1:1
	s_sub_i32 s13, s9, 24
	v_mov_b32_e32 v4, s13
	ds_read2_b64 v[56:59], v4 offset1:1
	s_sub_i32 s13, s9, 40
	s_waitcnt lgkmcnt(1)
	v_fma_f64 v[2:3], -v[8:9], v[54:55], v[2:3]
	ds_write_b64 v50, v[60:61] offset:6272
	v_fma_f64 v[50:51], -v[10:11], v[52:53], v[2:3]
	v_mov_b32_e32 v2, s13
	s_sub_i32 s13, s9, 56
	ds_read2_b64 v[2:5], v2 offset1:1
	v_mov_b32_e32 v8, s13
	ds_read2_b64 v[8:11], v8 offset1:1
	s_waitcnt lgkmcnt(3)
	v_fma_f64 v[6:7], -v[6:7], v[58:59], v[50:51]
	v_fma_f64 v[6:7], -v[14:15], v[56:57], v[6:7]
	s_waitcnt lgkmcnt(1)
	v_fma_f64 v[4:5], -v[16:17], v[4:5], v[6:7]
	v_fma_f64 v[2:3], -v[18:19], v[2:3], v[4:5]
	s_add_i32 s13, s9, 0xffffffb8
	s_waitcnt lgkmcnt(0)
	v_fma_f64 v[6:7], -v[20:21], v[10:11], v[2:3]
	v_mov_b32_e32 v2, s13
	ds_read2_b64 v[2:5], v2 offset1:1
	s_add_i32 s13, s9, 0xffffffa8
	v_fma_f64 v[10:11], -v[24:25], v[8:9], v[6:7]
	v_mov_b32_e32 v6, s13
	ds_read2_b64 v[6:9], v6 offset1:1
	s_waitcnt lgkmcnt(1)
	v_fma_f64 v[4:5], -v[26:27], v[4:5], v[10:11]
	s_add_i32 s13, s9, 0xffffff98
	v_fma_f64 v[10:11], -v[30:31], v[2:3], v[4:5]
	v_mov_b32_e32 v2, s13
	s_add_i32 s13, s9, 0xffffff88
	ds_read2_b64 v[2:5], v2 offset1:1
	v_mov_b32_e32 v14, s13
	ds_read2_b64 v[14:17], v14 offset1:1
	s_waitcnt lgkmcnt(2)
	v_fma_f64 v[8:9], -v[32:33], v[8:9], v[10:11]
	v_fma_f64 v[6:7], -v[36:37], v[6:7], v[8:9]
	s_waitcnt lgkmcnt(1)
	v_fma_f64 v[4:5], -v[38:39], v[4:5], v[6:7]
	v_fma_f64 v[2:3], -v[42:43], v[2:3], v[4:5]
	s_add_i32 s13, s9, 0xffffff78
	s_waitcnt lgkmcnt(0)
	v_fma_f64 v[6:7], -v[46:47], v[16:17], v[2:3]
	v_mov_b32_e32 v2, s13
	ds_read2_b64 v[2:5], v2 offset1:1
	s_add_i32 s13, s9, 0xffffff68
	v_fma_f64 v[10:11], -v[48:49], v[14:15], v[6:7]
	v_mov_b32_e32 v6, s13
	ds_read2_b64 v[6:9], v6 offset1:1
	s_waitcnt lgkmcnt(1)
	v_fma_f64 v[4:5], -v[44:45], v[4:5], v[10:11]
	s_addk_i32 s9, 0xff58
	v_fma_f64 v[10:11], -v[40:41], v[2:3], v[4:5]
	v_mov_b32_e32 v2, s9
	s_add_i32 s9, s12, 0xffffeb28
	ds_read2_b64 v[2:5], v2 offset1:1
	v_mov_b32_e32 v14, s9
	ds_read2_b64 v[14:17], v14 offset1:1
	s_waitcnt lgkmcnt(2)
	v_fma_f64 v[8:9], -v[34:35], v[8:9], v[10:11]
	v_fma_f64 v[6:7], -v[28:29], v[6:7], v[8:9]
	s_waitcnt lgkmcnt(1)
	v_fma_f64 v[4:5], -v[22:23], v[4:5], v[6:7]
	v_fma_f64 v[2:3], -v[12:13], v[2:3], v[4:5]
	s_waitcnt lgkmcnt(0)
	v_fma_f64 v[2:3], -v[60:61], v[16:17], v[2:3]
	v_mul_f64 v[2:3], v[14:15], v[2:3]
	s_sub_i32 s8, s8, 24
	ds_write_b64 v1, v[2:3] offset:6272
.LBB99_26:
	s_cmp_lt_i32 s8, 0
	s_cbranch_scc1 .LBB99_39
; %bb.27:
	s_bitcmp1_b32 s8, 0
	s_cselect_b64 s[12:13], -1, 0
	s_and_b64 vcc, exec, s[12:13]
	s_mov_b32 s9, s8
	s_cbranch_vccnz .LBB99_32
; %bb.28:
	s_mul_i32 s9, s8, 28
	v_add_lshl_u32 v1, s9, v0, 3
	ds_read_b64 v[2:3], v1 offset:6272
	s_cmp_le_i32 s31, s8
	s_cbranch_scc1 .LBB99_31
; %bb.29:
	s_mul_i32 s9, s8, 0xe0
	s_lshl_b32 s12, s30, 3
	s_add_i32 s9, s9, s12
	s_mul_i32 s12, s30, 0xe0
	v_lshl_add_u32 v4, v0, 3, s12
	s_add_i32 s9, s9, -8
	v_add_u32_e32 v4, 0x17a0, v4
	s_mov_b32 s12, s31
.LBB99_30:                              ; =>This Inner Loop Header: Depth=1
	v_mov_b32_e32 v5, s9
	ds_read_b64 v[6:7], v4
	ds_read_b64 v[8:9], v5
	s_add_i32 s12, s12, -1
	s_add_i32 s9, s9, -8
	v_add_u32_e32 v4, 0xffffff20, v4
	s_cmp_gt_i32 s12, s8
	s_waitcnt lgkmcnt(0)
	v_fma_f64 v[2:3], -v[6:7], v[8:9], v[2:3]
	s_cbranch_scc1 .LBB99_30
.LBB99_31:
	s_mul_i32 s9, s8, 0xe8
	v_mov_b32_e32 v4, s9
	ds_read_b64 v[4:5], v4
	v_add_u32_e32 v1, 0x1880, v1
	s_add_i32 s9, s8, -1
	s_waitcnt lgkmcnt(0)
	v_mul_f64 v[2:3], v[4:5], v[2:3]
	ds_write_b64 v1, v[2:3]
.LBB99_32:
	s_cmp_eq_u32 s8, 0
	s_cbranch_scc1 .LBB99_39
; %bb.33:
	s_mul_i32 s8, s9, 0xe0
	s_lshl_b32 s12, s30, 3
	s_mul_i32 s13, s30, 0xe0
	s_add_i32 s12, s8, s12
	v_lshl_add_u32 v1, v0, 3, s13
	s_add_i32 s8, s12, -8
	v_add_u32_e32 v1, 0x17a0, v1
	s_addk_i32 s12, 0xff18
	s_branch .LBB99_35
.LBB99_34:                              ;   in Loop: Header=BB99_35 Depth=1
	s_addk_i32 s13, 0xff18
	v_mov_b32_e32 v3, s13
	v_add_u32_e32 v2, 0x1880, v6
	ds_read_b64 v[6:7], v3
	s_add_i32 s13, s9, -2
	s_addk_i32 s8, 0xfe40
	s_addk_i32 s12, 0xfe40
	s_cmp_lt_i32 s9, 2
	s_waitcnt lgkmcnt(0)
	v_mul_f64 v[4:5], v[6:7], v[4:5]
	s_mov_b32 s9, s13
	ds_write_b64 v2, v[4:5]
	s_cbranch_scc1 .LBB99_39
.LBB99_35:                              ; =>This Loop Header: Depth=1
                                        ;     Child Loop BB99_36 Depth 2
                                        ;     Child Loop BB99_38 Depth 2
	s_mul_i32 s16, s9, 28
	v_add_lshl_u32 v4, s16, v0, 3
	ds_read_b64 v[2:3], v4 offset:6272
	s_cmp_le_i32 s31, s9
	v_mov_b32_e32 v5, v1
	s_mov_b32 s13, s8
	s_mov_b32 s17, s31
	s_cbranch_scc1 .LBB99_37
.LBB99_36:                              ;   Parent Loop BB99_35 Depth=1
                                        ; =>  This Inner Loop Header: Depth=2
	v_mov_b32_e32 v8, s13
	ds_read_b64 v[6:7], v5
	ds_read_b64 v[8:9], v8
	s_add_i32 s17, s17, -1
	s_add_i32 s13, s13, -8
	v_add_u32_e32 v5, 0xffffff20, v5
	s_cmp_gt_i32 s17, s9
	s_waitcnt lgkmcnt(0)
	v_fma_f64 v[2:3], -v[6:7], v[8:9], v[2:3]
	s_cbranch_scc1 .LBB99_36
.LBB99_37:                              ;   in Loop: Header=BB99_35 Depth=1
	s_mul_i32 s13, s9, 0xe8
	v_add_u32_e32 v7, 0x1880, v4
	v_mov_b32_e32 v4, s13
	ds_read_b64 v[8:9], v4
	s_sub_i32 s16, s16, 28
	v_add_lshl_u32 v6, s16, v0, 3
	ds_read_b64 v[4:5], v6 offset:6272
	s_cmp_lt_i32 s31, s9
	s_waitcnt lgkmcnt(1)
	v_mul_f64 v[2:3], v[8:9], v[2:3]
	ds_write_b64 v7, v[2:3]
	v_mov_b32_e32 v2, v1
	s_mov_b32 s16, s12
	s_mov_b32 s17, s30
	s_cbranch_scc1 .LBB99_34
.LBB99_38:                              ;   Parent Loop BB99_35 Depth=1
                                        ; =>  This Inner Loop Header: Depth=2
	v_mov_b32_e32 v3, s16
	ds_read_b64 v[8:9], v2
	ds_read_b64 v[10:11], v3
	s_add_i32 s17, s17, -1
	s_add_i32 s16, s16, -8
	v_add_u32_e32 v2, 0xffffff20, v2
	s_cmp_gt_i32 s17, s9
	s_waitcnt lgkmcnt(0)
	v_fma_f64 v[4:5], -v[8:9], v[10:11], v[4:5]
	s_cbranch_scc1 .LBB99_38
	s_branch .LBB99_34
.LBB99_39:
	s_mov_b64 s[8:9], 0
.LBB99_40:
	s_and_b64 vcc, exec, s[8:9]
	s_cbranch_vccz .LBB99_60
; %bb.41:
	s_cmp_gt_i32 s10, 27
	s_cselect_b64 s[8:9], -1, 0
	s_mov_b32 s12, 0
	s_and_b64 vcc, exec, s[8:9]
	s_cbranch_vccz .LBB99_43
; %bb.42:
	v_lshlrev_b32_e32 v1, 3, v0
	v_add_u32_e32 v70, 0x1800, v1
	v_add_u32_e32 v119, 0x1c00, v1
	;; [unrolled: 1-line block ×4, first 2 shown]
	v_mov_b32_e32 v116, 0
	ds_read2_b64 v[58:61], v70 offset0:16 offset1:44
	ds_read2_b64 v[50:53], v70 offset0:72 offset1:100
	;; [unrolled: 1-line block ×13, first 2 shown]
	ds_read_b128 v[62:65], v116
	v_add_u32_e32 v1, 0x2c00, v1
	ds_read2_b64 v[2:5], v1 offset0:104 offset1:132
	ds_read2_b64 v[66:69], v116 offset0:29 offset1:30
	ds_read_b128 v[54:57], v116 offset:16
	s_movk_i32 s12, 0x800
	s_waitcnt lgkmcnt(3)
	v_mul_f64 v[98:99], v[62:63], v[58:59]
	v_fma_f64 v[62:63], -v[98:99], v[64:65], v[60:61]
	s_waitcnt lgkmcnt(1)
	v_mul_f64 v[100:101], v[66:67], v[62:63]
	ds_read_b128 v[62:65], v116 offset:464
	ds_read2_b64 v[58:61], v116 offset0:31 offset1:32
	s_waitcnt lgkmcnt(2)
	v_fma_f64 v[50:51], -v[98:99], v[54:55], v[50:51]
	v_fma_f64 v[50:51], -v[100:101], v[68:69], v[50:51]
	ds_read2_b64 v[66:69], v116 offset0:53 offset1:54
	s_waitcnt lgkmcnt(2)
	v_mul_f64 v[102:103], v[62:63], v[50:51]
	v_fma_f64 v[54:55], -v[98:99], v[56:57], v[52:53]
	ds_read2_b64 v[50:53], v116 offset0:87 offset1:88
	s_waitcnt lgkmcnt(2)
	v_fma_f64 v[54:55], -v[100:101], v[58:59], v[54:55]
	ds_write2_b64 v70, v[98:99], v[100:101] offset0:16 offset1:44
	v_fma_f64 v[58:59], -v[102:103], v[64:65], v[54:55]
	ds_read2_b64 v[54:57], v116 offset0:89 offset1:90
	ds_read_b128 v[62:65], v116 offset:32
	s_waitcnt lgkmcnt(3)
	v_mul_f64 v[104:105], v[50:51], v[58:59]
	ds_write2_b64 v70, v[102:103], v[104:105] offset0:72 offset1:100
	ds_read_b128 v[72:75], v116 offset:48
	ds_read_b128 v[76:79], v116 offset:480
	s_waitcnt lgkmcnt(3)
	v_fma_f64 v[46:47], -v[98:99], v[62:63], v[46:47]
	v_fma_f64 v[46:47], -v[100:101], v[60:61], v[46:47]
	ds_read_b128 v[58:61], v116 offset:496
	ds_read_b128 v[80:83], v116 offset:928
	s_waitcnt lgkmcnt(2)
	v_fma_f64 v[46:47], -v[102:103], v[76:77], v[46:47]
	v_fma_f64 v[46:47], -v[104:105], v[52:53], v[46:47]
	ds_read2_b64 v[50:53], v116 offset0:33 offset1:34
	ds_read_b128 v[84:87], v116 offset:944
	v_fma_f64 v[42:43], -v[98:99], v[72:73], v[42:43]
	s_waitcnt lgkmcnt(2)
	v_mul_f64 v[106:107], v[80:81], v[46:47]
	v_fma_f64 v[46:47], -v[98:99], v[64:65], v[48:49]
	s_waitcnt lgkmcnt(1)
	v_fma_f64 v[50:51], -v[100:101], v[50:51], v[46:47]
	ds_read2_b64 v[46:49], v116 offset0:145 offset1:146
	v_fma_f64 v[50:51], -v[102:103], v[78:79], v[50:51]
	v_fma_f64 v[50:51], -v[104:105], v[54:55], v[50:51]
	;; [unrolled: 1-line block ×4, first 2 shown]
	s_waitcnt lgkmcnt(0)
	v_mul_f64 v[108:109], v[46:47], v[50:51]
	ds_read_b128 v[50:53], v116 offset:1392
	ds_read2_b64 v[88:91], v116 offset0:35 offset1:36
	ds_read2_b64 v[76:79], v116 offset0:91 offset1:92
	v_fma_f64 v[42:43], -v[102:103], v[58:59], v[42:43]
	v_fma_f64 v[42:43], -v[104:105], v[56:57], v[42:43]
	;; [unrolled: 1-line block ×4, first 2 shown]
	ds_read2_b64 v[46:49], v116 offset0:165 offset1:166
	s_waitcnt lgkmcnt(3)
	v_mul_f64 v[110:111], v[50:51], v[42:43]
	v_fma_f64 v[42:43], -v[98:99], v[74:75], v[44:45]
	s_waitcnt lgkmcnt(2)
	v_fma_f64 v[42:43], -v[100:101], v[88:89], v[42:43]
	ds_read2_b64 v[80:83], v116 offset0:147 offset1:148
	v_fma_f64 v[42:43], -v[102:103], v[60:61], v[42:43]
	ds_read2_b64 v[58:61], v116 offset0:93 offset1:94
	s_waitcnt lgkmcnt(3)
	v_fma_f64 v[42:43], -v[104:105], v[76:77], v[42:43]
	v_fma_f64 v[50:51], -v[106:107], v[86:87], v[42:43]
	ds_read2_b64 v[42:45], v116 offset0:203 offset1:204
	s_waitcnt lgkmcnt(2)
	v_fma_f64 v[50:51], -v[108:109], v[80:81], v[50:51]
	ds_write2_b64 v70, v[106:107], v[108:109] offset0:128 offset1:156
	v_fma_f64 v[54:55], -v[110:111], v[52:53], v[50:51]
	ds_read2_b64 v[62:65], v116 offset0:205 offset1:206
	ds_read_b128 v[50:53], v116 offset:64
	s_waitcnt lgkmcnt(3)
	v_mul_f64 v[112:113], v[42:43], v[54:55]
	ds_write2_b64 v70, v[110:111], v[112:113] offset0:184 offset1:212
	ds_read_b128 v[54:57], v116 offset:80
	ds_read_b128 v[92:95], v116 offset:512
	;; [unrolled: 1-line block ×4, first 2 shown]
	s_waitcnt lgkmcnt(5)
	v_fma_f64 v[38:39], -v[98:99], v[50:51], v[38:39]
	v_fma_f64 v[38:39], -v[100:101], v[90:91], v[38:39]
	s_waitcnt lgkmcnt(3)
	v_fma_f64 v[34:35], -v[98:99], v[54:55], v[34:35]
	s_waitcnt lgkmcnt(2)
	v_fma_f64 v[38:39], -v[102:103], v[92:93], v[38:39]
	v_fma_f64 v[38:39], -v[104:105], v[78:79], v[38:39]
	ds_read_b128 v[78:81], v116 offset:976
	ds_read_b128 v[124:127], v116 offset:1408
	s_waitcnt lgkmcnt(2)
	v_fma_f64 v[38:39], -v[106:107], v[120:121], v[38:39]
	v_fma_f64 v[38:39], -v[108:109], v[82:83], v[38:39]
	ds_read_b128 v[82:85], v116 offset:1424
	ds_read_b128 v[128:131], v116 offset:1856
	ds_read2_b64 v[86:89], v116 offset0:37 offset1:38
	ds_read_b128 v[74:77], v116 offset:1872
	s_waitcnt lgkmcnt(4)
	v_fma_f64 v[38:39], -v[110:111], v[124:125], v[38:39]
	v_fma_f64 v[38:39], -v[112:113], v[44:45], v[38:39]
	ds_read2_b64 v[90:93], v116 offset0:149 offset1:150
	ds_read2_b64 v[42:45], v116 offset0:151 offset1:152
	s_waitcnt lgkmcnt(4)
	v_mul_f64 v[114:115], v[128:129], v[38:39]
	v_fma_f64 v[38:39], -v[98:99], v[52:53], v[40:41]
	s_waitcnt lgkmcnt(3)
	v_fma_f64 v[38:39], -v[100:101], v[86:87], v[38:39]
	v_fma_f64 v[38:39], -v[102:103], v[94:95], v[38:39]
	;; [unrolled: 1-line block ×5, first 2 shown]
	s_waitcnt lgkmcnt(1)
	v_fma_f64 v[38:39], -v[108:109], v[90:91], v[38:39]
	v_mov_b32_e32 v40, 0x828
	v_fma_f64 v[34:35], -v[102:103], v[70:71], v[34:35]
	ds_read2_b64 v[50:53], v116 offset0:39 offset1:40
	ds_read2_b64 v[94:97], v40 offset1:1
	v_fma_f64 v[38:39], -v[110:111], v[126:127], v[38:39]
	v_fma_f64 v[34:35], -v[104:105], v[60:61], v[34:35]
	;; [unrolled: 1-line block ×5, first 2 shown]
	ds_read_b128 v[38:41], v116 offset:6032
	ds_read_b128 v[60:63], v116 offset:2320
	v_fma_f64 v[34:35], -v[108:109], v[92:93], v[34:35]
	v_fma_f64 v[34:35], -v[110:111], v[82:83], v[34:35]
	;; [unrolled: 1-line block ×3, first 2 shown]
	s_waitcnt lgkmcnt(2)
	v_mul_f64 v[58:59], v[94:95], v[58:59]
	v_fma_f64 v[34:35], -v[114:115], v[74:75], v[34:35]
	ds_read2_b64 v[90:93], v116 offset0:95 offset1:96
	v_fma_f64 v[34:35], -v[58:59], v[96:97], v[34:35]
	s_waitcnt lgkmcnt(1)
	v_mul_f64 v[54:55], v[60:61], v[34:35]
	v_fma_f64 v[34:35], -v[98:99], v[56:57], v[36:37]
	v_fma_f64 v[34:35], -v[100:101], v[50:51], v[34:35]
	;; [unrolled: 1-line block ×3, first 2 shown]
	ds_read2_b64 v[70:73], v116 offset0:97 offset1:98
	s_waitcnt lgkmcnt(1)
	v_fma_f64 v[34:35], -v[104:105], v[90:91], v[34:35]
	v_fma_f64 v[34:35], -v[106:107], v[80:81], v[34:35]
	ds_read_b128 v[86:89], v116 offset:2336
	v_fma_f64 v[42:43], -v[108:109], v[42:43], v[34:35]
	ds_read2_b64 v[34:37], v116 offset0:207 offset1:208
	ds_write2_b64 v119, v[114:115], v[58:59] offset0:112 offset1:140
	v_fma_f64 v[42:43], -v[110:111], v[84:85], v[42:43]
	v_mov_b32_e32 v50, 0x838
	ds_read2_b64 v[78:81], v116 offset0:209 offset1:210
	ds_read2_b64 v[82:85], v50 offset1:1
	s_waitcnt lgkmcnt(3)
	v_fma_f64 v[34:35], -v[112:113], v[34:35], v[42:43]
	v_mov_b32_e32 v42, 0x9f8
	ds_read2_b64 v[94:97], v42 offset1:1
	v_fma_f64 v[34:35], -v[114:115], v[76:77], v[34:35]
	s_waitcnt lgkmcnt(1)
	v_fma_f64 v[34:35], -v[58:59], v[82:83], v[34:35]
	v_fma_f64 v[34:35], -v[54:55], v[62:63], v[34:35]
	ds_read_b128 v[60:63], v116 offset:96
	s_waitcnt lgkmcnt(1)
	v_mul_f64 v[42:43], v[94:95], v[34:35]
	ds_write2_b64 v118, v[54:55], v[42:43] offset0:40 offset1:68
	ds_read_b128 v[74:77], v116 offset:112
	ds_read_b128 v[120:123], v116 offset:544
	v_mov_b32_e32 v56, 0xa08
	s_waitcnt lgkmcnt(3)
	v_fma_f64 v[30:31], -v[98:99], v[60:61], v[30:31]
	v_fma_f64 v[30:31], -v[100:101], v[52:53], v[30:31]
	ds_read_b128 v[124:127], v116 offset:560
	ds_read_b128 v[50:53], v116 offset:992
	s_waitcnt lgkmcnt(2)
	v_fma_f64 v[30:31], -v[102:103], v[120:121], v[30:31]
	v_fma_f64 v[30:31], -v[104:105], v[92:93], v[30:31]
	ds_read_b128 v[90:93], v116 offset:1008
	ds_read_b128 v[128:131], v116 offset:1440
	;; [unrolled: 1-line block ×4, first 2 shown]
	s_waitcnt lgkmcnt(4)
	v_fma_f64 v[30:31], -v[106:107], v[50:51], v[30:31]
	v_fma_f64 v[30:31], -v[108:109], v[44:45], v[30:31]
	ds_read_b128 v[140:143], v116 offset:1904
	s_waitcnt lgkmcnt(3)
	v_fma_f64 v[30:31], -v[110:111], v[128:129], v[30:31]
	v_fma_f64 v[30:31], -v[112:113], v[36:37], v[30:31]
	s_waitcnt lgkmcnt(2)
	v_fma_f64 v[30:31], -v[114:115], v[132:133], v[30:31]
	v_fma_f64 v[30:31], -v[58:59], v[84:85], v[30:31]
	ds_read_b128 v[82:85], v116 offset:2784
	v_fma_f64 v[30:31], -v[54:55], v[86:87], v[30:31]
	v_fma_f64 v[30:31], -v[42:43], v[96:97], v[30:31]
	ds_read2_b64 v[94:97], v116 offset0:41 offset1:42
	ds_read_b128 v[34:37], v116 offset:2448
	v_fma_f64 v[26:27], -v[98:99], v[74:75], v[26:27]
	s_waitcnt lgkmcnt(2)
	v_mul_f64 v[44:45], v[82:83], v[30:31]
	v_fma_f64 v[30:31], -v[98:99], v[62:63], v[32:33]
	s_waitcnt lgkmcnt(1)
	v_fma_f64 v[50:51], -v[100:101], v[94:95], v[30:31]
	ds_read2_b64 v[30:33], v116 offset0:153 offset1:154
	v_fma_f64 v[50:51], -v[102:103], v[122:123], v[50:51]
	v_fma_f64 v[50:51], -v[104:105], v[70:71], v[50:51]
	;; [unrolled: 1-line block ×6, first 2 shown]
	ds_read_b128 v[70:73], v116 offset:2352
	s_waitcnt lgkmcnt(1)
	v_fma_f64 v[30:31], -v[108:109], v[30:31], v[50:51]
	v_mov_b32_e32 v50, 0x848
	ds_read2_b64 v[50:53], v50 offset1:1
	v_fma_f64 v[30:31], -v[110:111], v[130:131], v[30:31]
	ds_read2_b64 v[128:131], v56 offset1:1
	v_fma_f64 v[30:31], -v[112:113], v[78:79], v[30:31]
	v_fma_f64 v[30:31], -v[114:115], v[134:135], v[30:31]
	s_waitcnt lgkmcnt(1)
	v_fma_f64 v[30:31], -v[58:59], v[50:51], v[30:31]
	v_mov_b32_e32 v50, 0xbc8
	ds_read2_b64 v[60:63], v116 offset0:43 offset1:44
	v_fma_f64 v[30:31], -v[54:55], v[88:89], v[30:31]
	ds_read2_b64 v[86:89], v50 offset1:1
	s_waitcnt lgkmcnt(2)
	v_fma_f64 v[30:31], -v[42:43], v[128:129], v[30:31]
	v_fma_f64 v[30:31], -v[44:45], v[84:85], v[30:31]
	v_mov_b32_e32 v50, 0x858
	v_fma_f64 v[26:27], -v[106:107], v[90:91], v[26:27]
	ds_read2_b64 v[120:123], v116 offset0:155 offset1:156
	ds_read2_b64 v[82:85], v50 offset1:1
	s_waitcnt lgkmcnt(2)
	v_mul_f64 v[50:51], v[86:87], v[30:31]
	v_fma_f64 v[26:27], -v[108:109], v[32:33], v[26:27]
	ds_write2_b64 v118, v[44:45], v[50:51] offset0:96 offset1:124
	v_fma_f64 v[26:27], -v[110:111], v[136:137], v[26:27]
	v_fma_f64 v[26:27], -v[112:113], v[80:81], v[26:27]
	ds_read_b128 v[78:81], v116 offset:2368
	ds_read_b128 v[94:97], v116 offset:2800
	v_fma_f64 v[26:27], -v[114:115], v[140:141], v[26:27]
	v_fma_f64 v[26:27], -v[58:59], v[52:53], v[26:27]
	;; [unrolled: 1-line block ×4, first 2 shown]
	s_waitcnt lgkmcnt(0)
	v_fma_f64 v[26:27], -v[44:45], v[94:95], v[26:27]
	ds_read_b128 v[128:131], v116 offset:3248
	ds_read_b128 v[132:135], v116 offset:2816
	v_fma_f64 v[26:27], -v[50:51], v[88:89], v[26:27]
	ds_read2_b64 v[86:89], v116 offset0:99 offset1:100
	v_fma_f64 v[28:29], -v[98:99], v[76:77], v[28:29]
	v_fma_f64 v[28:29], -v[100:101], v[60:61], v[28:29]
	;; [unrolled: 1-line block ×3, first 2 shown]
	ds_read2_b64 v[124:127], v116 offset0:211 offset1:212
	s_waitcnt lgkmcnt(1)
	v_fma_f64 v[28:29], -v[104:105], v[86:87], v[28:29]
	v_fma_f64 v[28:29], -v[106:107], v[92:93], v[28:29]
	v_fma_f64 v[28:29], -v[108:109], v[120:121], v[28:29]
	v_mov_b32_e32 v52, 0xa18
	ds_read2_b64 v[74:77], v116 offset0:101 offset1:102
	v_fma_f64 v[28:29], -v[110:111], v[138:139], v[28:29]
	ds_read2_b64 v[136:139], v52 offset1:1
	s_waitcnt lgkmcnt(2)
	v_fma_f64 v[28:29], -v[112:113], v[124:125], v[28:29]
	v_mov_b32_e32 v52, 0xbd8
	ds_read2_b64 v[90:93], v116 offset0:213 offset1:214
	v_fma_f64 v[28:29], -v[114:115], v[142:143], v[28:29]
	ds_read2_b64 v[140:143], v52 offset1:1
	v_fma_f64 v[28:29], -v[58:59], v[82:83], v[28:29]
	v_mov_b32_e32 v52, 0xd98
	ds_read_b128 v[30:33], v116 offset:2896
	v_fma_f64 v[28:29], -v[54:55], v[72:73], v[28:29]
	ds_read2_b64 v[70:73], v52 offset1:1
	s_waitcnt lgkmcnt(4)
	v_fma_f64 v[28:29], -v[42:43], v[136:137], v[28:29]
	v_fma_f64 v[28:29], -v[44:45], v[96:97], v[28:29]
	v_mul_f64 v[26:27], v[128:129], v[26:27]
	s_waitcnt lgkmcnt(2)
	v_fma_f64 v[28:29], -v[50:51], v[140:141], v[28:29]
	v_mov_b32_e32 v52, 0x868
	v_fma_f64 v[28:29], -v[26:27], v[130:131], v[28:29]
	ds_read2_b64 v[94:97], v52 offset1:1
	ds_read_b128 v[128:131], v116 offset:128
	s_waitcnt lgkmcnt(2)
	v_mul_f64 v[28:29], v[70:71], v[28:29]
	ds_write2_b64 v118, v[26:27], v[28:29] offset0:152 offset1:180
	ds_read_b128 v[144:147], v116 offset:144
	ds_read_b128 v[148:151], v116 offset:576
	v_mov_b32_e32 v52, 0xa28
	s_waitcnt lgkmcnt(3)
	v_fma_f64 v[22:23], -v[98:99], v[128:129], v[22:23]
	v_fma_f64 v[22:23], -v[100:101], v[62:63], v[22:23]
	ds_read_b128 v[60:63], v116 offset:592
	ds_read_b128 v[152:155], v116 offset:1024
	s_waitcnt lgkmcnt(2)
	v_fma_f64 v[22:23], -v[102:103], v[148:149], v[22:23]
	v_fma_f64 v[22:23], -v[104:105], v[88:89], v[22:23]
	ds_read_b128 v[86:89], v116 offset:1040
	ds_read_b128 v[156:159], v116 offset:1472
	v_fma_f64 v[24:25], -v[98:99], v[130:131], v[24:25]
	s_waitcnt lgkmcnt(2)
	v_fma_f64 v[22:23], -v[106:107], v[152:153], v[22:23]
	v_fma_f64 v[22:23], -v[108:109], v[122:123], v[22:23]
	ds_read_b128 v[120:123], v116 offset:1920
	ds_read_b128 v[160:163], v116 offset:1488
	s_waitcnt lgkmcnt(2)
	v_fma_f64 v[22:23], -v[110:111], v[156:157], v[22:23]
	v_fma_f64 v[22:23], -v[112:113], v[126:127], v[22:23]
	ds_read_b128 v[124:127], v116 offset:1936
	s_waitcnt lgkmcnt(2)
	v_fma_f64 v[22:23], -v[114:115], v[120:121], v[22:23]
	v_fma_f64 v[22:23], -v[58:59], v[84:85], v[22:23]
	ds_read_b128 v[82:85], v116 offset:3264
	v_fma_f64 v[22:23], -v[54:55], v[78:79], v[22:23]
	v_fma_f64 v[22:23], -v[42:43], v[138:139], v[22:23]
	;; [unrolled: 1-line block ×4, first 2 shown]
	s_waitcnt lgkmcnt(0)
	v_fma_f64 v[22:23], -v[26:27], v[82:83], v[22:23]
	ds_read_b128 v[136:139], v116 offset:3280
	ds_read_b128 v[140:143], v116 offset:3712
	v_fma_f64 v[22:23], -v[28:29], v[72:73], v[22:23]
	ds_read2_b64 v[70:73], v116 offset0:45 offset1:46
	ds_read_b128 v[164:167], v116 offset:3728
	ds_read2_b64 v[168:171], v116 offset0:157 offset1:158
	ds_read2_b64 v[128:131], v116 offset0:47 offset1:48
	v_fma_f64 v[18:19], -v[98:99], v[144:145], v[18:19]
	s_waitcnt lgkmcnt(3)
	v_fma_f64 v[24:25], -v[100:101], v[70:71], v[24:25]
	v_fma_f64 v[24:25], -v[102:103], v[150:151], v[24:25]
	;; [unrolled: 1-line block ×4, first 2 shown]
	s_waitcnt lgkmcnt(1)
	v_fma_f64 v[24:25], -v[108:109], v[168:169], v[24:25]
	v_fma_f64 v[24:25], -v[110:111], v[158:159], v[24:25]
	v_fma_f64 v[24:25], -v[112:113], v[90:91], v[24:25]
	v_fma_f64 v[24:25], -v[114:115], v[122:123], v[24:25]
	ds_read2_b64 v[120:123], v52 offset1:1
	v_fma_f64 v[24:25], -v[58:59], v[94:95], v[24:25]
	v_mov_b32_e32 v52, 0xbe8
	ds_read2_b64 v[148:151], v116 offset0:159 offset1:160
	v_fma_f64 v[24:25], -v[54:55], v[80:81], v[24:25]
	ds_read2_b64 v[78:81], v52 offset1:1
	s_waitcnt lgkmcnt(2)
	v_fma_f64 v[24:25], -v[42:43], v[120:121], v[24:25]
	v_mov_b32_e32 v52, 0xda8
	v_fma_f64 v[24:25], -v[44:45], v[134:135], v[24:25]
	ds_read2_b64 v[132:135], v52 offset1:1
	v_fma_f64 v[18:19], -v[100:101], v[72:73], v[18:19]
	ds_read_b128 v[70:73], v116 offset:2384
	v_mov_b32_e32 v52, 0xf68
	ds_read2_b64 v[152:155], v52 offset1:1
	s_waitcnt lgkmcnt(3)
	v_fma_f64 v[24:25], -v[50:51], v[78:79], v[24:25]
	v_fma_f64 v[18:19], -v[102:103], v[60:61], v[18:19]
	;; [unrolled: 1-line block ×4, first 2 shown]
	v_mul_f64 v[22:23], v[140:141], v[22:23]
	s_waitcnt lgkmcnt(2)
	v_fma_f64 v[24:25], -v[28:29], v[132:133], v[24:25]
	v_fma_f64 v[18:19], -v[106:107], v[86:87], v[18:19]
	;; [unrolled: 1-line block ×4, first 2 shown]
	s_waitcnt lgkmcnt(0)
	v_mul_f64 v[24:25], v[152:153], v[24:25]
	v_fma_f64 v[18:19], -v[110:111], v[160:161], v[18:19]
	ds_write2_b64 v118, v[22:23], v[24:25] offset0:208 offset1:236
	v_fma_f64 v[18:19], -v[112:113], v[92:93], v[18:19]
	v_fma_f64 v[18:19], -v[114:115], v[124:125], v[18:19]
	ds_read_b128 v[74:77], v116 offset:2832
	ds_read_b128 v[82:85], v116 offset:2400
	v_fma_f64 v[18:19], -v[58:59], v[96:97], v[18:19]
	v_fma_f64 v[18:19], -v[54:55], v[70:71], v[18:19]
	;; [unrolled: 1-line block ×3, first 2 shown]
	s_waitcnt lgkmcnt(1)
	v_fma_f64 v[18:19], -v[44:45], v[74:75], v[18:19]
	v_fma_f64 v[18:19], -v[50:51], v[80:81], v[18:19]
	ds_read_b128 v[78:81], v116 offset:4176
	ds_read_b128 v[94:97], v116 offset:4192
	v_fma_f64 v[18:19], -v[26:27], v[136:137], v[18:19]
	v_fma_f64 v[18:19], -v[28:29], v[134:135], v[18:19]
	v_fma_f64 v[18:19], -v[22:23], v[164:165], v[18:19]
	ds_read2_b64 v[118:121], v116 offset0:103 offset1:104
	v_fma_f64 v[18:19], -v[24:25], v[154:155], v[18:19]
	s_waitcnt lgkmcnt(2)
	v_mul_f64 v[52:53], v[78:79], v[18:19]
	v_fma_f64 v[18:19], -v[98:99], v[146:147], v[20:21]
	v_fma_f64 v[18:19], -v[100:101], v[128:129], v[18:19]
	;; [unrolled: 1-line block ×3, first 2 shown]
	ds_read2_b64 v[60:63], v116 offset0:105 offset1:106
	s_waitcnt lgkmcnt(1)
	v_fma_f64 v[18:19], -v[104:105], v[118:119], v[18:19]
	v_fma_f64 v[18:19], -v[106:107], v[88:89], v[18:19]
	ds_read_b128 v[90:93], v116 offset:2848
	v_fma_f64 v[56:57], -v[108:109], v[148:149], v[18:19]
	ds_read2_b64 v[18:21], v116 offset0:215 offset1:216
	v_fma_f64 v[56:57], -v[110:111], v[162:163], v[56:57]
	v_mov_b32_e32 v64, 0x878
	ds_read2_b64 v[86:89], v116 offset0:217 offset1:218
	ds_read2_b64 v[122:125], v64 offset1:1
	v_mov_b32_e32 v64, 0xa58
	s_waitcnt lgkmcnt(2)
	v_fma_f64 v[18:19], -v[112:113], v[18:19], v[56:57]
	v_mov_b32_e32 v56, 0xa38
	v_fma_f64 v[18:19], -v[114:115], v[126:127], v[18:19]
	ds_read2_b64 v[126:129], v56 offset1:1
	s_waitcnt lgkmcnt(1)
	v_fma_f64 v[18:19], -v[58:59], v[122:123], v[18:19]
	v_mov_b32_e32 v56, 0xbf8
	v_fma_f64 v[18:19], -v[54:55], v[72:73], v[18:19]
	ds_read2_b64 v[70:73], v56 offset1:1
	;; [unrolled: 5-line block ×3, first 2 shown]
	v_mov_b32_e32 v56, 0xf78
	ds_read2_b64 v[132:135], v56 offset1:1
	s_waitcnt lgkmcnt(2)
	v_fma_f64 v[18:19], -v[50:51], v[70:71], v[18:19]
	v_mov_b32_e32 v56, 0x1138
	v_fma_f64 v[18:19], -v[26:27], v[138:139], v[18:19]
	ds_read2_b64 v[136:139], v56 offset1:1
	s_waitcnt lgkmcnt(2)
	v_fma_f64 v[18:19], -v[28:29], v[74:75], v[18:19]
	v_fma_f64 v[18:19], -v[22:23], v[166:167], v[18:19]
	s_waitcnt lgkmcnt(1)
	v_fma_f64 v[18:19], -v[24:25], v[132:133], v[18:19]
	v_fma_f64 v[18:19], -v[52:53], v[80:81], v[18:19]
	ds_read_b128 v[78:81], v116 offset:160
	s_waitcnt lgkmcnt(1)
	v_mul_f64 v[56:57], v[136:137], v[18:19]
	ds_write2_b64 v117, v[52:53], v[56:57] offset0:8 offset1:36
	ds_read_b128 v[140:143], v116 offset:176
	ds_read_b128 v[144:147], v116 offset:608
	s_waitcnt lgkmcnt(3)
	v_fma_f64 v[14:15], -v[98:99], v[78:79], v[14:15]
	v_fma_f64 v[14:15], -v[100:101], v[130:131], v[14:15]
	ds_read_b128 v[130:133], v116 offset:624
	ds_read_b128 v[152:155], v116 offset:1056
	s_waitcnt lgkmcnt(2)
	v_fma_f64 v[14:15], -v[102:103], v[144:145], v[14:15]
	v_fma_f64 v[14:15], -v[104:105], v[120:121], v[14:15]
	ds_read_b128 v[118:121], v116 offset:1072
	ds_read_b128 v[156:159], v116 offset:1504
	v_fma_f64 v[16:17], -v[98:99], v[80:81], v[16:17]
	s_waitcnt lgkmcnt(2)
	v_fma_f64 v[14:15], -v[106:107], v[152:153], v[14:15]
	v_fma_f64 v[14:15], -v[108:109], v[150:151], v[14:15]
	ds_read_b128 v[148:151], v116 offset:1952
	ds_read_b128 v[160:163], v116 offset:1520
	s_waitcnt lgkmcnt(2)
	v_fma_f64 v[14:15], -v[110:111], v[156:157], v[14:15]
	v_fma_f64 v[14:15], -v[112:113], v[20:21], v[14:15]
	ds_read_b128 v[164:167], v116 offset:1968
	s_waitcnt lgkmcnt(2)
	v_fma_f64 v[14:15], -v[114:115], v[148:149], v[14:15]
	v_fma_f64 v[14:15], -v[58:59], v[124:125], v[14:15]
	ds_read_b128 v[122:125], v116 offset:3296
	v_fma_f64 v[14:15], -v[54:55], v[82:83], v[14:15]
	v_fma_f64 v[14:15], -v[42:43], v[128:129], v[14:15]
	;; [unrolled: 1-line block ×4, first 2 shown]
	ds_read_b128 v[70:73], v116 offset:3744
	ds_read_b128 v[126:129], v116 offset:3312
	s_waitcnt lgkmcnt(2)
	v_fma_f64 v[14:15], -v[26:27], v[122:123], v[14:15]
	v_fma_f64 v[14:15], -v[28:29], v[76:77], v[14:15]
	ds_read_b128 v[74:77], v116 offset:3760
	s_waitcnt lgkmcnt(2)
	v_fma_f64 v[14:15], -v[22:23], v[70:71], v[14:15]
	v_fma_f64 v[14:15], -v[24:25], v[134:135], v[14:15]
	ds_read_b128 v[134:137], v116 offset:4640
	ds_read2_b64 v[168:171], v116 offset0:49 offset1:50
	ds_read_b128 v[18:21], v116 offset:4240
	ds_read2_b64 v[172:175], v116 offset0:161 offset1:162
	ds_read2_b64 v[78:81], v116 offset0:51 offset1:52
	v_fma_f64 v[10:11], -v[98:99], v[140:141], v[10:11]
	s_waitcnt lgkmcnt(3)
	v_fma_f64 v[16:17], -v[100:101], v[168:169], v[16:17]
	v_fma_f64 v[16:17], -v[102:103], v[146:147], v[16:17]
	v_fma_f64 v[16:17], -v[104:105], v[60:61], v[16:17]
	v_mov_b32_e32 v60, 0x888
	v_fma_f64 v[16:17], -v[106:107], v[154:155], v[16:17]
	ds_read2_b64 v[152:155], v60 offset1:1
	s_waitcnt lgkmcnt(2)
	v_fma_f64 v[16:17], -v[108:109], v[172:173], v[16:17]
	v_fma_f64 v[16:17], -v[110:111], v[158:159], v[16:17]
	;; [unrolled: 1-line block ×3, first 2 shown]
	v_mov_b32_e32 v60, 0xa48
	ds_read2_b64 v[144:147], v116 offset0:163 offset1:164
	v_fma_f64 v[16:17], -v[114:115], v[150:151], v[16:17]
	ds_read2_b64 v[148:151], v60 offset1:1
	s_waitcnt lgkmcnt(2)
	v_fma_f64 v[16:17], -v[58:59], v[152:153], v[16:17]
	v_mov_b32_e32 v60, 0xc08
	v_fma_f64 v[16:17], -v[54:55], v[84:85], v[16:17]
	ds_read2_b64 v[82:85], v60 offset1:1
	s_waitcnt lgkmcnt(1)
	v_fma_f64 v[16:17], -v[42:43], v[148:149], v[16:17]
	v_mov_b32_e32 v60, 0xdc8
	v_fma_f64 v[16:17], -v[44:45], v[92:93], v[16:17]
	ds_read2_b64 v[90:93], v60 offset1:1
	s_waitcnt lgkmcnt(1)
	v_fma_f64 v[16:17], -v[50:51], v[82:83], v[16:17]
	v_mov_b32_e32 v60, 0xf88
	v_fma_f64 v[16:17], -v[26:27], v[124:125], v[16:17]
	ds_read2_b64 v[122:125], v60 offset1:1
	s_waitcnt lgkmcnt(1)
	v_fma_f64 v[16:17], -v[28:29], v[90:91], v[16:17]
	v_mov_b32_e32 v60, 0x1148
	v_fma_f64 v[16:17], -v[22:23], v[72:73], v[16:17]
	ds_read2_b64 v[70:73], v60 offset1:1
	s_waitcnt lgkmcnt(1)
	v_fma_f64 v[16:17], -v[24:25], v[122:123], v[16:17]
	v_mov_b32_e32 v60, 0x1308
	v_fma_f64 v[14:15], -v[52:53], v[94:95], v[14:15]
	v_fma_f64 v[16:17], -v[52:53], v[96:97], v[16:17]
	ds_read2_b64 v[94:97], v60 offset1:1
	v_fma_f64 v[10:11], -v[100:101], v[170:171], v[10:11]
	v_fma_f64 v[10:11], -v[102:103], v[130:131], v[10:11]
	;; [unrolled: 1-line block ×4, first 2 shown]
	v_mul_f64 v[14:15], v[134:135], v[14:15]
	s_waitcnt lgkmcnt(1)
	v_fma_f64 v[16:17], -v[56:57], v[70:71], v[16:17]
	v_mov_b32_e32 v60, 0x898
	v_fma_f64 v[10:11], -v[106:107], v[118:119], v[10:11]
	v_fma_f64 v[16:17], -v[14:15], v[136:137], v[16:17]
	ds_read2_b64 v[134:137], v60 offset1:1
	v_fma_f64 v[10:11], -v[108:109], v[174:175], v[10:11]
	ds_read_b128 v[60:63], v116 offset:2416
	s_waitcnt lgkmcnt(2)
	v_mul_f64 v[16:17], v[94:95], v[16:17]
	v_fma_f64 v[10:11], -v[110:111], v[160:161], v[10:11]
	ds_write2_b64 v117, v[14:15], v[16:17] offset0:64 offset1:92
	v_fma_f64 v[10:11], -v[112:113], v[88:89], v[10:11]
	v_fma_f64 v[10:11], -v[114:115], v[164:165], v[10:11]
	ds_read_b128 v[86:89], v116 offset:2864
	ds_read_b128 v[138:141], v116 offset:2432
	v_fma_f64 v[10:11], -v[58:59], v[154:155], v[10:11]
	s_waitcnt lgkmcnt(3)
	v_fma_f64 v[10:11], -v[54:55], v[60:61], v[10:11]
	v_fma_f64 v[10:11], -v[42:43], v[150:151], v[10:11]
	s_waitcnt lgkmcnt(1)
	v_fma_f64 v[10:11], -v[44:45], v[86:87], v[10:11]
	v_fma_f64 v[10:11], -v[50:51], v[84:85], v[10:11]
	ds_read_b128 v[148:151], v116 offset:2880
	ds_read_b128 v[82:85], v116 offset:4208
	v_fma_f64 v[10:11], -v[26:27], v[126:127], v[10:11]
	v_fma_f64 v[10:11], -v[28:29], v[92:93], v[10:11]
	;; [unrolled: 1-line block ×4, first 2 shown]
	ds_read_b128 v[90:93], v116 offset:4224
	ds_read_b128 v[122:125], v116 offset:4656
	s_waitcnt lgkmcnt(2)
	v_fma_f64 v[10:11], -v[52:53], v[82:83], v[10:11]
	v_fma_f64 v[10:11], -v[56:57], v[72:73], v[10:11]
	ds_read_b128 v[70:73], v116 offset:5104
	ds_read_b128 v[152:155], v116 offset:4672
	ds_read2_b64 v[156:159], v116 offset0:107 offset1:108
	s_waitcnt lgkmcnt(3)
	v_fma_f64 v[10:11], -v[14:15], v[122:123], v[10:11]
	v_fma_f64 v[10:11], -v[16:17], v[96:97], v[10:11]
	s_waitcnt lgkmcnt(2)
	v_mul_f64 v[188:189], v[70:71], v[10:11]
	v_fma_f64 v[10:11], -v[98:99], v[142:143], v[12:13]
	v_fma_f64 v[10:11], -v[100:101], v[78:79], v[10:11]
	;; [unrolled: 1-line block ×3, first 2 shown]
	ds_read2_b64 v[130:133], v116 offset0:219 offset1:220
	s_waitcnt lgkmcnt(1)
	v_fma_f64 v[60:61], -v[104:105], v[156:157], v[60:61]
	v_fma_f64 v[60:61], -v[106:107], v[120:121], v[60:61]
	;; [unrolled: 1-line block ×4, first 2 shown]
	ds_read2_b64 v[10:13], v116 offset0:109 offset1:110
	ds_read2_b64 v[142:145], v64 offset1:1
	s_waitcnt lgkmcnt(2)
	v_fma_f64 v[60:61], -v[112:113], v[130:131], v[60:61]
	v_fma_f64 v[60:61], -v[114:115], v[166:167], v[60:61]
	;; [unrolled: 1-line block ×4, first 2 shown]
	v_mov_b32_e32 v60, 0xc18
	ds_read2_b64 v[60:63], v60 offset1:1
	s_waitcnt lgkmcnt(1)
	v_fma_f64 v[64:65], -v[42:43], v[142:143], v[64:65]
	v_mov_b32_e32 v70, 0xdd8
	v_fma_f64 v[64:65], -v[44:45], v[88:89], v[64:65]
	ds_read2_b64 v[86:89], v70 offset1:1
	s_waitcnt lgkmcnt(1)
	v_fma_f64 v[60:61], -v[50:51], v[60:61], v[64:65]
	v_mov_b32_e32 v64, 0xf98
	ds_read2_b64 v[118:121], v116 offset0:221 offset1:222
	v_fma_f64 v[60:61], -v[26:27], v[128:129], v[60:61]
	ds_read2_b64 v[126:129], v64 offset1:1
	s_waitcnt lgkmcnt(2)
	v_fma_f64 v[60:61], -v[28:29], v[86:87], v[60:61]
	v_mov_b32_e32 v64, 0x1158
	ds_read_b128 v[94:97], v116 offset:4688
	v_fma_f64 v[60:61], -v[22:23], v[76:77], v[60:61]
	ds_read2_b64 v[74:77], v64 offset1:1
	v_mov_b32_e32 v64, 0x1318
	ds_read2_b64 v[160:163], v64 offset1:1
	s_waitcnt lgkmcnt(3)
	v_fma_f64 v[60:61], -v[24:25], v[126:127], v[60:61]
	v_mov_b32_e32 v64, 0x14d8
	v_fma_f64 v[60:61], -v[52:53], v[84:85], v[60:61]
	ds_read2_b64 v[82:85], v64 offset1:1
	s_waitcnt lgkmcnt(2)
	v_fma_f64 v[60:61], -v[56:57], v[74:75], v[60:61]
	v_fma_f64 v[60:61], -v[14:15], v[124:125], v[60:61]
	s_waitcnt lgkmcnt(1)
	v_fma_f64 v[60:61], -v[16:17], v[160:161], v[60:61]
	v_fma_f64 v[60:61], -v[188:189], v[72:73], v[60:61]
	v_mov_b32_e32 v64, 0x8a8
	ds_read2_b64 v[70:73], v64 offset1:1
	ds_read_b128 v[122:125], v116 offset:192
	s_waitcnt lgkmcnt(2)
	v_mul_f64 v[160:161], v[82:83], v[60:61]
	ds_write2_b64 v117, v[188:189], v[160:161] offset0:120 offset1:148
	ds_read_b128 v[164:167], v116 offset:208
	ds_read_b128 v[168:171], v116 offset:640
	s_waitcnt lgkmcnt(3)
	v_fma_f64 v[6:7], -v[98:99], v[122:123], v[6:7]
	v_fma_f64 v[6:7], -v[100:101], v[80:81], v[6:7]
	ds_read_b128 v[78:81], v116 offset:656
	ds_read_b128 v[172:175], v116 offset:1088
	s_waitcnt lgkmcnt(2)
	v_fma_f64 v[6:7], -v[102:103], v[168:169], v[6:7]
	v_fma_f64 v[6:7], -v[104:105], v[158:159], v[6:7]
	ds_read_b128 v[156:159], v116 offset:1104
	ds_read_b128 v[176:179], v116 offset:1536
	;; [unrolled: 1-line block ×4, first 2 shown]
	s_waitcnt lgkmcnt(4)
	v_fma_f64 v[6:7], -v[106:107], v[172:173], v[6:7]
	v_fma_f64 v[6:7], -v[108:109], v[146:147], v[6:7]
	;; [unrolled: 1-line block ×3, first 2 shown]
	s_waitcnt lgkmcnt(2)
	v_fma_f64 v[6:7], -v[110:111], v[176:177], v[6:7]
	v_fma_f64 v[6:7], -v[112:113], v[132:133], v[6:7]
	s_waitcnt lgkmcnt(1)
	v_fma_f64 v[6:7], -v[114:115], v[180:181], v[6:7]
	v_fma_f64 v[6:7], -v[58:59], v[136:137], v[6:7]
	ds_read_b128 v[130:133], v116 offset:2000
	ds_read_b128 v[134:137], v116 offset:3328
	v_fma_f64 v[6:7], -v[54:55], v[138:139], v[6:7]
	v_fma_f64 v[6:7], -v[42:43], v[144:145], v[6:7]
	;; [unrolled: 1-line block ×4, first 2 shown]
	ds_read_b128 v[60:63], v116 offset:3776
	ds_read_b128 v[142:145], v116 offset:3344
	s_waitcnt lgkmcnt(2)
	v_fma_f64 v[6:7], -v[26:27], v[134:135], v[6:7]
	v_fma_f64 v[6:7], -v[28:29], v[88:89], v[6:7]
	ds_read_b128 v[86:89], v116 offset:3792
	s_waitcnt lgkmcnt(2)
	v_fma_f64 v[6:7], -v[22:23], v[60:61], v[6:7]
	v_fma_f64 v[6:7], -v[24:25], v[128:129], v[6:7]
	;; [unrolled: 1-line block ×4, first 2 shown]
	ds_read_b128 v[74:77], v116 offset:5120
	v_fma_f64 v[6:7], -v[14:15], v[152:153], v[6:7]
	ds_read_b128 v[126:129], v116 offset:5568
	ds_read_b128 v[146:149], v116 offset:5136
	v_fma_f64 v[6:7], -v[16:17], v[162:163], v[6:7]
	v_fma_f64 v[2:3], -v[100:101], v[68:69], v[2:3]
	s_waitcnt lgkmcnt(2)
	v_fma_f64 v[6:7], -v[188:189], v[74:75], v[6:7]
	v_fma_f64 v[6:7], -v[160:161], v[84:85], v[6:7]
	s_waitcnt lgkmcnt(1)
	v_mul_f64 v[74:75], v[126:127], v[6:7]
	v_fma_f64 v[6:7], -v[98:99], v[124:125], v[8:9]
	v_fma_f64 v[6:7], -v[100:101], v[66:67], v[6:7]
	;; [unrolled: 1-line block ×9, first 2 shown]
	v_mov_b32_e32 v6, 0xa68
	ds_read2_b64 v[6:9], v6 offset1:1
	v_mov_b32_e32 v46, 0xc28
	ds_read2_b64 v[64:67], v46 offset1:1
	v_fma_f64 v[10:11], -v[58:59], v[70:71], v[10:11]
	v_fma_f64 v[2:3], -v[102:103], v[78:79], v[2:3]
	;; [unrolled: 1-line block ×4, first 2 shown]
	s_waitcnt lgkmcnt(1)
	v_fma_f64 v[6:7], -v[42:43], v[6:7], v[10:11]
	v_mov_b32_e32 v10, 0xde8
	v_fma_f64 v[2:3], -v[106:107], v[156:157], v[2:3]
	ds_read_b128 v[82:85], v116 offset:5584
	ds_read2_b64 v[122:125], v10 offset1:1
	v_fma_f64 v[6:7], -v[44:45], v[150:151], v[6:7]
	v_fma_f64 v[2:3], -v[108:109], v[48:49], v[2:3]
	s_waitcnt lgkmcnt(2)
	v_fma_f64 v[6:7], -v[50:51], v[64:65], v[6:7]
	v_mov_b32_e32 v10, 0xfa8
	v_fma_f64 v[2:3], -v[110:111], v[184:185], v[2:3]
	v_fma_f64 v[6:7], -v[26:27], v[136:137], v[6:7]
	ds_read2_b64 v[134:137], v10 offset1:1
	v_fma_f64 v[2:3], -v[112:113], v[120:121], v[2:3]
	v_fma_f64 v[2:3], -v[114:115], v[130:131], v[2:3]
	;; [unrolled: 1-line block ×3, first 2 shown]
	s_waitcnt lgkmcnt(1)
	v_fma_f64 v[6:7], -v[28:29], v[122:123], v[6:7]
	v_mov_b32_e32 v10, 0x1168
	v_fma_f64 v[2:3], -v[54:55], v[34:35], v[2:3]
	v_fma_f64 v[6:7], -v[22:23], v[62:63], v[6:7]
	ds_read2_b64 v[60:63], v10 offset1:1
	v_fma_f64 v[2:3], -v[42:43], v[8:9], v[2:3]
	s_waitcnt lgkmcnt(1)
	v_fma_f64 v[6:7], -v[24:25], v[134:135], v[6:7]
	v_mov_b32_e32 v10, 0x1328
	v_fma_f64 v[2:3], -v[44:45], v[30:31], v[2:3]
	v_fma_f64 v[6:7], -v[52:53], v[92:93], v[6:7]
	ds_read2_b64 v[90:93], v10 offset1:1
	v_fma_f64 v[2:3], -v[50:51], v[66:67], v[2:3]
	v_mov_b32_e32 v10, 0x14e8
	v_fma_f64 v[2:3], -v[26:27], v[142:143], v[2:3]
	ds_read2_b64 v[138:141], v10 offset1:1
	v_fma_f64 v[2:3], -v[28:29], v[124:125], v[2:3]
	s_waitcnt lgkmcnt(2)
	v_fma_f64 v[6:7], -v[56:57], v[60:61], v[6:7]
	v_mov_b32_e32 v10, 0x16a8
	v_fma_f64 v[2:3], -v[22:23], v[86:87], v[2:3]
	v_fma_f64 v[6:7], -v[14:15], v[154:155], v[6:7]
	ds_read2_b64 v[150:153], v10 offset1:1
	v_fma_f64 v[2:3], -v[24:25], v[136:137], v[2:3]
	s_waitcnt lgkmcnt(2)
	v_fma_f64 v[6:7], -v[16:17], v[90:91], v[6:7]
	v_fma_f64 v[2:3], -v[52:53], v[18:19], v[2:3]
	;; [unrolled: 1-line block ×4, first 2 shown]
	s_waitcnt lgkmcnt(1)
	v_fma_f64 v[6:7], -v[160:161], v[138:139], v[6:7]
	v_fma_f64 v[2:3], -v[14:15], v[94:95], v[2:3]
	;; [unrolled: 1-line block ×4, first 2 shown]
	s_waitcnt lgkmcnt(0)
	v_mul_f64 v[10:11], v[150:151], v[6:7]
	v_fma_f64 v[2:3], -v[188:189], v[146:147], v[2:3]
	ds_read2_b64 v[6:9], v116 offset0:55 offset1:111
	v_fma_f64 v[2:3], -v[160:161], v[140:141], v[2:3]
	v_fma_f64 v[2:3], -v[74:75], v[82:83], v[2:3]
	;; [unrolled: 1-line block ×3, first 2 shown]
	v_mul_f64 v[12:13], v[38:39], v[2:3]
	v_fma_f64 v[2:3], -v[98:99], v[166:167], v[4:5]
	s_waitcnt lgkmcnt(0)
	v_fma_f64 v[2:3], -v[100:101], v[6:7], v[2:3]
	v_fma_f64 v[2:3], -v[102:103], v[80:81], v[2:3]
	;; [unrolled: 1-line block ×3, first 2 shown]
	ds_read2_b64 v[2:5], v116 offset0:167 offset1:223
	v_add_u32_e64 v30, s12, 0
	v_fma_f64 v[18:19], -v[106:107], v[158:159], v[6:7]
	ds_read2_b64 v[6:9], v30 offset0:23 offset1:79
	s_movk_i32 s12, 0xc00
	s_waitcnt lgkmcnt(1)
	v_fma_f64 v[2:3], -v[108:109], v[2:3], v[18:19]
	v_fma_f64 v[2:3], -v[110:111], v[186:187], v[2:3]
	;; [unrolled: 1-line block ×4, first 2 shown]
	s_waitcnt lgkmcnt(0)
	v_fma_f64 v[2:3], -v[58:59], v[6:7], v[2:3]
	v_fma_f64 v[2:3], -v[54:55], v[36:37], v[2:3]
	;; [unrolled: 1-line block ×3, first 2 shown]
	ds_read2_b64 v[2:5], v30 offset0:135 offset1:191
	v_fma_f64 v[18:19], -v[44:45], v[32:33], v[6:7]
	v_add_u32_e64 v6, s12, 0
	ds_read2_b64 v[6:9], v6 offset0:119 offset1:175
	s_movk_i32 s12, 0x1000
	s_waitcnt lgkmcnt(1)
	v_fma_f64 v[2:3], -v[50:51], v[2:3], v[18:19]
	v_fma_f64 v[2:3], -v[26:27], v[144:145], v[2:3]
	;; [unrolled: 1-line block ×4, first 2 shown]
	s_waitcnt lgkmcnt(0)
	v_fma_f64 v[2:3], -v[24:25], v[6:7], v[2:3]
	v_fma_f64 v[2:3], -v[52:53], v[20:21], v[2:3]
	;; [unrolled: 1-line block ×3, first 2 shown]
	v_add_u32_e64 v2, s12, 0
	ds_read2_b64 v[2:5], v2 offset0:103 offset1:159
	s_movk_i32 s12, 0x1400
	v_fma_f64 v[14:15], -v[14:15], v[96:97], v[6:7]
	v_add_u32_e64 v6, s12, 0
	ds_read2_b64 v[6:9], v6 offset0:87 offset1:143
	s_waitcnt lgkmcnt(1)
	v_fma_f64 v[2:3], -v[16:17], v[2:3], v[14:15]
	v_fma_f64 v[2:3], -v[188:189], v[148:149], v[2:3]
	v_fma_f64 v[2:3], -v[160:161], v[4:5], v[2:3]
	v_fma_f64 v[2:3], -v[74:75], v[84:85], v[2:3]
	s_waitcnt lgkmcnt(0)
	v_fma_f64 v[2:3], -v[10:11], v[6:7], v[2:3]
	v_fma_f64 v[2:3], -v[12:13], v[40:41], v[2:3]
	v_mul_f64 v[2:3], v[8:9], v[2:3]
	s_mov_b32 s12, 28
	ds_write2_b64 v117, v[74:75], v[10:11] offset0:176 offset1:204
	ds_write2_b64 v1, v[12:13], v[2:3] offset0:104 offset1:132
.LBB99_43:
	s_cmp_lt_i32 s12, s30
	s_cbranch_scc0 .LBB99_60
; %bb.44:
	s_add_i32 s13, s12, 23
	s_cmp_ge_u32 s13, s30
	s_cbranch_scc1 .LBB99_49
; %bb.45:
	s_mul_i32 s16, s12, 28
	v_add_lshl_u32 v1, s16, v0, 3
	v_add_u32_e32 v2, 0x1800, v1
	ds_read2_b64 v[42:45], v2 offset0:16 offset1:44
	ds_read2_b64 v[46:49], v2 offset0:72 offset1:100
	ds_read2_b64 v[38:41], v2 offset0:128 offset1:156
	ds_read2_b64 v[34:37], v2 offset0:184 offset1:212
	v_add_u32_e32 v2, 0x1c00, v1
	ds_read2_b64 v[30:33], v2 offset0:112 offset1:140
	v_add_u32_e32 v2, 0x2000, v1
	ds_read2_b64 v[26:29], v2 offset0:40 offset1:68
	ds_read2_b64 v[22:25], v2 offset0:96 offset1:124
	ds_read2_b64 v[18:21], v2 offset0:152 offset1:180
	ds_read2_b64 v[14:17], v2 offset0:208 offset1:236
	v_add_u32_e32 v2, 0x2800, v1
	ds_read2_b64 v[10:13], v2 offset0:8 offset1:36
	ds_read2_b64 v[6:9], v2 offset0:64 offset1:92
	;; [unrolled: 1-line block ×3, first 2 shown]
	s_andn2_b64 vcc, exec, s[8:9]
	s_cbranch_vccnz .LBB99_48
; %bb.46:
	v_mov_b32_e32 v50, 0x1880
	s_lshl_b32 s8, s12, 3
	v_lshl_add_u32 v50, v0, 3, v50
	s_mov_b32 s9, 0
.LBB99_47:                              ; =>This Inner Loop Header: Depth=1
	v_mov_b32_e32 v51, s8
	ds_read_b64 v[100:101], v50
	ds_read_b128 v[52:55], v51
	ds_read_b128 v[56:59], v51 offset:16
	ds_read_b128 v[60:63], v51 offset:32
	;; [unrolled: 1-line block ×11, first 2 shown]
	s_add_i32 s9, s9, 1
	s_addk_i32 s8, 0xe0
	v_add_u32_e32 v50, 0xe0, v50
	s_cmp_lt_u32 s9, s12
	s_waitcnt lgkmcnt(11)
	v_fma_f64 v[42:43], -v[100:101], v[52:53], v[42:43]
	v_fma_f64 v[44:45], -v[100:101], v[54:55], v[44:45]
	s_waitcnt lgkmcnt(10)
	v_fma_f64 v[46:47], -v[100:101], v[56:57], v[46:47]
	v_fma_f64 v[48:49], -v[100:101], v[58:59], v[48:49]
	;; [unrolled: 3-line block ×12, first 2 shown]
	s_cbranch_scc1 .LBB99_47
.LBB99_48:
	s_mul_i32 s9, s12, 0xe8
	v_add_u32_e32 v54, 0x1880, v1
	v_mov_b32_e32 v1, s9
	ds_read_b128 v[56:59], v1
	ds_read_b128 v[50:53], v1 offset:16
	ds_read2_b64 v[60:63], v1 offset0:29 offset1:30
	s_add_i32 s17, s16, 28
	s_add_i32 s18, s16, 56
	s_waitcnt lgkmcnt(2)
	v_mul_f64 v[66:67], v[56:57], v[42:43]
	ds_write_b64 v54, v[66:67]
	v_fma_f64 v[54:55], -v[66:67], v[58:59], v[44:45]
	s_waitcnt lgkmcnt(1)
	v_mul_f64 v[68:69], v[60:61], v[54:55]
	v_add_lshl_u32 v54, s17, v0, 3
	s_add_i32 s17, s12, s17
	ds_read_b128 v[58:61], v1 offset:464
	s_lshl_b32 s17, s17, 3
	v_mov_b32_e32 v74, s17
	ds_read2_b64 v[76:79], v74 offset0:3 offset1:4
	v_fma_f64 v[46:47], -v[66:67], v[50:51], v[46:47]
	v_fma_f64 v[46:47], -v[68:69], v[62:63], v[46:47]
	ds_write_b64 v54, v[68:69] offset:6272
	ds_read2_b64 v[54:57], v1 offset0:87 offset1:88
	s_waitcnt lgkmcnt(3)
	v_mul_f64 v[70:71], v[58:59], v[46:47]
	v_add_lshl_u32 v46, s18, v0, 3
	ds_write_b64 v46, v[70:71] offset:6272
	v_fma_f64 v[46:47], -v[66:67], v[52:53], v[48:49]
	ds_read2_b64 v[50:53], v74 offset0:5 offset1:6
	s_waitcnt lgkmcnt(4)
	v_fma_f64 v[46:47], -v[68:69], v[76:77], v[46:47]
	ds_read_b128 v[42:45], v1 offset:64
	v_fma_f64 v[46:47], -v[70:71], v[60:61], v[46:47]
	ds_read_b128 v[58:61], v1 offset:32
	s_add_i32 s17, s12, s18
	s_lshl_b32 s18, s17, 3
	s_add_i32 s17, s16, 0x54
	s_waitcnt lgkmcnt(4)
	v_mul_f64 v[54:55], v[54:55], v[46:47]
	v_add_lshl_u32 v46, s17, v0, 3
	ds_write_b64 v46, v[54:55] offset:6272
	v_mov_b32_e32 v75, s18
	ds_read_b128 v[62:65], v75 offset:32
	ds_read_b128 v[46:49], v1 offset:48
	s_waitcnt lgkmcnt(3)
	v_fma_f64 v[38:39], -v[66:67], v[58:59], v[38:39]
	v_fma_f64 v[38:39], -v[68:69], v[78:79], v[38:39]
	ds_read_b128 v[76:79], v1 offset:928
	ds_read2_b64 v[80:83], v1 offset0:145 offset1:146
	s_add_i32 s17, s12, s17
	s_lshl_b32 s17, s17, 3
	s_waitcnt lgkmcnt(3)
	v_fma_f64 v[38:39], -v[70:71], v[62:63], v[38:39]
	v_mov_b32_e32 v156, s17
	v_fma_f64 v[38:39], -v[54:55], v[56:57], v[38:39]
	s_add_i32 s18, s16, 0x70
	ds_read2_b64 v[84:87], v156 offset0:5 offset1:6
	s_waitcnt lgkmcnt(2)
	v_mul_f64 v[56:57], v[76:77], v[38:39]
	v_add_lshl_u32 v38, s18, v0, 3
	ds_write_b64 v38, v[56:57] offset:6272
	v_fma_f64 v[38:39], -v[66:67], v[60:61], v[40:41]
	v_fma_f64 v[38:39], -v[68:69], v[50:51], v[38:39]
	;; [unrolled: 1-line block ×3, first 2 shown]
	ds_read_b128 v[38:41], v75 offset:176
	s_waitcnt lgkmcnt(2)
	v_fma_f64 v[50:51], -v[54:55], v[84:85], v[50:51]
	s_add_i32 s17, s12, s18
	v_fma_f64 v[50:51], -v[56:57], v[78:79], v[50:51]
	s_add_i32 s18, s16, 0x8c
	v_mul_f64 v[50:51], v[80:81], v[50:51]
	v_add_lshl_u32 v60, s18, v0, 3
	ds_read_b64 v[58:59], v74 offset:184
	ds_write_b64 v60, v[50:51] offset:6272
	ds_read_b128 v[60:63], v75 offset:48
	s_lshl_b32 s17, s17, 3
	v_mov_b32_e32 v172, s17
	v_fma_f64 v[34:35], -v[66:67], v[46:47], v[34:35]
	ds_read_b128 v[76:79], v172 offset:48
	ds_read_b128 v[88:91], v75 offset:64
	v_fma_f64 v[34:35], -v[68:69], v[52:53], v[34:35]
	s_waitcnt lgkmcnt(2)
	v_fma_f64 v[34:35], -v[70:71], v[60:61], v[34:35]
	v_fma_f64 v[46:47], -v[54:55], v[86:87], v[34:35]
	ds_read2_b64 v[84:87], v1 offset0:174 offset1:203
	s_waitcnt lgkmcnt(2)
	v_fma_f64 v[46:47], -v[56:57], v[76:77], v[46:47]
	ds_read_b64 v[34:35], v156 offset:184
	v_fma_f64 v[46:47], -v[50:51], v[82:83], v[46:47]
	ds_read2_b64 v[80:83], v74 offset0:7 offset1:8
	s_add_i32 s17, s12, s18
	s_add_i32 s18, s16, 0xa8
	s_lshl_b32 s17, s17, 3
	s_waitcnt lgkmcnt(2)
	v_mul_f64 v[46:47], v[84:85], v[46:47]
	v_add_lshl_u32 v52, s18, v0, 3
	ds_write_b64 v52, v[46:47] offset:6272
	v_fma_f64 v[36:37], -v[66:67], v[48:49], v[36:37]
	v_mov_b32_e32 v160, s17
	s_add_i32 s17, s12, s18
	ds_read2_b64 v[92:95], v156 offset0:7 offset1:8
	ds_read2_b64 v[96:99], v74 offset0:9 offset1:10
	s_waitcnt lgkmcnt(3)
	v_fma_f64 v[36:37], -v[68:69], v[80:81], v[36:37]
	s_lshl_b32 s17, s17, 3
	v_fma_f64 v[36:37], -v[70:71], v[62:63], v[36:37]
	ds_read2_b64 v[60:63], v156 offset0:9 offset1:10
	ds_read2_b64 v[100:103], v160 offset0:7 offset1:8
	v_mov_b32_e32 v184, s17
	ds_read2_b64 v[104:107], v184 offset0:7 offset1:8
	s_add_i32 s17, s16, 0xc4
	s_waitcnt lgkmcnt(4)
	v_fma_f64 v[36:37], -v[54:55], v[92:93], v[36:37]
	v_add_lshl_u32 v52, s17, v0, 3
	v_fma_f64 v[30:31], -v[66:67], v[42:43], v[30:31]
	s_add_i32 s17, s12, s17
	v_fma_f64 v[36:37], -v[56:57], v[78:79], v[36:37]
	v_fma_f64 v[30:31], -v[68:69], v[82:83], v[30:31]
	s_lshl_b32 s17, s17, 3
	s_waitcnt lgkmcnt(1)
	v_fma_f64 v[48:49], -v[50:51], v[100:101], v[36:37]
	v_fma_f64 v[30:31], -v[70:71], v[88:89], v[30:31]
	v_mov_b32_e32 v185, s17
	v_fma_f64 v[30:31], -v[54:55], v[94:95], v[30:31]
	ds_read_b128 v[92:95], v185 offset:64
	s_waitcnt lgkmcnt(1)
	v_fma_f64 v[48:49], -v[46:47], v[104:105], v[48:49]
	v_mul_f64 v[48:49], v[86:87], v[48:49]
	ds_read_b128 v[84:87], v172 offset:64
	ds_read_b128 v[80:83], v172 offset:80
	ds_write_b64 v52, v[48:49] offset:6272
	ds_read2_b64 v[76:79], v160 offset0:9 offset1:10
	ds_read_b64 v[36:37], v160 offset:184
	s_waitcnt lgkmcnt(4)
	v_fma_f64 v[30:31], -v[56:57], v[84:85], v[30:31]
	v_fma_f64 v[30:31], -v[50:51], v[102:103], v[30:31]
	;; [unrolled: 1-line block ×3, first 2 shown]
	ds_read_b128 v[100:103], v1 offset:1856
	ds_read_b128 v[104:107], v185 offset:80
	v_fma_f64 v[30:31], -v[48:49], v[92:93], v[30:31]
	s_add_i32 s17, s16, 0xe0
	v_add_lshl_u32 v42, s17, v0, 3
	s_waitcnt lgkmcnt(1)
	v_mul_f64 v[30:31], v[100:101], v[30:31]
	v_fma_f64 v[32:33], -v[66:67], v[44:45], v[32:33]
	ds_write_b64 v42, v[30:31] offset:6272
	v_fma_f64 v[32:33], -v[68:69], v[96:97], v[32:33]
	ds_read2_b64 v[42:45], v184 offset0:9 offset1:10
	v_fma_f64 v[32:33], -v[70:71], v[90:91], v[32:33]
	v_fma_f64 v[32:33], -v[54:55], v[60:61], v[32:33]
	s_add_i32 s18, s12, s16
	v_fma_f64 v[32:33], -v[56:57], v[86:87], v[32:33]
	ds_read2_b64 v[84:87], v184 offset0:11 offset1:12
	s_lshl_b32 s18, s18, 3
	v_fma_f64 v[32:33], -v[50:51], v[76:77], v[32:33]
	s_waitcnt lgkmcnt(1)
	v_fma_f64 v[32:33], -v[46:47], v[42:43], v[32:33]
	v_mov_b32_e32 v168, s18
	v_fma_f64 v[32:33], -v[48:49], v[94:95], v[32:33]
	ds_read_b128 v[92:95], v168 offset:80
	v_fma_f64 v[32:33], -v[30:31], v[102:103], v[32:33]
	ds_read_b128 v[100:103], v75 offset:80
	s_add_i32 s17, s12, s17
	s_lshl_b32 s17, s17, 3
	s_waitcnt lgkmcnt(1)
	v_fma_f64 v[26:27], -v[66:67], v[92:93], v[26:27]
	s_add_i32 s19, s9, 0x828
	v_fma_f64 v[26:27], -v[68:69], v[98:99], v[26:27]
	v_mov_b32_e32 v42, s19
	s_waitcnt lgkmcnt(0)
	v_fma_f64 v[26:27], -v[70:71], v[100:101], v[26:27]
	v_mov_b32_e32 v157, s17
	ds_read_b128 v[108:111], v1 offset:2320
	ds_read2_b64 v[88:91], v42 offset1:1
	v_fma_f64 v[26:27], -v[54:55], v[62:63], v[26:27]
	ds_read_b128 v[60:63], v157 offset:80
	v_fma_f64 v[26:27], -v[56:57], v[80:81], v[26:27]
	v_fma_f64 v[26:27], -v[50:51], v[78:79], v[26:27]
	ds_read_b128 v[76:79], v157 offset:96
	v_fma_f64 v[26:27], -v[46:47], v[44:45], v[26:27]
	v_fma_f64 v[26:27], -v[48:49], v[104:105], v[26:27]
	s_add_i32 s19, s16, 0xfc
	s_waitcnt lgkmcnt(2)
	v_mul_f64 v[32:33], v[88:89], v[32:33]
	s_waitcnt lgkmcnt(1)
	v_fma_f64 v[26:27], -v[30:31], v[60:61], v[26:27]
	v_add_lshl_u32 v42, s19, v0, 3
	ds_read_b128 v[96:99], v75 offset:96
	v_fma_f64 v[26:27], -v[32:33], v[90:91], v[26:27]
	ds_read2_b64 v[88:91], v74 offset0:11 offset1:12
	s_add_i32 s18, s16, 0x118
	ds_write_b64 v42, v[32:33] offset:6272
	v_mul_f64 v[42:43], v[108:109], v[26:27]
	v_add_lshl_u32 v26, s18, v0, 3
	ds_write_b64 v26, v[42:43] offset:6272
	v_fma_f64 v[26:27], -v[66:67], v[94:95], v[28:29]
	ds_read2_b64 v[92:95], v74 offset0:13 offset1:14
	ds_read2_b64 v[112:115], v156 offset0:11 offset1:12
	s_waitcnt lgkmcnt(4)
	v_fma_f64 v[26:27], -v[68:69], v[88:89], v[26:27]
	s_add_i32 s17, s12, s19
	v_fma_f64 v[26:27], -v[70:71], v[102:103], v[26:27]
	ds_read2_b64 v[100:103], v160 offset0:11 offset1:12
	ds_read2_b64 v[116:119], v156 offset0:13 offset1:14
	s_lshl_b32 s17, s17, 3
	s_waitcnt lgkmcnt(2)
	v_fma_f64 v[26:27], -v[54:55], v[112:113], v[26:27]
	v_mov_b32_e32 v186, s17
	v_fma_f64 v[26:27], -v[56:57], v[82:83], v[26:27]
	ds_read2_b64 v[80:83], v160 offset0:13 offset1:14
	ds_read2_b64 v[120:123], v186 offset0:11 offset1:12
	s_waitcnt lgkmcnt(3)
	v_fma_f64 v[26:27], -v[50:51], v[100:101], v[26:27]
	v_fma_f64 v[26:27], -v[46:47], v[84:85], v[26:27]
	;; [unrolled: 1-line block ×3, first 2 shown]
	s_add_i32 s17, s12, s18
	v_fma_f64 v[44:45], -v[30:31], v[62:63], v[26:27]
	s_lshl_b32 s17, s17, 3
	s_add_i32 s18, s9, 0x9f8
	s_waitcnt lgkmcnt(0)
	v_fma_f64 v[44:45], -v[32:33], v[120:121], v[44:45]
	v_mov_b32_e32 v52, s18
	v_mov_b32_e32 v158, s17
	ds_read_b128 v[26:29], v157 offset:176
	ds_read2_b64 v[60:63], v52 offset1:1
	v_fma_f64 v[44:45], -v[42:43], v[110:111], v[44:45]
	ds_read_b128 v[104:107], v158 offset:96
	ds_read_b128 v[108:111], v168 offset:96
	s_add_i32 s18, s16, 0x134
	ds_read_b128 v[124:127], v168 offset:112
	s_waitcnt lgkmcnt(3)
	v_mul_f64 v[44:45], v[60:61], v[44:45]
	v_add_lshl_u32 v52, s18, v0, 3
	s_waitcnt lgkmcnt(1)
	v_fma_f64 v[22:23], -v[66:67], v[108:109], v[22:23]
	v_fma_f64 v[22:23], -v[68:69], v[90:91], v[22:23]
	ds_read_b128 v[88:91], v172 offset:96
	ds_write_b64 v52, v[44:45] offset:6272
	v_fma_f64 v[22:23], -v[70:71], v[96:97], v[22:23]
	v_fma_f64 v[22:23], -v[54:55], v[114:115], v[22:23]
	ds_read_b128 v[112:115], v172 offset:112
	ds_read_b128 v[128:131], v185 offset:96
	s_waitcnt lgkmcnt(3)
	v_fma_f64 v[22:23], -v[56:57], v[88:89], v[22:23]
	v_fma_f64 v[22:23], -v[50:51], v[102:103], v[22:23]
	;; [unrolled: 1-line block ×3, first 2 shown]
	ds_read_b128 v[100:103], v1 offset:2784
	s_waitcnt lgkmcnt(1)
	v_fma_f64 v[22:23], -v[48:49], v[128:129], v[22:23]
	v_fma_f64 v[22:23], -v[30:31], v[76:77], v[22:23]
	;; [unrolled: 1-line block ×3, first 2 shown]
	ds_read_b128 v[120:123], v1 offset:3248
	v_fma_f64 v[22:23], -v[42:43], v[104:105], v[22:23]
	s_add_i32 s17, s12, s18
	v_fma_f64 v[22:23], -v[44:45], v[62:63], v[22:23]
	s_add_i32 s18, s16, 0x150
	s_waitcnt lgkmcnt(1)
	v_mul_f64 v[52:53], v[100:101], v[22:23]
	v_add_lshl_u32 v22, s18, v0, 3
	ds_write_b64 v22, v[52:53] offset:6272
	v_fma_f64 v[22:23], -v[66:67], v[110:111], v[24:25]
	v_fma_f64 v[22:23], -v[68:69], v[92:93], v[22:23]
	ds_read2_b64 v[62:65], v184 offset0:13 offset1:14
	v_fma_f64 v[22:23], -v[70:71], v[98:99], v[22:23]
	v_fma_f64 v[22:23], -v[54:55], v[116:117], v[22:23]
	v_fma_f64 v[22:23], -v[56:57], v[90:91], v[22:23]
	ds_read2_b64 v[88:91], v184 offset0:15 offset1:16
	ds_read_b128 v[84:87], v185 offset:112
	ds_read2_b64 v[96:99], v186 offset0:13 offset1:14
	v_fma_f64 v[22:23], -v[50:51], v[80:81], v[22:23]
	s_lshl_b32 s17, s17, 3
	s_waitcnt lgkmcnt(3)
	v_fma_f64 v[22:23], -v[46:47], v[62:63], v[22:23]
	v_fma_f64 v[22:23], -v[48:49], v[130:131], v[22:23]
	v_mov_b32_e32 v161, s17
	v_fma_f64 v[22:23], -v[30:31], v[78:79], v[22:23]
	ds_read2_b64 v[76:79], v161 offset0:13 offset1:14
	ds_read2_b64 v[108:111], v186 offset0:15 offset1:16
	s_waitcnt lgkmcnt(2)
	v_fma_f64 v[22:23], -v[32:33], v[96:97], v[22:23]
	v_fma_f64 v[60:61], -v[42:43], v[106:107], v[22:23]
	s_add_i32 s17, s12, s18
	s_add_i32 s18, s9, 0xbc8
	s_waitcnt lgkmcnt(1)
	v_fma_f64 v[60:61], -v[44:45], v[76:77], v[60:61]
	v_mov_b32_e32 v62, s18
	ds_read2_b64 v[104:107], v62 offset1:1
	v_fma_f64 v[60:61], -v[52:53], v[102:103], v[60:61]
	ds_read_b128 v[100:103], v75 offset:112
	v_fma_f64 v[18:19], -v[66:67], v[124:125], v[18:19]
	v_fma_f64 v[18:19], -v[68:69], v[94:95], v[18:19]
	ds_read_b128 v[92:95], v75 offset:128
	s_add_i32 s18, s16, 0x16c
	s_waitcnt lgkmcnt(1)
	v_fma_f64 v[18:19], -v[70:71], v[100:101], v[18:19]
	v_fma_f64 v[18:19], -v[54:55], v[118:119], v[18:19]
	ds_read_b128 v[116:119], v157 offset:112
	v_fma_f64 v[18:19], -v[56:57], v[112:113], v[18:19]
	v_fma_f64 v[18:19], -v[50:51], v[82:83], v[18:19]
	;; [unrolled: 1-line block ×3, first 2 shown]
	ds_read_b128 v[80:83], v157 offset:128
	ds_read_b128 v[128:131], v158 offset:112
	s_lshl_b32 s17, s17, 3
	v_mul_f64 v[60:61], v[104:105], v[60:61]
	v_add_lshl_u32 v72, s18, v0, 3
	v_fma_f64 v[18:19], -v[48:49], v[84:85], v[18:19]
	ds_write_b64 v72, v[60:61] offset:6272
	s_waitcnt lgkmcnt(3)
	v_fma_f64 v[18:19], -v[30:31], v[116:117], v[18:19]
	v_mov_b32_e32 v159, s17
	ds_read_b128 v[22:25], v158 offset:176
	ds_read_b64 v[62:63], v161 offset:184
	v_fma_f64 v[18:19], -v[32:33], v[98:99], v[18:19]
	ds_read_b128 v[96:99], v159 offset:112
	ds_read_b128 v[132:135], v158 offset:128
	s_waitcnt lgkmcnt(5)
	v_fma_f64 v[18:19], -v[42:43], v[128:129], v[18:19]
	v_fma_f64 v[18:19], -v[44:45], v[78:79], v[18:19]
	ds_read_b128 v[76:79], v159 offset:128
	s_waitcnt lgkmcnt(2)
	v_fma_f64 v[18:19], -v[52:53], v[96:97], v[18:19]
	s_add_i32 s17, s12, s18
	v_fma_f64 v[18:19], -v[60:61], v[106:107], v[18:19]
	ds_read2_b64 v[104:107], v74 offset0:15 offset1:16
	s_add_i32 s18, s16, 0x188
	v_mul_f64 v[64:65], v[120:121], v[18:19]
	v_add_lshl_u32 v18, s18, v0, 3
	ds_write_b64 v18, v[64:65] offset:6272
	v_fma_f64 v[18:19], -v[66:67], v[126:127], v[20:21]
	ds_read2_b64 v[124:127], v74 offset0:17 offset1:18
	ds_read2_b64 v[136:139], v156 offset0:15 offset1:16
	s_waitcnt lgkmcnt(3)
	v_fma_f64 v[18:19], -v[68:69], v[104:105], v[18:19]
	v_fma_f64 v[18:19], -v[70:71], v[102:103], v[18:19]
	ds_read2_b64 v[100:103], v160 offset0:15 offset1:16
	ds_read2_b64 v[140:143], v156 offset0:17 offset1:18
	s_lshl_b32 s17, s17, 3
	s_waitcnt lgkmcnt(2)
	v_fma_f64 v[18:19], -v[54:55], v[136:137], v[18:19]
	v_fma_f64 v[18:19], -v[56:57], v[114:115], v[18:19]
	s_waitcnt lgkmcnt(1)
	v_fma_f64 v[18:19], -v[50:51], v[100:101], v[18:19]
	v_fma_f64 v[18:19], -v[46:47], v[88:89], v[18:19]
	ds_read2_b64 v[112:115], v160 offset0:17 offset1:18
	v_fma_f64 v[18:19], -v[48:49], v[86:87], v[18:19]
	ds_read2_b64 v[84:87], v161 offset0:15 offset1:16
	v_fma_f64 v[18:19], -v[30:31], v[118:119], v[18:19]
	v_fma_f64 v[18:19], -v[32:33], v[108:109], v[18:19]
	v_mov_b32_e32 v187, s17
	v_fma_f64 v[18:19], -v[42:43], v[130:131], v[18:19]
	ds_read2_b64 v[116:119], v187 offset0:15 offset1:16
	ds_read2_b64 v[128:131], v161 offset0:17 offset1:18
	s_waitcnt lgkmcnt(2)
	v_fma_f64 v[18:19], -v[44:45], v[84:85], v[18:19]
	s_add_i32 s17, s12, s18
	v_fma_f64 v[72:73], -v[52:53], v[98:99], v[18:19]
	s_lshl_b32 s17, s17, 3
	s_add_i32 s18, s9, 0xd98
	s_waitcnt lgkmcnt(1)
	v_fma_f64 v[72:73], -v[60:61], v[116:117], v[72:73]
	v_mov_b32_e32 v84, s18
	v_mov_b32_e32 v162, s17
	ds_read_b128 v[18:21], v159 offset:176
	ds_read2_b64 v[96:99], v84 offset1:1
	v_fma_f64 v[72:73], -v[64:65], v[122:123], v[72:73]
	ds_read_b128 v[120:123], v162 offset:128
	ds_read_b128 v[144:147], v168 offset:128
	s_add_i32 s18, s16, 0x1a4
	ds_read_b128 v[148:151], v168 offset:144
	s_waitcnt lgkmcnt(3)
	v_mul_f64 v[72:73], v[96:97], v[72:73]
	v_add_lshl_u32 v84, s18, v0, 3
	s_waitcnt lgkmcnt(1)
	v_fma_f64 v[14:15], -v[66:67], v[144:145], v[14:15]
	v_fma_f64 v[14:15], -v[68:69], v[106:107], v[14:15]
	ds_read_b128 v[104:107], v172 offset:128
	ds_write_b64 v84, v[72:73] offset:6272
	v_fma_f64 v[14:15], -v[70:71], v[92:93], v[14:15]
	v_fma_f64 v[14:15], -v[54:55], v[138:139], v[14:15]
	ds_read_b128 v[136:139], v172 offset:144
	ds_read_b128 v[152:155], v185 offset:128
	s_waitcnt lgkmcnt(3)
	v_fma_f64 v[14:15], -v[56:57], v[104:105], v[14:15]
	v_fma_f64 v[14:15], -v[50:51], v[102:103], v[14:15]
	;; [unrolled: 1-line block ×3, first 2 shown]
	s_add_i32 s17, s12, s18
	s_waitcnt lgkmcnt(0)
	v_fma_f64 v[14:15], -v[48:49], v[152:153], v[14:15]
	v_fma_f64 v[14:15], -v[30:31], v[80:81], v[14:15]
	;; [unrolled: 1-line block ×5, first 2 shown]
	ds_read_b128 v[84:87], v1 offset:3712
	v_fma_f64 v[14:15], -v[52:53], v[76:77], v[14:15]
	v_fma_f64 v[14:15], -v[60:61], v[118:119], v[14:15]
	;; [unrolled: 1-line block ×4, first 2 shown]
	ds_read_b128 v[96:99], v1 offset:4176
	s_add_i32 s18, s16, 0x1c0
	s_waitcnt lgkmcnt(1)
	v_mul_f64 v[176:177], v[84:85], v[14:15]
	v_add_lshl_u32 v14, s18, v0, 3
	ds_write_b64 v14, v[176:177] offset:6272
	v_fma_f64 v[14:15], -v[66:67], v[146:147], v[16:17]
	v_fma_f64 v[14:15], -v[68:69], v[124:125], v[14:15]
	;; [unrolled: 1-line block ×3, first 2 shown]
	ds_read_b128 v[88:91], v185 offset:144
	v_fma_f64 v[76:77], -v[54:55], v[140:141], v[14:15]
	ds_read2_b64 v[14:17], v184 offset0:17 offset1:18
	v_fma_f64 v[76:77], -v[56:57], v[106:107], v[76:77]
	ds_read2_b64 v[92:95], v184 offset0:19 offset1:20
	ds_read2_b64 v[100:103], v186 offset0:17 offset1:18
	v_fma_f64 v[76:77], -v[50:51], v[112:113], v[76:77]
	ds_read2_b64 v[104:107], v187 offset0:17 offset1:18
	s_waitcnt lgkmcnt(3)
	v_fma_f64 v[14:15], -v[46:47], v[14:15], v[76:77]
	v_fma_f64 v[14:15], -v[48:49], v[154:155], v[14:15]
	;; [unrolled: 1-line block ×3, first 2 shown]
	ds_read2_b64 v[80:83], v186 offset0:19 offset1:20
	s_waitcnt lgkmcnt(2)
	v_fma_f64 v[14:15], -v[32:33], v[100:101], v[14:15]
	s_lshl_b32 s17, s17, 3
	v_fma_f64 v[14:15], -v[42:43], v[134:135], v[14:15]
	v_fma_f64 v[14:15], -v[44:45], v[128:129], v[14:15]
	v_mov_b32_e32 v163, s17
	v_fma_f64 v[14:15], -v[52:53], v[78:79], v[14:15]
	ds_read2_b64 v[76:79], v163 offset0:17 offset1:18
	ds_read2_b64 v[108:111], v187 offset0:19 offset1:20
	s_waitcnt lgkmcnt(3)
	v_fma_f64 v[14:15], -v[60:61], v[104:105], v[14:15]
	v_fma_f64 v[14:15], -v[64:65], v[122:123], v[14:15]
	s_add_i32 s17, s12, s18
	s_waitcnt lgkmcnt(1)
	v_fma_f64 v[14:15], -v[72:73], v[76:77], v[14:15]
	v_fma_f64 v[14:15], -v[176:177], v[86:87], v[14:15]
	ds_read_b128 v[84:87], v75 offset:144
	s_add_i32 s18, s9, 0xf68
	v_mov_b32_e32 v76, s18
	ds_read2_b64 v[120:123], v76 offset1:1
	v_fma_f64 v[10:11], -v[66:67], v[148:149], v[10:11]
	v_fma_f64 v[10:11], -v[68:69], v[126:127], v[10:11]
	ds_read_b128 v[124:127], v75 offset:160
	s_waitcnt lgkmcnt(2)
	v_fma_f64 v[10:11], -v[70:71], v[84:85], v[10:11]
	v_fma_f64 v[10:11], -v[54:55], v[142:143], v[10:11]
	s_add_i32 s18, s16, 0x1dc
	v_fma_f64 v[10:11], -v[56:57], v[136:137], v[10:11]
	v_fma_f64 v[10:11], -v[50:51], v[114:115], v[10:11]
	ds_read_b128 v[112:115], v157 offset:144
	s_waitcnt lgkmcnt(2)
	v_mul_f64 v[180:181], v[120:121], v[14:15]
	v_add_lshl_u32 v14, s18, v0, 3
	ds_write_b64 v14, v[180:181] offset:6272
	ds_read_b128 v[116:119], v162 offset:176
	ds_read_b64 v[178:179], v163 offset:184
	v_fma_f64 v[10:11], -v[46:47], v[16:17], v[10:11]
	ds_read_b128 v[14:17], v157 offset:160
	ds_read_b128 v[132:135], v158 offset:144
	v_fma_f64 v[10:11], -v[48:49], v[88:89], v[10:11]
	s_waitcnt lgkmcnt(5)
	v_fma_f64 v[10:11], -v[30:31], v[112:113], v[10:11]
	v_fma_f64 v[10:11], -v[32:33], v[102:103], v[10:11]
	ds_read_b128 v[100:103], v159 offset:144
	ds_read_b128 v[140:143], v158 offset:160
	s_waitcnt lgkmcnt(2)
	v_fma_f64 v[10:11], -v[42:43], v[132:133], v[10:11]
	v_fma_f64 v[10:11], -v[44:45], v[130:131], v[10:11]
	ds_read_b128 v[128:131], v159 offset:160
	ds_read_b128 v[144:147], v162 offset:144
	s_lshl_b32 s17, s17, 3
	s_waitcnt lgkmcnt(3)
	v_fma_f64 v[10:11], -v[52:53], v[100:101], v[10:11]
	v_mov_b32_e32 v164, s17
	v_fma_f64 v[10:11], -v[60:61], v[106:107], v[10:11]
	ds_read_b128 v[104:107], v164 offset:144
	ds_read_b128 v[152:155], v162 offset:160
	s_waitcnt lgkmcnt(2)
	v_fma_f64 v[10:11], -v[64:65], v[144:145], v[10:11]
	v_fma_f64 v[10:11], -v[72:73], v[78:79], v[10:11]
	ds_read_b128 v[76:79], v164 offset:160
	s_waitcnt lgkmcnt(2)
	v_fma_f64 v[10:11], -v[176:177], v[104:105], v[10:11]
	s_add_i32 s17, s12, s18
	v_fma_f64 v[10:11], -v[180:181], v[122:123], v[10:11]
	ds_read2_b64 v[120:123], v74 offset0:19 offset1:20
	s_add_i32 s18, s16, 0x1f8
	v_mul_f64 v[182:183], v[96:97], v[10:11]
	v_add_lshl_u32 v10, s18, v0, 3
	ds_write_b64 v10, v[182:183] offset:6272
	v_fma_f64 v[84:85], -v[66:67], v[150:151], v[12:13]
	ds_read2_b64 v[10:13], v74 offset0:21 offset1:22
	ds_read2_b64 v[148:151], v156 offset0:19 offset1:20
	s_waitcnt lgkmcnt(3)
	v_fma_f64 v[74:75], -v[68:69], v[120:121], v[84:85]
	v_fma_f64 v[74:75], -v[70:71], v[86:87], v[74:75]
	ds_read2_b64 v[84:87], v160 offset0:19 offset1:20
	ds_read2_b64 v[156:159], v156 offset0:21 offset1:22
	s_lshl_b32 s17, s17, 3
	s_waitcnt lgkmcnt(2)
	v_fma_f64 v[74:75], -v[54:55], v[148:149], v[74:75]
	v_fma_f64 v[74:75], -v[56:57], v[138:139], v[74:75]
	s_waitcnt lgkmcnt(1)
	v_fma_f64 v[74:75], -v[50:51], v[84:85], v[74:75]
	v_fma_f64 v[74:75], -v[46:47], v[92:93], v[74:75]
	ds_read2_b64 v[136:139], v160 offset0:21 offset1:22
	v_fma_f64 v[74:75], -v[48:49], v[90:91], v[74:75]
	ds_read2_b64 v[88:91], v161 offset0:19 offset1:20
	v_fma_f64 v[74:75], -v[30:31], v[114:115], v[74:75]
	v_fma_f64 v[74:75], -v[32:33], v[80:81], v[74:75]
	;; [unrolled: 1-line block ×3, first 2 shown]
	ds_read2_b64 v[112:115], v161 offset0:21 offset1:22
	s_waitcnt lgkmcnt(1)
	v_fma_f64 v[74:75], -v[44:45], v[88:89], v[74:75]
	v_fma_f64 v[74:75], -v[52:53], v[102:103], v[74:75]
	ds_read2_b64 v[100:103], v163 offset0:19 offset1:20
	v_fma_f64 v[74:75], -v[60:61], v[108:109], v[74:75]
	v_mov_b32_e32 v108, s17
	v_fma_f64 v[74:75], -v[64:65], v[146:147], v[74:75]
	ds_read2_b64 v[132:135], v108 offset0:19 offset1:20
	ds_read2_b64 v[144:147], v163 offset0:21 offset1:22
	s_waitcnt lgkmcnt(2)
	v_fma_f64 v[74:75], -v[72:73], v[100:101], v[74:75]
	s_add_i32 s17, s12, s18
	v_fma_f64 v[74:75], -v[176:177], v[106:107], v[74:75]
	s_lshl_b32 s17, s17, 3
	s_add_i32 s18, s9, 0x1138
	s_waitcnt lgkmcnt(1)
	v_fma_f64 v[74:75], -v[180:181], v[132:133], v[74:75]
	v_mov_b32_e32 v80, s18
	v_mov_b32_e32 v100, s17
	ds_read_b128 v[104:107], v164 offset:176
	v_fma_f64 v[74:75], -v[182:183], v[98:99], v[74:75]
	ds_read2_b64 v[96:99], v80 offset1:1
	ds_read_b128 v[160:163], v100 offset:160
	ds_read_b128 v[164:167], v168 offset:160
	s_add_i32 s18, s16, 0x214
	ds_read_b128 v[168:171], v168 offset:176
	s_add_i32 s17, s12, s18
	s_waitcnt lgkmcnt(3)
	v_mul_f64 v[132:133], v[96:97], v[74:75]
	s_waitcnt lgkmcnt(1)
	v_fma_f64 v[6:7], -v[66:67], v[164:165], v[6:7]
	v_fma_f64 v[6:7], -v[68:69], v[122:123], v[6:7]
	ds_read_b128 v[120:123], v172 offset:160
	v_add_lshl_u32 v74, s18, v0, 3
	ds_write_b64 v74, v[132:133] offset:6272
	v_fma_f64 v[6:7], -v[70:71], v[124:125], v[6:7]
	v_fma_f64 v[6:7], -v[54:55], v[150:151], v[6:7]
	ds_read_b128 v[148:151], v172 offset:176
	ds_read_b128 v[172:175], v185 offset:160
	s_waitcnt lgkmcnt(3)
	v_fma_f64 v[6:7], -v[56:57], v[120:121], v[6:7]
	v_fma_f64 v[6:7], -v[50:51], v[86:87], v[6:7]
	;; [unrolled: 1-line block ×3, first 2 shown]
	ds_read_b128 v[84:87], v185 offset:176
	s_waitcnt lgkmcnt(1)
	v_fma_f64 v[6:7], -v[48:49], v[172:173], v[6:7]
	v_fma_f64 v[6:7], -v[30:31], v[14:15], v[6:7]
	v_fma_f64 v[6:7], -v[32:33], v[82:83], v[6:7]
	v_fma_f64 v[6:7], -v[42:43], v[140:141], v[6:7]
	v_fma_f64 v[6:7], -v[44:45], v[90:91], v[6:7]
	v_fma_f64 v[6:7], -v[52:53], v[128:129], v[6:7]
	v_fma_f64 v[6:7], -v[60:61], v[110:111], v[6:7]
	v_fma_f64 v[6:7], -v[64:65], v[152:153], v[6:7]
	v_fma_f64 v[6:7], -v[72:73], v[102:103], v[6:7]
	v_fma_f64 v[6:7], -v[176:177], v[76:77], v[6:7]
	ds_read_b128 v[74:77], v1 offset:4640
	ds_read_b128 v[80:83], v1 offset:5104
	v_fma_f64 v[6:7], -v[180:181], v[134:135], v[6:7]
	v_fma_f64 v[6:7], -v[182:183], v[160:161], v[6:7]
	;; [unrolled: 1-line block ×3, first 2 shown]
	s_waitcnt lgkmcnt(1)
	v_mul_f64 v[74:75], v[74:75], v[6:7]
	v_fma_f64 v[6:7], -v[66:67], v[166:167], v[8:9]
	v_fma_f64 v[6:7], -v[68:69], v[10:11], v[6:7]
	;; [unrolled: 1-line block ×3, first 2 shown]
	s_add_i32 s18, s16, 0x230
	v_fma_f64 v[10:11], -v[54:55], v[156:157], v[6:7]
	ds_read2_b64 v[6:9], v184 offset0:21 offset1:22
	v_add_lshl_u32 v1, s18, v0, 3
	ds_write_b64 v1, v[74:75] offset:6272
	v_fma_f64 v[10:11], -v[56:57], v[122:123], v[10:11]
	ds_read_b64 v[120:121], v184 offset:184
	ds_read2_b64 v[88:91], v186 offset0:21 offset1:22
	v_fma_f64 v[10:11], -v[50:51], v[136:137], v[10:11]
	s_waitcnt lgkmcnt(3)
	v_fma_f64 v[6:7], -v[46:47], v[6:7], v[10:11]
	v_fma_f64 v[6:7], -v[48:49], v[174:175], v[6:7]
	;; [unrolled: 1-line block ×3, first 2 shown]
	ds_read2_b64 v[14:17], v187 offset0:21 offset1:22
	s_waitcnt lgkmcnt(1)
	v_fma_f64 v[6:7], -v[32:33], v[88:89], v[6:7]
	ds_read_b64 v[88:89], v187 offset:184
	v_fma_f64 v[2:3], -v[66:67], v[168:169], v[2:3]
	v_fma_f64 v[6:7], -v[42:43], v[142:143], v[6:7]
	;; [unrolled: 1-line block ×7, first 2 shown]
	ds_read_b64 v[10:11], v186 offset:184
	ds_read2_b64 v[92:95], v108 offset0:21 offset1:22
	s_waitcnt lgkmcnt(3)
	v_fma_f64 v[6:7], -v[60:61], v[14:15], v[6:7]
	v_fma_f64 v[2:3], -v[56:57], v[148:149], v[2:3]
	s_lshl_b32 s17, s17, 3
	v_fma_f64 v[6:7], -v[64:65], v[154:155], v[6:7]
	v_fma_f64 v[2:3], -v[50:51], v[138:139], v[2:3]
	;; [unrolled: 1-line block ×3, first 2 shown]
	v_mov_b32_e32 v1, s17
	s_addk_i32 s9, 0x1308
	v_fma_f64 v[2:3], -v[46:47], v[8:9], v[2:3]
	v_fma_f64 v[4:5], -v[66:67], v[170:171], v[4:5]
	;; [unrolled: 1-line block ×3, first 2 shown]
	ds_read2_b64 v[96:99], v1 offset0:21 offset1:22
	ds_read_b64 v[14:15], v108 offset:184
	v_mov_b32_e32 v78, s9
	v_fma_f64 v[2:3], -v[48:49], v[84:85], v[2:3]
	v_fma_f64 v[4:5], -v[68:69], v[58:59], v[4:5]
	ds_read2_b64 v[108:111], v78 offset1:1
	v_fma_f64 v[2:3], -v[30:31], v[26:27], v[2:3]
	v_fma_f64 v[4:5], -v[70:71], v[40:41], v[4:5]
	s_waitcnt lgkmcnt(3)
	v_fma_f64 v[6:7], -v[180:181], v[92:93], v[6:7]
	v_fma_f64 v[2:3], -v[32:33], v[90:91], v[2:3]
	;; [unrolled: 1-line block ×6, first 2 shown]
	s_waitcnt lgkmcnt(2)
	v_fma_f64 v[6:7], -v[132:133], v[96:97], v[6:7]
	s_add_i32 s17, s12, s18
	v_fma_f64 v[2:3], -v[44:45], v[114:115], v[2:3]
	v_fma_f64 v[4:5], -v[50:51], v[36:37], v[4:5]
	s_lshl_b32 s9, s17, 3
	v_fma_f64 v[6:7], -v[74:75], v[76:77], v[6:7]
	ds_read_b64 v[76:77], v1 offset:184
	s_add_i32 s17, s16, 0x24c
	v_fma_f64 v[2:3], -v[52:53], v[18:19], v[2:3]
	v_fma_f64 v[4:5], -v[46:47], v[120:121], v[4:5]
	ds_read_b128 v[100:103], v100 offset:176
	s_waitcnt lgkmcnt(2)
	v_mul_f64 v[78:79], v[108:109], v[6:7]
	v_add_lshl_u32 v1, s17, v0, 3
	v_fma_f64 v[2:3], -v[60:61], v[16:17], v[2:3]
	v_fma_f64 v[4:5], -v[48:49], v[86:87], v[4:5]
	ds_write_b64 v1, v[78:79] offset:6272
	v_fma_f64 v[2:3], -v[64:65], v[116:117], v[2:3]
	v_mov_b32_e32 v1, s9
	ds_read_b128 v[6:9], v1 offset:176
	v_fma_f64 v[4:5], -v[30:31], v[28:29], v[4:5]
	v_fma_f64 v[2:3], -v[72:73], v[146:147], v[2:3]
	;; [unrolled: 1-line block ×7, first 2 shown]
	s_waitcnt lgkmcnt(2)
	v_fma_f64 v[2:3], -v[182:183], v[100:101], v[2:3]
	v_fma_f64 v[4:5], -v[52:53], v[20:21], v[4:5]
	;; [unrolled: 1-line block ×3, first 2 shown]
	s_add_i32 s9, s12, s17
	v_fma_f64 v[4:5], -v[60:61], v[88:89], v[4:5]
	s_lshl_b32 s9, s9, 3
	s_waitcnt lgkmcnt(0)
	v_fma_f64 v[2:3], -v[74:75], v[6:7], v[2:3]
	v_fma_f64 v[4:5], -v[64:65], v[118:119], v[4:5]
	v_mov_b32_e32 v1, s9
	v_fma_f64 v[2:3], -v[78:79], v[110:111], v[2:3]
	s_addk_i32 s16, 0x268
	v_fma_f64 v[4:5], -v[72:73], v[178:179], v[4:5]
	ds_read_b64 v[12:13], v1 offset:184
	v_mul_f64 v[2:3], v[80:81], v[2:3]
	v_add_lshl_u32 v1, s16, v0, 3
	v_fma_f64 v[4:5], -v[176:177], v[106:107], v[4:5]
	s_mul_i32 s9, s13, 0xe8
	ds_write_b64 v1, v[2:3] offset:6272
	v_fma_f64 v[4:5], -v[180:181], v[14:15], v[4:5]
	v_mov_b32_e32 v1, s9
	v_fma_f64 v[4:5], -v[182:183], v[102:103], v[4:5]
	ds_read_b64 v[6:7], v1
	v_fma_f64 v[4:5], -v[132:133], v[76:77], v[4:5]
	v_fma_f64 v[4:5], -v[74:75], v[8:9], v[4:5]
	s_waitcnt lgkmcnt(2)
	v_fma_f64 v[4:5], -v[78:79], v[12:13], v[4:5]
	s_add_i32 s8, s12, 24
	v_fma_f64 v[2:3], -v[2:3], v[82:83], v[4:5]
	s_mul_i32 s13, s13, 28
	s_waitcnt lgkmcnt(0)
	v_mul_f64 v[2:3], v[6:7], v[2:3]
	v_add_lshl_u32 v1, s13, v0, 3
	s_mov_b32 s12, s8
	ds_write_b64 v1, v[2:3] offset:6272
.LBB99_49:
	s_cmp_ge_i32 s12, s30
	s_cbranch_scc1 .LBB99_60
; %bb.50:
	v_mov_b32_e32 v1, 0x1880
	s_add_i32 s8, s12, -1
	s_lshl_b32 s9, s12, 3
	v_lshl_add_u32 v1, v0, 3, v1
	s_mov_b32 s13, 0
	s_mov_b32 s16, s12
	s_branch .LBB99_52
.LBB99_51:                              ;   in Loop: Header=BB99_52 Depth=1
	s_mul_i32 s17, s12, 0xe8
	v_mov_b32_e32 v5, s17
	ds_read_b64 v[6:7], v5
	s_add_i32 s12, s12, 1
	s_add_i32 s13, s13, 1
	;; [unrolled: 1-line block ×3, first 2 shown]
	v_add_u16_e64 v5, s16, 1
	v_add_u32_e32 v4, 0x1880, v4
	s_waitcnt lgkmcnt(0)
	v_mul_f64 v[2:3], v[6:7], v[2:3]
	s_cmp_ge_i32 s12, s30
	v_readfirstlane_b32 s16, v5
	ds_write_b64 v4, v[2:3]
	s_cbranch_scc1 .LBB99_60
.LBB99_52:                              ; =>This Loop Header: Depth=1
                                        ;     Child Loop BB99_55 Depth 2
                                        ;     Child Loop BB99_59 Depth 2
	s_mul_i32 s17, s12, 28
	v_add_lshl_u32 v4, s17, v0, 3
	ds_read_b64 v[2:3], v4 offset:6272
	s_cmp_eq_u32 s12, 0
	s_cbranch_scc1 .LBB99_51
; %bb.53:                               ;   in Loop: Header=BB99_52 Depth=1
	s_add_i32 s17, s8, s13
	s_cmp_lt_u32 s17, 7
	s_cbranch_scc1 .LBB99_57
; %bb.54:                               ;   in Loop: Header=BB99_52 Depth=1
	s_and_b32 s17, s12, -8
	s_mov_b32 s18, 0
	v_mov_b32_e32 v5, v1
	s_mov_b32 s19, s9
.LBB99_55:                              ;   Parent Loop BB99_52 Depth=1
                                        ; =>  This Inner Loop Header: Depth=2
	ds_read2_b64 v[6:9], v5 offset1:28
	v_mov_b32_e32 v34, s19
	ds_read2_b64 v[10:13], v5 offset0:56 offset1:84
	ds_read2_b64 v[14:17], v5 offset0:112 offset1:140
	;; [unrolled: 1-line block ×3, first 2 shown]
	ds_read2_b64 v[22:25], v34 offset1:28
	ds_read2_b64 v[26:29], v34 offset0:56 offset1:84
	ds_read2_b64 v[30:33], v34 offset0:112 offset1:140
	;; [unrolled: 1-line block ×3, first 2 shown]
	s_add_i32 s18, s18, 8
	s_waitcnt lgkmcnt(3)
	v_fma_f64 v[2:3], -v[6:7], v[22:23], v[2:3]
	v_fma_f64 v[2:3], -v[8:9], v[24:25], v[2:3]
	s_waitcnt lgkmcnt(2)
	v_fma_f64 v[2:3], -v[10:11], v[26:27], v[2:3]
	v_fma_f64 v[2:3], -v[12:13], v[28:29], v[2:3]
	;; [unrolled: 3-line block ×3, first 2 shown]
	s_addk_i32 s19, 0x700
	s_waitcnt lgkmcnt(0)
	v_fma_f64 v[2:3], -v[18:19], v[34:35], v[2:3]
	v_add_u32_e32 v5, 0x700, v5
	s_cmp_lg_u32 s17, s18
	v_fma_f64 v[2:3], -v[20:21], v[36:37], v[2:3]
	s_cbranch_scc1 .LBB99_55
; %bb.56:                               ;   in Loop: Header=BB99_52 Depth=1
	s_and_b32 s18, s12, 7
	s_cmp_eq_u32 s18, 0
	s_cbranch_scc0 .LBB99_58
	s_branch .LBB99_51
.LBB99_57:                              ;   in Loop: Header=BB99_52 Depth=1
	s_mov_b32 s17, 0
	s_and_b32 s18, s12, 7
	s_cmp_eq_u32 s18, 0
	s_cbranch_scc1 .LBB99_51
.LBB99_58:                              ;   in Loop: Header=BB99_52 Depth=1
	s_and_b32 s18, s16, 7
	s_mulk_i32 s17, 0xe0
.LBB99_59:                              ;   Parent Loop BB99_52 Depth=1
                                        ; =>  This Inner Loop Header: Depth=2
	v_add_u32_e32 v5, s17, v1
	s_add_i32 s19, s9, s17
	ds_read_b64 v[6:7], v5
	v_mov_b32_e32 v5, s19
	ds_read_b64 v[8:9], v5
	s_addk_i32 s17, 0xe0
	s_add_i32 s18, s18, -1
	s_cmp_lg_u32 s18, 0
	s_waitcnt lgkmcnt(0)
	v_fma_f64 v[2:3], -v[6:7], v[8:9], v[2:3]
	s_cbranch_scc1 .LBB99_59
	s_branch .LBB99_51
.LBB99_60:
	s_waitcnt lgkmcnt(0)
	; wave barrier
	s_waitcnt lgkmcnt(0)
	s_and_saveexec_b64 s[8:9], s[14:15]
	s_cbranch_execz .LBB99_67
; %bb.61:
	s_cmp_lt_i32 s10, 8
	s_mov_b32 s8, 0
	s_cbranch_scc1 .LBB99_64
; %bb.62:
	v_mad_i64_i32 v[2:3], s[8:9], s22, v0, 0
	v_lshlrev_b64 v[2:3], 3, v[2:3]
	v_mov_b32_e32 v4, s24
	v_add_co_u32_e32 v1, vcc, s11, v2
	v_addc_co_u32_e32 v2, vcc, v4, v3, vcc
	v_mov_b32_e32 v3, 0x1880
	s_lshl_b32 s8, s30, 3
	v_lshl_add_u32 v3, v0, 3, v3
	s_and_b32 s9, s8, 0xc0
	s_mov_b32 s8, 0
	s_mov_b64 s[10:11], 0
.LBB99_63:                              ; =>This Inner Loop Header: Depth=1
	ds_read2_b64 v[4:7], v3 offset1:28
	ds_read2_b64 v[8:11], v3 offset0:56 offset1:84
	ds_read2_b64 v[12:15], v3 offset0:112 offset1:140
	;; [unrolled: 1-line block ×3, first 2 shown]
	s_add_i32 s8, s8, 8
	v_add_co_u32_e32 v20, vcc, s10, v1
	s_add_u32 s10, s10, 64
	v_mov_b32_e32 v21, s11
	s_addc_u32 s11, s11, 0
	v_add_u32_e32 v3, 0x700, v3
	v_addc_co_u32_e32 v21, vcc, v2, v21, vcc
	s_cmp_lg_u32 s9, s10
	s_waitcnt lgkmcnt(3)
	global_store_dwordx4 v[20:21], v[4:7], off
	s_waitcnt lgkmcnt(2)
	global_store_dwordx4 v[20:21], v[8:11], off offset:16
	s_waitcnt lgkmcnt(1)
	global_store_dwordx4 v[20:21], v[12:15], off offset:32
	;; [unrolled: 2-line block ×3, first 2 shown]
	s_cbranch_scc1 .LBB99_63
.LBB99_64:
	s_and_b32 s10, s30, 7
	s_cmp_eq_u32 s10, 0
	s_mov_b32 s9, 0
	s_cbranch_scc1 .LBB99_67
; %bb.65:
	s_lshl_b64 s[6:7], s[6:7], 3
	v_lshlrev_b32_e32 v1, 3, v0
	v_mov_b32_e32 v2, s7
	v_add_co_u32_e32 v1, vcc, s6, v1
	s_lshl_b64 s[6:7], s[8:9], 3
	s_add_u32 s2, s2, s6
	s_addc_u32 s3, s3, s7
	s_add_u32 s2, s2, s4
	s_addc_u32 s3, s3, s5
	;; [unrolled: 2-line block ×3, first 2 shown]
	v_addc_co_u32_e32 v4, vcc, 0, v2, vcc
	v_pk_mov_b32 v[2:3], s[0:1], s[0:1] op_sel:[0,1]
	v_mad_u64_u32 v[2:3], s[0:1], v1, s22, v[2:3]
	s_mul_i32 s0, s8, 0xe0
	v_mul_lo_u32 v1, v1, s23
	v_mul_lo_u32 v4, v4, s22
	v_lshl_add_u32 v0, v0, 3, s0
	v_add3_u32 v3, v4, v3, v1
	v_add_u32_e32 v0, 0x1880, v0
.LBB99_66:                              ; =>This Inner Loop Header: Depth=1
	ds_read_b64 v[4:5], v0
	s_add_i32 s10, s10, -1
	v_add_u32_e32 v0, 0xe0, v0
	s_cmp_lg_u32 s10, 0
	s_waitcnt lgkmcnt(0)
	global_store_dwordx2 v[2:3], v[4:5], off
	v_add_co_u32_e32 v2, vcc, 8, v2
	v_addc_co_u32_e32 v3, vcc, 0, v3, vcc
	s_cbranch_scc1 .LBB99_66
.LBB99_67:
	s_endpgm
	.section	.rodata,"a",@progbits
	.p2align	6, 0x0
	.amdhsa_kernel _ZL38rocblas_trsm_small_left_device_sharedBILi28ELi28ELb1EddPKdPdEv13rocblas_fill_18rocblas_operation_17rocblas_diagonal_iiT3_T4_lilT5_lili
		.amdhsa_group_segment_fixed_size 12544
		.amdhsa_private_segment_fixed_size 0
		.amdhsa_kernarg_size 360
		.amdhsa_user_sgpr_count 6
		.amdhsa_user_sgpr_private_segment_buffer 1
		.amdhsa_user_sgpr_dispatch_ptr 0
		.amdhsa_user_sgpr_queue_ptr 0
		.amdhsa_user_sgpr_kernarg_segment_ptr 1
		.amdhsa_user_sgpr_dispatch_id 0
		.amdhsa_user_sgpr_flat_scratch_init 0
		.amdhsa_user_sgpr_kernarg_preload_length 0
		.amdhsa_user_sgpr_kernarg_preload_offset 0
		.amdhsa_user_sgpr_private_segment_size 0
		.amdhsa_uses_dynamic_stack 0
		.amdhsa_system_sgpr_private_segment_wavefront_offset 0
		.amdhsa_system_sgpr_workgroup_id_x 1
		.amdhsa_system_sgpr_workgroup_id_y 0
		.amdhsa_system_sgpr_workgroup_id_z 1
		.amdhsa_system_sgpr_workgroup_info 0
		.amdhsa_system_vgpr_workitem_id 0
		.amdhsa_next_free_vgpr 190
		.amdhsa_next_free_sgpr 47
		.amdhsa_accum_offset 192
		.amdhsa_reserve_vcc 1
		.amdhsa_reserve_flat_scratch 0
		.amdhsa_float_round_mode_32 0
		.amdhsa_float_round_mode_16_64 0
		.amdhsa_float_denorm_mode_32 3
		.amdhsa_float_denorm_mode_16_64 3
		.amdhsa_dx10_clamp 1
		.amdhsa_ieee_mode 1
		.amdhsa_fp16_overflow 0
		.amdhsa_tg_split 0
		.amdhsa_exception_fp_ieee_invalid_op 0
		.amdhsa_exception_fp_denorm_src 0
		.amdhsa_exception_fp_ieee_div_zero 0
		.amdhsa_exception_fp_ieee_overflow 0
		.amdhsa_exception_fp_ieee_underflow 0
		.amdhsa_exception_fp_ieee_inexact 0
		.amdhsa_exception_int_div_zero 0
	.end_amdhsa_kernel
	.section	.text._ZL38rocblas_trsm_small_left_device_sharedBILi28ELi28ELb1EddPKdPdEv13rocblas_fill_18rocblas_operation_17rocblas_diagonal_iiT3_T4_lilT5_lili,"axG",@progbits,_ZL38rocblas_trsm_small_left_device_sharedBILi28ELi28ELb1EddPKdPdEv13rocblas_fill_18rocblas_operation_17rocblas_diagonal_iiT3_T4_lilT5_lili,comdat
.Lfunc_end99:
	.size	_ZL38rocblas_trsm_small_left_device_sharedBILi28ELi28ELb1EddPKdPdEv13rocblas_fill_18rocblas_operation_17rocblas_diagonal_iiT3_T4_lilT5_lili, .Lfunc_end99-_ZL38rocblas_trsm_small_left_device_sharedBILi28ELi28ELb1EddPKdPdEv13rocblas_fill_18rocblas_operation_17rocblas_diagonal_iiT3_T4_lilT5_lili
                                        ; -- End function
	.section	.AMDGPU.csdata,"",@progbits
; Kernel info:
; codeLenInByte = 30404
; NumSgprs: 51
; NumVgprs: 190
; NumAgprs: 0
; TotalNumVgprs: 190
; ScratchSize: 0
; MemoryBound: 0
; FloatMode: 240
; IeeeMode: 1
; LDSByteSize: 12544 bytes/workgroup (compile time only)
; SGPRBlocks: 6
; VGPRBlocks: 23
; NumSGPRsForWavesPerEU: 51
; NumVGPRsForWavesPerEU: 190
; AccumOffset: 192
; Occupancy: 2
; WaveLimiterHint : 0
; COMPUTE_PGM_RSRC2:SCRATCH_EN: 0
; COMPUTE_PGM_RSRC2:USER_SGPR: 6
; COMPUTE_PGM_RSRC2:TRAP_HANDLER: 0
; COMPUTE_PGM_RSRC2:TGID_X_EN: 1
; COMPUTE_PGM_RSRC2:TGID_Y_EN: 0
; COMPUTE_PGM_RSRC2:TGID_Z_EN: 1
; COMPUTE_PGM_RSRC2:TIDIG_COMP_CNT: 0
; COMPUTE_PGM_RSRC3_GFX90A:ACCUM_OFFSET: 47
; COMPUTE_PGM_RSRC3_GFX90A:TG_SPLIT: 0
	.section	.text._ZL30rocblas_trsm_small_left_deviceILi28ELi28ELb1EddPKdPdEv13rocblas_fill_18rocblas_operation_17rocblas_diagonal_iiT3_T4_lilT5_lili,"axG",@progbits,_ZL30rocblas_trsm_small_left_deviceILi28ELi28ELb1EddPKdPdEv13rocblas_fill_18rocblas_operation_17rocblas_diagonal_iiT3_T4_lilT5_lili,comdat
	.globl	_ZL30rocblas_trsm_small_left_deviceILi28ELi28ELb1EddPKdPdEv13rocblas_fill_18rocblas_operation_17rocblas_diagonal_iiT3_T4_lilT5_lili ; -- Begin function _ZL30rocblas_trsm_small_left_deviceILi28ELi28ELb1EddPKdPdEv13rocblas_fill_18rocblas_operation_17rocblas_diagonal_iiT3_T4_lilT5_lili
	.p2align	8
	.type	_ZL30rocblas_trsm_small_left_deviceILi28ELi28ELb1EddPKdPdEv13rocblas_fill_18rocblas_operation_17rocblas_diagonal_iiT3_T4_lilT5_lili,@function
_ZL30rocblas_trsm_small_left_deviceILi28ELi28ELb1EddPKdPdEv13rocblas_fill_18rocblas_operation_17rocblas_diagonal_iiT3_T4_lilT5_lili: ; @_ZL30rocblas_trsm_small_left_deviceILi28ELi28ELb1EddPKdPdEv13rocblas_fill_18rocblas_operation_17rocblas_diagonal_iiT3_T4_lilT5_lili
; %bb.0:
	s_load_dwordx4 s[12:15], s[4:5], 0x4
	s_load_dwordx4 s[0:3], s[4:5], 0x18
	s_load_dwordx2 s[24:25], s[4:5], 0x28
	s_load_dwordx4 s[8:11], s[4:5], 0x38
	s_load_dwordx2 s[20:21], s[4:5], 0x48
	s_waitcnt lgkmcnt(0)
	s_min_i32 s16, s14, 28
	s_mov_b32 s17, 0
	s_add_i32 s18, s16, -1
	v_cmp_gt_i32_e32 vcc, s16, v0
	s_and_saveexec_b64 s[22:23], vcc
	s_cbranch_execz .LBB100_10
; %bb.1:
	s_load_dword s26, s[4:5], 0x30
	s_mul_i32 s9, s7, s9
	s_mul_hi_u32 s19, s7, s8
	s_add_i32 s9, s19, s9
	s_mul_i32 s8, s7, s8
	s_waitcnt lgkmcnt(0)
	s_ashr_i32 s27, s26, 31
	s_cmp_lt_u32 s18, 3
	v_lshlrev_b32_e32 v1, 3, v0
	s_cbranch_scc1 .LBB100_4
; %bb.2:
	s_lshl_b64 s[28:29], s[8:9], 3
	s_add_u32 s17, s2, s28
	s_addc_u32 s19, s3, s29
	s_lshl_b64 s[28:29], s[24:25], 3
	s_add_u32 s17, s17, s28
	s_addc_u32 s19, s19, s29
	v_mov_b32_e32 v3, s19
	v_add_co_u32_e32 v2, vcc, s17, v1
	s_mul_hi_i32 s36, s26, 24
	s_lshl_b64 s[28:29], s[26:27], 5
	s_lshl_b64 s[30:31], s[26:27], 4
	;; [unrolled: 1-line block ×3, first 2 shown]
	v_addc_co_u32_e32 v3, vcc, 0, v3, vcc
	s_and_b32 s17, s16, -4
	s_mul_i32 s19, s26, 24
	s_mov_b32 s33, 0
	v_mov_b32_e32 v4, s35
	v_mov_b32_e32 v5, s31
	;; [unrolled: 1-line block ×5, first 2 shown]
.LBB100_3:                              ; =>This Inner Loop Header: Depth=1
	v_add_co_u32_e32 v12, vcc, s34, v2
	v_addc_co_u32_e32 v13, vcc, v3, v4, vcc
	v_add_co_u32_e32 v14, vcc, s30, v2
	v_addc_co_u32_e32 v15, vcc, v3, v5, vcc
	v_add_co_u32_e32 v16, vcc, s19, v2
	global_load_dwordx2 v[10:11], v[2:3], off
	v_addc_co_u32_e32 v17, vcc, v3, v6, vcc
	global_load_dwordx2 v[18:19], v[12:13], off
	global_load_dwordx2 v[20:21], v[14:15], off
	global_load_dwordx2 v[22:23], v[16:17], off
	s_add_i32 s33, s33, 4
	v_add_co_u32_e32 v2, vcc, s28, v2
	v_addc_co_u32_e32 v3, vcc, v3, v7, vcc
	s_cmp_eq_u32 s17, s33
	s_waitcnt vmcnt(2)
	ds_write2_b64 v8, v[10:11], v[18:19] offset1:28
	s_waitcnt vmcnt(0)
	ds_write2_b64 v8, v[20:21], v[22:23] offset0:56 offset1:84
	v_add_u32_e32 v8, 0x380, v8
	s_cbranch_scc0 .LBB100_3
.LBB100_4:
	s_and_b32 s19, s16, 3
	s_cmp_eq_u32 s19, 0
	s_cbranch_scc1 .LBB100_7
; %bb.5:
	s_mul_i32 s28, s17, 0xe0
	v_lshl_add_u32 v4, v0, 3, s28
	s_mul_i32 s28, s27, s17
	s_mul_hi_u32 s29, s26, s17
	s_add_i32 s29, s29, s28
	s_mul_i32 s28, s26, s17
	s_lshl_b64 s[8:9], s[8:9], 3
	s_lshl_b64 s[28:29], s[28:29], 3
	s_add_u32 s17, s8, s28
	s_addc_u32 s28, s9, s29
	s_lshl_b64 s[8:9], s[24:25], 3
	s_add_u32 s8, s17, s8
	s_addc_u32 s9, s28, s9
	s_add_u32 s2, s2, s8
	s_addc_u32 s3, s3, s9
	v_mov_b32_e32 v3, s3
	v_add_co_u32_e32 v2, vcc, s2, v1
	s_lshl_b64 s[2:3], s[26:27], 3
	v_addc_co_u32_e32 v3, vcc, 0, v3, vcc
	v_mov_b32_e32 v1, s3
.LBB100_6:                              ; =>This Inner Loop Header: Depth=1
	global_load_dwordx2 v[6:7], v[2:3], off
	v_add_co_u32_e32 v2, vcc, s2, v2
	s_add_i32 s19, s19, -1
	v_addc_co_u32_e32 v3, vcc, v3, v1, vcc
	s_cmp_lg_u32 s19, 0
	s_waitcnt vmcnt(0)
	ds_write_b64 v4, v[6:7]
	v_add_u32_e32 v4, 0xe0, v4
	s_cbranch_scc1 .LBB100_6
.LBB100_7:
	v_mul_u32_u24_e32 v1, 29, v0
	v_mov_b32_e32 v2, 0
	s_cmpk_lg_i32 s13, 0x84
	v_lshlrev_b32_e32 v1, 3, v1
	v_mov_b32_e32 v3, 0x3ff00000
	s_cbranch_scc0 .LBB100_9
; %bb.8:
	ds_read_b64 v[2:3], v1
	s_waitcnt lgkmcnt(0)
	v_div_scale_f64 v[4:5], s[2:3], v[2:3], v[2:3], 1.0
	v_rcp_f64_e32 v[6:7], v[4:5]
	v_div_scale_f64 v[8:9], vcc, 1.0, v[2:3], 1.0
	v_fma_f64 v[10:11], -v[4:5], v[6:7], 1.0
	v_fmac_f64_e32 v[6:7], v[6:7], v[10:11]
	v_fma_f64 v[10:11], -v[4:5], v[6:7], 1.0
	v_fmac_f64_e32 v[6:7], v[6:7], v[10:11]
	v_mul_f64 v[10:11], v[8:9], v[6:7]
	v_fma_f64 v[4:5], -v[4:5], v[10:11], v[8:9]
	v_div_fmas_f64 v[4:5], v[4:5], v[6:7], v[10:11]
	v_div_fixup_f64 v[2:3], v[4:5], v[2:3], 1.0
.LBB100_9:
	ds_write_b64 v1, v[2:3]
.LBB100_10:
	s_or_b64 exec, exec, s[22:23]
	s_load_dword s2, s[4:5], 0x68
	s_mul_i32 s3, s6, 0xffffffe4
	s_add_i32 s3, s3, s15
	s_waitcnt lgkmcnt(0)
	; wave barrier
	s_waitcnt lgkmcnt(0)
	s_add_i32 s2, s2, -1
	s_cmp_ge_u32 s6, s2
	s_cselect_b32 s2, s3, 28
	v_cmp_gt_i32_e32 vcc, s2, v0
	s_and_saveexec_b64 s[2:3], vcc
	s_cbranch_execz .LBB100_54
; %bb.11:
	s_load_dwordx2 s[2:3], s[4:5], 0x58
	s_load_dword s8, s[4:5], 0x50
	s_waitcnt lgkmcnt(0)
	s_mul_i32 s3, s7, s3
	s_mul_hi_u32 s4, s7, s2
	s_mul_i32 s2, s7, s2
	s_add_i32 s3, s4, s3
	s_lshl_b64 s[2:3], s[2:3], 3
	s_add_u32 s7, s10, s2
	s_addc_u32 s9, s11, s3
	s_lshl_b64 s[4:5], s[20:21], 3
	s_add_u32 s13, s7, s4
	v_mad_u64_u32 v[0:1], s[6:7], s6, 28, v[0:1]
	v_mad_i64_i32 v[0:1], s[6:7], s8, v0, 0
	s_addc_u32 s9, s9, s5
	v_lshlrev_b64 v[150:151], 3, v[0:1]
	v_mov_b32_e32 v0, s9
	v_add_co_u32_e32 v148, vcc, s13, v150
	v_addc_co_u32_e32 v149, vcc, v0, v151, vcc
	s_cmpk_eq_i32 s12, 0x6f
	s_mov_b64 s[6:7], -1
	s_cbranch_scc1 .LBB100_34
; %bb.12:
	s_cmp_gt_i32 s14, 27
	s_mov_b32 s6, s18
	s_cbranch_scc0 .LBB100_14
; %bb.13:
	s_ashr_i32 s19, s18, 31
	s_lshl_b64 s[6:7], s[18:19], 3
	v_mov_b32_e32 v0, s7
	v_add_co_u32_e32 v12, vcc, s6, v148
	v_addc_co_u32_e32 v13, vcc, v149, v0, vcc
	global_load_dwordx2 v[14:15], v[12:13], off
	s_mov_b32 s17, 0
	s_lshl_b64 s[6:7], s[16:17], 3
	v_mov_b32_e32 v0, s7
	v_add_co_u32_e32 v52, vcc, s6, v148
	v_addc_co_u32_e32 v53, vcc, v149, v0, vcc
	global_load_dwordx2 v[54:55], v[52:53], off offset:-16
	global_load_dwordx4 v[8:11], v[52:53], off offset:-32
	global_load_dwordx4 v[4:7], v[52:53], off offset:-48
	s_mul_i32 s7, s18, 0xe8
	v_mov_b32_e32 v0, s7
	s_add_i32 s8, s7, 0xffffff18
	v_mov_b32_e32 v1, s8
	ds_read_b64 v[56:57], v0
	ds_read2_b64 v[58:61], v1 offset1:1
	global_load_dwordx4 v[62:65], v[52:53], off offset:-64
	global_load_dwordx4 v[16:19], v[52:53], off offset:-80
	;; [unrolled: 1-line block ×11, first 2 shown]
	s_mul_i32 s6, s16, 28
	s_ashr_i32 s17, s16, 31
	s_add_i32 s6, s6, s18
	s_add_i32 s12, s7, 0xfffffe30
	;; [unrolled: 1-line block ×4, first 2 shown]
	s_lshl_b64 s[8:9], s[16:17], 3
	s_lshl_b32 s6, s6, 3
	v_mov_b32_e32 v66, s12
	v_mov_b32_e32 v74, s13
	;; [unrolled: 1-line block ×4, first 2 shown]
	s_add_i32 s9, s6, 0xfffffd60
	s_add_i32 s12, s6, 0xfffffc78
	;; [unrolled: 1-line block ×5, first 2 shown]
	v_add_co_u32_e32 v52, vcc, s8, v148
	v_addc_co_u32_e32 v53, vcc, v149, v67, vcc
	v_mov_b32_e32 v67, s9
	v_mov_b32_e32 v70, s12
	;; [unrolled: 1-line block ×5, first 2 shown]
	ds_read_b64 v[90:91], v67
	ds_read2_b64 v[66:69], v66 offset1:1
	ds_read2_b64 v[70:73], v70 offset1:1
	;; [unrolled: 1-line block ×3, first 2 shown]
	ds_read_b64 v[92:93], v78
	ds_read2_b64 v[78:81], v79 offset1:1
	ds_read2_b64 v[82:85], v82 offset1:1
	;; [unrolled: 1-line block ×3, first 2 shown]
	s_add_i32 s19, s6, 0xfffffaa8
	v_mov_b32_e32 v94, s19
	s_add_i32 s8, s7, 0xfffffb78
	s_waitcnt vmcnt(14)
	v_mul_f64 v[14:15], v[14:15], s[0:1]
	s_waitcnt lgkmcnt(9)
	v_mul_f64 v[56:57], v[56:57], v[14:15]
	global_store_dwordx2 v[12:13], v[56:57], off
	s_waitcnt lgkmcnt(8)
	v_mul_f64 v[12:13], v[56:57], v[60:61]
	s_waitcnt lgkmcnt(7)
	v_mul_f64 v[14:15], v[56:57], v[90:91]
	;; [unrolled: 2-line block ×3, first 2 shown]
	s_waitcnt vmcnt(14)
	v_fma_f64 v[12:13], v[54:55], s[0:1], -v[12:13]
	s_waitcnt vmcnt(13)
	v_fma_f64 v[10:11], v[10:11], s[0:1], -v[14:15]
	v_mul_f64 v[54:55], v[58:59], v[12:13]
	ds_read2_b64 v[12:15], v94 offset1:1
	s_waitcnt lgkmcnt(4)
	v_mul_f64 v[72:73], v[56:57], v[92:93]
	v_fma_f64 v[8:9], v[8:9], s[0:1], -v[60:61]
	v_fma_f64 v[10:11], -v[54:55], v[68:69], v[10:11]
	v_mov_b32_e32 v58, s8
	ds_read2_b64 v[58:61], v58 offset1:1
	s_waitcnt lgkmcnt(2)
	v_mul_f64 v[88:89], v[56:57], v[88:89]
	s_waitcnt vmcnt(12)
	v_fma_f64 v[6:7], v[6:7], s[0:1], -v[72:73]
	v_fma_f64 v[8:9], -v[54:55], v[70:71], v[8:9]
	v_mul_f64 v[10:11], v[66:67], v[10:11]
	v_fma_f64 v[6:7], -v[54:55], v[80:81], v[6:7]
	v_fma_f64 v[8:9], -v[10:11], v[76:77], v[8:9]
	v_fma_f64 v[4:5], v[4:5], s[0:1], -v[88:89]
	v_fma_f64 v[6:7], -v[10:11], v[78:79], v[6:7]
	v_mul_f64 v[8:9], v[74:75], v[8:9]
	v_fma_f64 v[4:5], -v[54:55], v[86:87], v[4:5]
	v_fma_f64 v[6:7], -v[8:9], v[84:85], v[6:7]
	s_waitcnt lgkmcnt(1)
	v_fma_f64 v[4:5], -v[10:11], v[14:15], v[4:5]
	v_mul_f64 v[6:7], v[82:83], v[6:7]
	v_fma_f64 v[4:5], -v[8:9], v[12:13], v[4:5]
	s_add_i32 s8, s6, 0xfffff9e0
	s_waitcnt lgkmcnt(0)
	v_fma_f64 v[4:5], -v[6:7], v[60:61], v[4:5]
	v_mov_b32_e32 v12, s8
	v_mul_f64 v[4:5], v[58:59], v[4:5]
	ds_read_b64 v[58:59], v12
	s_add_i32 s8, s6, 0xfffff9d8
	v_mov_b32_e32 v12, s8
	s_add_i32 s8, s6, 0xfffff9c8
	global_store_dwordx2 v[52:53], v[54:55], off offset:-16
	global_store_dwordx4 v[52:53], v[8:11], off offset:-32
	v_mov_b32_e32 v13, s8
	ds_read_b64 v[60:61], v12
	ds_read2_b64 v[12:15], v13 offset1:1
	s_waitcnt lgkmcnt(2)
	v_mul_f64 v[58:59], v[56:57], v[58:59]
	s_waitcnt vmcnt(13)
	v_fma_f64 v[58:59], v[64:65], s[0:1], -v[58:59]
	s_add_i32 s8, s6, 0xfffff9b8
	s_waitcnt lgkmcnt(1)
	v_fma_f64 v[58:59], -v[54:55], v[60:61], v[58:59]
	s_waitcnt lgkmcnt(0)
	v_fma_f64 v[14:15], -v[10:11], v[14:15], v[58:59]
	v_mov_b32_e32 v58, s8
	ds_read2_b64 v[58:61], v58 offset1:1
	s_add_i32 s8, s7, 0xfffffa90
	v_mov_b32_e32 v64, s8
	s_add_i32 s8, s6, 0xfffff900
	v_mov_b32_e32 v66, s8
	v_fma_f64 v[12:13], -v[8:9], v[12:13], v[14:15]
	ds_read_b64 v[64:65], v64
	ds_read_b64 v[66:67], v66
	s_waitcnt lgkmcnt(2)
	v_fma_f64 v[12:13], -v[6:7], v[60:61], v[12:13]
	s_add_i32 s8, s6, 0xfffff8f0
	v_fma_f64 v[12:13], -v[4:5], v[58:59], v[12:13]
	v_mov_b32_e32 v58, s8
	ds_read2_b64 v[58:61], v58 offset1:1
	s_waitcnt lgkmcnt(2)
	v_mul_f64 v[14:15], v[64:65], v[12:13]
	s_waitcnt lgkmcnt(1)
	v_mul_f64 v[12:13], v[56:57], v[66:67]
	s_add_i32 s8, s6, 0xfffff8e0
	v_fma_f64 v[12:13], v[62:63], s[0:1], -v[12:13]
	v_mov_b32_e32 v62, s8
	ds_read2_b64 v[62:65], v62 offset1:1
	s_waitcnt lgkmcnt(1)
	v_fma_f64 v[12:13], -v[54:55], v[60:61], v[12:13]
	s_add_i32 s8, s6, 0xfffff8d0
	v_fma_f64 v[12:13], -v[10:11], v[58:59], v[12:13]
	v_mov_b32_e32 v58, s8
	ds_read2_b64 v[58:61], v58 offset1:1
	s_waitcnt lgkmcnt(1)
	v_fma_f64 v[12:13], -v[8:9], v[64:65], v[12:13]
	s_add_i32 s8, s7, 0xfffff9a8
	v_fma_f64 v[12:13], -v[6:7], v[62:63], v[12:13]
	v_mov_b32_e32 v66, s8
	s_waitcnt lgkmcnt(0)
	v_fma_f64 v[12:13], -v[4:5], v[60:61], v[12:13]
	s_add_i32 s8, s6, 0xfffff820
	v_fma_f64 v[12:13], -v[14:15], v[58:59], v[12:13]
	v_mov_b32_e32 v58, s8
	ds_read_b64 v[62:63], v58
	s_add_i32 s8, s6, 0xfffff818
	v_mov_b32_e32 v58, s8
	s_add_i32 s8, s6, 0xfffff808
	global_store_dwordx4 v[52:53], v[4:7], off offset:-48
	v_mov_b32_e32 v59, s8
	ds_read_b64 v[66:67], v66
	ds_read_b64 v[64:65], v58
	ds_read2_b64 v[58:61], v59 offset1:1
	s_waitcnt lgkmcnt(3)
	v_mul_f64 v[62:63], v[56:57], v[62:63]
	s_waitcnt vmcnt(13)
	v_fma_f64 v[18:19], v[18:19], s[0:1], -v[62:63]
	s_add_i32 s8, s6, 0xfffff7f8
	s_waitcnt lgkmcnt(1)
	v_fma_f64 v[18:19], -v[54:55], v[64:65], v[18:19]
	s_waitcnt lgkmcnt(0)
	v_fma_f64 v[18:19], -v[10:11], v[60:61], v[18:19]
	v_mul_f64 v[12:13], v[66:67], v[12:13]
	v_fma_f64 v[18:19], -v[8:9], v[58:59], v[18:19]
	v_mov_b32_e32 v58, s8
	s_add_i32 s8, s6, 0xfffff7e8
	global_store_dwordx4 v[52:53], v[12:15], off offset:-64
	v_mov_b32_e32 v62, s8
	ds_read2_b64 v[58:61], v58 offset1:1
	ds_read2_b64 v[62:65], v62 offset1:1
	s_add_i32 s8, s7, 0xfffff8c0
	v_mov_b32_e32 v66, s8
	ds_read_b64 v[66:67], v66
	s_waitcnt lgkmcnt(2)
	v_fma_f64 v[18:19], -v[6:7], v[60:61], v[18:19]
	v_fma_f64 v[18:19], -v[4:5], v[58:59], v[18:19]
	s_waitcnt lgkmcnt(1)
	v_fma_f64 v[18:19], -v[14:15], v[64:65], v[18:19]
	s_add_i32 s8, s6, 0xfffff740
	v_fma_f64 v[18:19], -v[12:13], v[62:63], v[18:19]
	v_mov_b32_e32 v58, s8
	s_waitcnt lgkmcnt(0)
	v_mul_f64 v[18:19], v[66:67], v[18:19]
	ds_read_b64 v[66:67], v58
	s_add_i32 s8, s6, 0xfffff730
	v_mov_b32_e32 v58, s8
	ds_read2_b64 v[58:61], v58 offset1:1
	s_add_i32 s8, s6, 0xfffff720
	s_waitcnt lgkmcnt(1)
	v_mul_f64 v[66:67], v[56:57], v[66:67]
	v_mov_b32_e32 v62, s8
	ds_read2_b64 v[62:65], v62 offset1:1
	v_fma_f64 v[16:17], v[16:17], s[0:1], -v[66:67]
	s_waitcnt lgkmcnt(1)
	v_fma_f64 v[16:17], -v[54:55], v[60:61], v[16:17]
	s_add_i32 s8, s6, 0xfffff710
	v_fma_f64 v[16:17], -v[10:11], v[58:59], v[16:17]
	v_mov_b32_e32 v58, s8
	ds_read2_b64 v[58:61], v58 offset1:1
	s_waitcnt lgkmcnt(1)
	v_fma_f64 v[16:17], -v[8:9], v[64:65], v[16:17]
	s_add_i32 s8, s6, 0xfffff700
	v_fma_f64 v[16:17], -v[6:7], v[62:63], v[16:17]
	v_mov_b32_e32 v62, s8
	ds_read2_b64 v[62:65], v62 offset1:1
	s_waitcnt lgkmcnt(1)
	v_fma_f64 v[16:17], -v[4:5], v[60:61], v[16:17]
	s_addk_i32 s7, 0xf7d8
	v_fma_f64 v[16:17], -v[14:15], v[58:59], v[16:17]
	v_mov_b32_e32 v58, s7
	s_add_i32 s7, s6, 0xfffff660
	v_mov_b32_e32 v60, s7
	ds_read_b64 v[58:59], v58
	ds_read_b64 v[60:61], v60
	s_waitcnt lgkmcnt(2)
	v_fma_f64 v[16:17], -v[12:13], v[64:65], v[16:17]
	v_fma_f64 v[16:17], -v[18:19], v[62:63], v[16:17]
	s_add_i32 s7, s6, 0xfffff658
	s_waitcnt lgkmcnt(1)
	v_mul_f64 v[16:17], v[58:59], v[16:17]
	s_waitcnt lgkmcnt(0)
	v_mul_f64 v[58:59], v[56:57], v[60:61]
	v_mov_b32_e32 v60, s7
	ds_read_b64 v[62:63], v60
	s_add_i32 s7, s6, 0xfffff648
	s_waitcnt vmcnt(13)
	v_fma_f64 v[22:23], v[22:23], s[0:1], -v[58:59]
	v_mov_b32_e32 v58, s7
	ds_read2_b64 v[58:61], v58 offset1:1
	s_add_i32 s7, s6, 0xfffff638
	s_waitcnt lgkmcnt(1)
	v_fma_f64 v[22:23], -v[54:55], v[62:63], v[22:23]
	v_mov_b32_e32 v62, s7
	ds_read2_b64 v[62:65], v62 offset1:1
	s_add_i32 s7, s6, 0xfffff628
	v_mov_b32_e32 v66, s7
	ds_read2_b64 v[66:69], v66 offset1:1
	s_waitcnt lgkmcnt(2)
	v_fma_f64 v[22:23], -v[10:11], v[60:61], v[22:23]
	s_add_i32 s7, s6, 0xfffff618
	v_fma_f64 v[22:23], -v[8:9], v[58:59], v[22:23]
	v_mov_b32_e32 v58, s7
	ds_read2_b64 v[58:61], v58 offset1:1
	s_mul_i32 s7, s16, 0xe8
	s_waitcnt lgkmcnt(2)
	v_fma_f64 v[22:23], -v[6:7], v[64:65], v[22:23]
	s_add_i32 s8, s7, 0xfffff608
	v_fma_f64 v[22:23], -v[4:5], v[62:63], v[22:23]
	v_mov_b32_e32 v62, s8
	s_add_i32 s8, s6, 0xfffff578
	global_store_dwordx4 v[52:53], v[16:19], off offset:-80
	v_mov_b32_e32 v63, s8
	s_waitcnt lgkmcnt(1)
	v_fma_f64 v[22:23], -v[14:15], v[68:69], v[22:23]
	ds_read_b64 v[68:69], v62
	ds_read2_b64 v[62:65], v63 offset1:1
	v_fma_f64 v[22:23], -v[12:13], v[66:67], v[22:23]
	s_waitcnt lgkmcnt(2)
	v_fma_f64 v[22:23], -v[18:19], v[60:61], v[22:23]
	v_fma_f64 v[22:23], -v[16:17], v[58:59], v[22:23]
	s_add_i32 s8, s6, 0xfffff568
	s_waitcnt lgkmcnt(0)
	v_mul_f64 v[58:59], v[56:57], v[64:65]
	v_fma_f64 v[20:21], v[20:21], s[0:1], -v[58:59]
	v_mov_b32_e32 v58, s8
	ds_read2_b64 v[58:61], v58 offset1:1
	s_add_i32 s8, s6, 0xfffff558
	v_fma_f64 v[20:21], -v[54:55], v[62:63], v[20:21]
	v_mov_b32_e32 v62, s8
	ds_read2_b64 v[62:65], v62 offset1:1
	s_waitcnt lgkmcnt(1)
	v_fma_f64 v[20:21], -v[10:11], v[60:61], v[20:21]
	s_add_i32 s8, s6, 0xfffff548
	v_fma_f64 v[20:21], -v[8:9], v[58:59], v[20:21]
	v_mov_b32_e32 v58, s8
	ds_read2_b64 v[58:61], v58 offset1:1
	s_add_i32 s8, s6, 0xfffff538
	s_waitcnt lgkmcnt(1)
	v_fma_f64 v[20:21], -v[6:7], v[64:65], v[20:21]
	v_mov_b32_e32 v66, s8
	v_fma_f64 v[20:21], -v[4:5], v[62:63], v[20:21]
	v_mul_f64 v[22:23], v[68:69], v[22:23]
	ds_read2_b64 v[66:69], v66 offset1:1
	s_waitcnt lgkmcnt(1)
	v_fma_f64 v[20:21], -v[14:15], v[60:61], v[20:21]
	s_add_i32 s8, s7, 0xfffff520
	v_fma_f64 v[20:21], -v[12:13], v[58:59], v[20:21]
	v_mov_b32_e32 v58, s8
	ds_read2_b64 v[58:61], v58 offset1:1
	s_waitcnt lgkmcnt(1)
	v_fma_f64 v[20:21], -v[18:19], v[68:69], v[20:21]
	s_add_i32 s8, s6, 0xfffff4a0
	v_fma_f64 v[20:21], -v[16:17], v[66:67], v[20:21]
	v_mov_b32_e32 v62, s8
	ds_read_b64 v[66:67], v62
	s_waitcnt lgkmcnt(1)
	v_fma_f64 v[20:21], -v[22:23], v[60:61], v[20:21]
	s_add_i32 s8, s6, 0xfffff490
	v_mul_f64 v[20:21], v[58:59], v[20:21]
	v_mov_b32_e32 v58, s8
	ds_read2_b64 v[58:61], v58 offset1:1
	s_add_i32 s8, s6, 0xfffff480
	s_waitcnt lgkmcnt(1)
	v_mul_f64 v[66:67], v[56:57], v[66:67]
	v_mov_b32_e32 v62, s8
	ds_read2_b64 v[62:65], v62 offset1:1
	s_waitcnt vmcnt(13)
	v_fma_f64 v[30:31], v[30:31], s[0:1], -v[66:67]
	s_waitcnt lgkmcnt(1)
	v_fma_f64 v[30:31], -v[54:55], v[60:61], v[30:31]
	s_add_i32 s8, s6, 0xfffff470
	v_fma_f64 v[30:31], -v[10:11], v[58:59], v[30:31]
	v_mov_b32_e32 v58, s8
	ds_read2_b64 v[58:61], v58 offset1:1
	s_waitcnt lgkmcnt(1)
	v_fma_f64 v[30:31], -v[8:9], v[64:65], v[30:31]
	s_add_i32 s8, s6, 0xfffff460
	v_fma_f64 v[30:31], -v[6:7], v[62:63], v[30:31]
	v_mov_b32_e32 v62, s8
	ds_read2_b64 v[62:65], v62 offset1:1
	;; [unrolled: 6-line block ×3, first 2 shown]
	s_add_i32 s8, s7, 0xfffff438
	s_waitcnt lgkmcnt(1)
	v_fma_f64 v[30:31], -v[12:13], v[64:65], v[30:31]
	v_mov_b32_e32 v66, s8
	ds_read2_b64 v[66:69], v66 offset1:1
	v_fma_f64 v[30:31], -v[18:19], v[62:63], v[30:31]
	s_waitcnt lgkmcnt(1)
	v_fma_f64 v[30:31], -v[16:17], v[60:61], v[30:31]
	s_add_i32 s8, s6, 0xfffff3b8
	v_fma_f64 v[30:31], -v[22:23], v[58:59], v[30:31]
	v_mov_b32_e32 v58, s8
	ds_read2_b64 v[58:61], v58 offset1:1
	s_add_i32 s8, s6, 0xfffff3a8
	v_mov_b32_e32 v62, s8
	ds_read2_b64 v[62:65], v62 offset1:1
	s_add_i32 s8, s6, 0xfffff398
	s_waitcnt lgkmcnt(1)
	v_mul_f64 v[60:61], v[56:57], v[60:61]
	v_fma_f64 v[28:29], v[28:29], s[0:1], -v[60:61]
	v_fma_f64 v[28:29], -v[54:55], v[58:59], v[28:29]
	v_mov_b32_e32 v58, s8
	ds_read2_b64 v[58:61], v58 offset1:1
	s_waitcnt lgkmcnt(1)
	v_fma_f64 v[28:29], -v[10:11], v[64:65], v[28:29]
	s_add_i32 s8, s6, 0xfffff388
	v_fma_f64 v[28:29], -v[8:9], v[62:63], v[28:29]
	v_mov_b32_e32 v62, s8
	ds_read2_b64 v[62:65], v62 offset1:1
	s_waitcnt lgkmcnt(1)
	v_fma_f64 v[28:29], -v[6:7], v[60:61], v[28:29]
	s_add_i32 s8, s6, 0xfffff378
	v_fma_f64 v[28:29], -v[4:5], v[58:59], v[28:29]
	v_mov_b32_e32 v58, s8
	ds_read2_b64 v[58:61], v58 offset1:1
	v_fma_f64 v[30:31], -v[20:21], v[68:69], v[30:31]
	s_add_i32 s8, s6, 0xfffff368
	s_waitcnt lgkmcnt(1)
	v_fma_f64 v[28:29], -v[14:15], v[64:65], v[28:29]
	v_mul_f64 v[30:31], v[66:67], v[30:31]
	v_mov_b32_e32 v66, s8
	ds_read2_b64 v[66:69], v66 offset1:1
	v_fma_f64 v[28:29], -v[12:13], v[62:63], v[28:29]
	s_waitcnt lgkmcnt(1)
	v_fma_f64 v[28:29], -v[18:19], v[60:61], v[28:29]
	s_add_i32 s8, s7, 0xfffff350
	v_fma_f64 v[28:29], -v[16:17], v[58:59], v[28:29]
	v_mov_b32_e32 v58, s8
	ds_read2_b64 v[58:61], v58 offset1:1
	s_waitcnt lgkmcnt(1)
	v_fma_f64 v[28:29], -v[22:23], v[68:69], v[28:29]
	s_add_i32 s8, s6, 0xfffff2e0
	v_mov_b32_e32 v62, s8
	ds_read_b64 v[62:63], v62
	v_fma_f64 v[28:29], -v[20:21], v[66:67], v[28:29]
	s_waitcnt lgkmcnt(1)
	v_fma_f64 v[28:29], -v[30:31], v[60:61], v[28:29]
	s_add_i32 s8, s6, 0xfffff2d0
	v_mul_f64 v[28:29], v[58:59], v[28:29]
	v_mov_b32_e32 v58, s8
	ds_read2_b64 v[58:61], v58 offset1:1
	s_waitcnt lgkmcnt(1)
	v_mul_f64 v[62:63], v[56:57], v[62:63]
	s_add_i32 s8, s6, 0xfffff2c0
	s_waitcnt vmcnt(12)
	v_fma_f64 v[34:35], v[34:35], s[0:1], -v[62:63]
	v_mov_b32_e32 v62, s8
	ds_read2_b64 v[62:65], v62 offset1:1
	s_waitcnt lgkmcnt(1)
	v_fma_f64 v[34:35], -v[54:55], v[60:61], v[34:35]
	s_add_i32 s8, s6, 0xfffff2b0
	v_fma_f64 v[34:35], -v[10:11], v[58:59], v[34:35]
	v_mov_b32_e32 v58, s8
	ds_read2_b64 v[58:61], v58 offset1:1
	s_add_i32 s8, s6, 0xfffff2a0
	s_waitcnt lgkmcnt(1)
	v_fma_f64 v[34:35], -v[8:9], v[64:65], v[34:35]
	v_mov_b32_e32 v66, s8
	ds_read2_b64 v[66:69], v66 offset1:1
	v_fma_f64 v[34:35], -v[6:7], v[62:63], v[34:35]
	s_waitcnt lgkmcnt(1)
	v_fma_f64 v[34:35], -v[4:5], v[60:61], v[34:35]
	s_add_i32 s8, s6, 0xfffff290
	v_fma_f64 v[34:35], -v[14:15], v[58:59], v[34:35]
	v_mov_b32_e32 v58, s8
	ds_read2_b64 v[58:61], v58 offset1:1
	s_waitcnt lgkmcnt(1)
	v_fma_f64 v[34:35], -v[12:13], v[68:69], v[34:35]
	s_add_i32 s8, s6, 0xfffff280
	v_fma_f64 v[34:35], -v[18:19], v[66:67], v[34:35]
	v_mov_b32_e32 v62, s8
	ds_read2_b64 v[62:65], v62 offset1:1
	;; [unrolled: 6-line block ×3, first 2 shown]
	s_add_i32 s8, s6, 0xfffff1f8
	v_mov_b32_e32 v66, s8
	ds_read2_b64 v[66:69], v66 offset1:1
	s_waitcnt lgkmcnt(2)
	v_fma_f64 v[34:35], -v[20:21], v[64:65], v[34:35]
	v_fma_f64 v[34:35], -v[30:31], v[62:63], v[34:35]
	s_waitcnt lgkmcnt(1)
	v_fma_f64 v[34:35], -v[28:29], v[60:61], v[34:35]
	s_add_i32 s8, s6, 0xfffff1e8
	v_mul_f64 v[34:35], v[58:59], v[34:35]
	v_mov_b32_e32 v58, s8
	ds_read2_b64 v[58:61], v58 offset1:1
	s_waitcnt lgkmcnt(1)
	v_mul_f64 v[68:69], v[56:57], v[68:69]
	s_add_i32 s8, s6, 0xfffff1d8
	v_fma_f64 v[32:33], v[32:33], s[0:1], -v[68:69]
	v_mov_b32_e32 v62, s8
	ds_read2_b64 v[62:65], v62 offset1:1
	v_fma_f64 v[32:33], -v[54:55], v[66:67], v[32:33]
	s_waitcnt lgkmcnt(1)
	v_fma_f64 v[32:33], -v[10:11], v[60:61], v[32:33]
	s_add_i32 s8, s6, 0xfffff1c8
	v_fma_f64 v[32:33], -v[8:9], v[58:59], v[32:33]
	v_mov_b32_e32 v58, s8
	ds_read2_b64 v[58:61], v58 offset1:1
	s_waitcnt lgkmcnt(1)
	v_fma_f64 v[32:33], -v[6:7], v[64:65], v[32:33]
	s_add_i32 s8, s6, 0xfffff1b8
	v_fma_f64 v[32:33], -v[4:5], v[62:63], v[32:33]
	v_mov_b32_e32 v62, s8
	ds_read2_b64 v[62:65], v62 offset1:1
	;; [unrolled: 6-line block ×3, first 2 shown]
	s_add_i32 s8, s6, 0xfffff198
	s_waitcnt lgkmcnt(1)
	v_fma_f64 v[32:33], -v[18:19], v[64:65], v[32:33]
	v_mov_b32_e32 v66, s8
	ds_read2_b64 v[66:69], v66 offset1:1
	v_fma_f64 v[32:33], -v[16:17], v[62:63], v[32:33]
	s_waitcnt lgkmcnt(1)
	v_fma_f64 v[32:33], -v[22:23], v[60:61], v[32:33]
	s_add_i32 s8, s7, 0xfffff180
	v_fma_f64 v[32:33], -v[20:21], v[58:59], v[32:33]
	v_mov_b32_e32 v58, s8
	ds_read2_b64 v[58:61], v58 offset1:1
	s_waitcnt lgkmcnt(1)
	v_fma_f64 v[32:33], -v[30:31], v[68:69], v[32:33]
	s_add_i32 s8, s6, 0xfffff120
	v_mov_b32_e32 v62, s8
	ds_read_b64 v[62:63], v62
	v_fma_f64 v[32:33], -v[28:29], v[66:67], v[32:33]
	s_waitcnt lgkmcnt(1)
	v_fma_f64 v[32:33], -v[34:35], v[60:61], v[32:33]
	s_add_i32 s8, s6, 0xfffff110
	v_mul_f64 v[32:33], v[58:59], v[32:33]
	v_mov_b32_e32 v58, s8
	ds_read2_b64 v[58:61], v58 offset1:1
	s_waitcnt lgkmcnt(1)
	v_mul_f64 v[62:63], v[56:57], v[62:63]
	s_add_i32 s8, s6, 0xfffff100
	s_waitcnt vmcnt(11)
	v_fma_f64 v[42:43], v[42:43], s[0:1], -v[62:63]
	v_mov_b32_e32 v62, s8
	ds_read2_b64 v[62:65], v62 offset1:1
	s_waitcnt lgkmcnt(1)
	v_fma_f64 v[42:43], -v[54:55], v[60:61], v[42:43]
	s_add_i32 s8, s6, 0xfffff0f0
	v_fma_f64 v[42:43], -v[10:11], v[58:59], v[42:43]
	v_mov_b32_e32 v58, s8
	ds_read2_b64 v[58:61], v58 offset1:1
	s_add_i32 s8, s6, 0xfffff0e0
	s_waitcnt lgkmcnt(1)
	v_fma_f64 v[42:43], -v[8:9], v[64:65], v[42:43]
	v_mov_b32_e32 v66, s8
	ds_read2_b64 v[66:69], v66 offset1:1
	v_fma_f64 v[42:43], -v[6:7], v[62:63], v[42:43]
	s_waitcnt lgkmcnt(1)
	v_fma_f64 v[42:43], -v[4:5], v[60:61], v[42:43]
	s_add_i32 s8, s6, 0xfffff0d0
	v_fma_f64 v[42:43], -v[14:15], v[58:59], v[42:43]
	v_mov_b32_e32 v58, s8
	ds_read2_b64 v[58:61], v58 offset1:1
	s_waitcnt lgkmcnt(1)
	v_fma_f64 v[42:43], -v[12:13], v[68:69], v[42:43]
	s_add_i32 s8, s6, 0xfffff0c0
	v_fma_f64 v[42:43], -v[18:19], v[66:67], v[42:43]
	v_mov_b32_e32 v62, s8
	ds_read2_b64 v[62:65], v62 offset1:1
	;; [unrolled: 6-line block ×3, first 2 shown]
	s_add_i32 s8, s7, 0xfffff098
	s_waitcnt lgkmcnt(1)
	v_fma_f64 v[42:43], -v[20:21], v[64:65], v[42:43]
	v_mov_b32_e32 v66, s8
	ds_read2_b64 v[66:69], v66 offset1:1
	v_fma_f64 v[42:43], -v[30:31], v[62:63], v[42:43]
	s_waitcnt lgkmcnt(1)
	v_fma_f64 v[42:43], -v[28:29], v[60:61], v[42:43]
	s_add_i32 s8, s6, 0xfffff038
	v_fma_f64 v[42:43], -v[34:35], v[58:59], v[42:43]
	v_mov_b32_e32 v58, s8
	ds_read2_b64 v[58:61], v58 offset1:1
	s_add_i32 s8, s6, 0xfffff028
	v_mov_b32_e32 v62, s8
	ds_read2_b64 v[62:65], v62 offset1:1
	s_add_i32 s8, s6, 0xfffff018
	s_waitcnt lgkmcnt(1)
	v_mul_f64 v[60:61], v[56:57], v[60:61]
	v_fma_f64 v[40:41], v[40:41], s[0:1], -v[60:61]
	v_fma_f64 v[40:41], -v[54:55], v[58:59], v[40:41]
	v_mov_b32_e32 v58, s8
	ds_read2_b64 v[58:61], v58 offset1:1
	v_fma_f64 v[42:43], -v[32:33], v[68:69], v[42:43]
	s_add_i32 s8, s6, 0xfffff008
	s_waitcnt lgkmcnt(1)
	v_fma_f64 v[40:41], -v[10:11], v[64:65], v[40:41]
	v_mul_f64 v[42:43], v[66:67], v[42:43]
	v_mov_b32_e32 v66, s8
	ds_read2_b64 v[66:69], v66 offset1:1
	v_fma_f64 v[40:41], -v[8:9], v[62:63], v[40:41]
	s_waitcnt lgkmcnt(1)
	v_fma_f64 v[40:41], -v[6:7], v[60:61], v[40:41]
	s_add_i32 s8, s6, 0xffffeff8
	v_fma_f64 v[40:41], -v[4:5], v[58:59], v[40:41]
	v_mov_b32_e32 v58, s8
	ds_read2_b64 v[58:61], v58 offset1:1
	s_waitcnt lgkmcnt(1)
	v_fma_f64 v[40:41], -v[14:15], v[68:69], v[40:41]
	s_add_i32 s8, s6, 0xffffefe8
	v_fma_f64 v[40:41], -v[12:13], v[66:67], v[40:41]
	v_mov_b32_e32 v62, s8
	ds_read2_b64 v[62:65], v62 offset1:1
	;; [unrolled: 6-line block ×3, first 2 shown]
	s_add_i32 s8, s6, 0xffffefc8
	s_waitcnt lgkmcnt(1)
	v_fma_f64 v[40:41], -v[22:23], v[64:65], v[40:41]
	v_mov_b32_e32 v66, s8
	ds_read2_b64 v[66:69], v66 offset1:1
	v_fma_f64 v[40:41], -v[20:21], v[62:63], v[40:41]
	s_waitcnt lgkmcnt(1)
	v_fma_f64 v[40:41], -v[30:31], v[60:61], v[40:41]
	s_add_i32 s8, s7, 0xffffefb0
	v_fma_f64 v[40:41], -v[28:29], v[58:59], v[40:41]
	v_mov_b32_e32 v58, s8
	ds_read2_b64 v[58:61], v58 offset1:1
	s_waitcnt lgkmcnt(1)
	v_fma_f64 v[40:41], -v[34:35], v[68:69], v[40:41]
	s_add_i32 s8, s6, 0xffffef60
	v_fma_f64 v[40:41], -v[32:33], v[66:67], v[40:41]
	v_mov_b32_e32 v62, s8
	ds_read_b64 v[66:67], v62
	s_waitcnt lgkmcnt(1)
	v_fma_f64 v[40:41], -v[42:43], v[60:61], v[40:41]
	s_add_i32 s8, s6, 0xffffef50
	v_mul_f64 v[40:41], v[58:59], v[40:41]
	v_mov_b32_e32 v58, s8
	ds_read2_b64 v[58:61], v58 offset1:1
	s_add_i32 s8, s6, 0xffffef40
	s_waitcnt lgkmcnt(1)
	v_mul_f64 v[66:67], v[56:57], v[66:67]
	v_mov_b32_e32 v62, s8
	ds_read2_b64 v[62:65], v62 offset1:1
	s_waitcnt vmcnt(10)
	v_fma_f64 v[50:51], v[50:51], s[0:1], -v[66:67]
	s_waitcnt lgkmcnt(1)
	v_fma_f64 v[50:51], -v[54:55], v[60:61], v[50:51]
	s_add_i32 s8, s6, 0xffffef30
	v_fma_f64 v[50:51], -v[10:11], v[58:59], v[50:51]
	v_mov_b32_e32 v58, s8
	ds_read2_b64 v[58:61], v58 offset1:1
	s_waitcnt lgkmcnt(1)
	v_fma_f64 v[50:51], -v[8:9], v[64:65], v[50:51]
	s_add_i32 s8, s6, 0xffffef20
	v_fma_f64 v[50:51], -v[6:7], v[62:63], v[50:51]
	v_mov_b32_e32 v62, s8
	ds_read2_b64 v[62:65], v62 offset1:1
	;; [unrolled: 6-line block ×3, first 2 shown]
	s_add_i32 s8, s6, 0xffffef00
	s_waitcnt lgkmcnt(1)
	v_fma_f64 v[50:51], -v[12:13], v[64:65], v[50:51]
	v_mov_b32_e32 v66, s8
	ds_read2_b64 v[66:69], v66 offset1:1
	v_fma_f64 v[50:51], -v[18:19], v[62:63], v[50:51]
	s_waitcnt lgkmcnt(1)
	v_fma_f64 v[50:51], -v[16:17], v[60:61], v[50:51]
	s_add_i32 s8, s6, 0xffffeef0
	v_fma_f64 v[50:51], -v[22:23], v[58:59], v[50:51]
	v_mov_b32_e32 v58, s8
	ds_read2_b64 v[58:61], v58 offset1:1
	s_waitcnt lgkmcnt(1)
	v_fma_f64 v[50:51], -v[20:21], v[68:69], v[50:51]
	s_add_i32 s8, s6, 0xffffeee0
	v_fma_f64 v[50:51], -v[30:31], v[66:67], v[50:51]
	v_mov_b32_e32 v62, s8
	ds_read2_b64 v[62:65], v62 offset1:1
	s_waitcnt lgkmcnt(1)
	v_fma_f64 v[50:51], -v[28:29], v[60:61], v[50:51]
	s_add_i32 s8, s7, 0xffffeec8
	v_fma_f64 v[50:51], -v[34:35], v[58:59], v[50:51]
	v_mov_b32_e32 v58, s8
	s_add_i32 s8, s6, 0xffffee78
	ds_read2_b64 v[58:61], v58 offset1:1
	v_mov_b32_e32 v66, s8
	ds_read2_b64 v[66:69], v66 offset1:1
	s_waitcnt lgkmcnt(2)
	v_fma_f64 v[50:51], -v[32:33], v[64:65], v[50:51]
	v_fma_f64 v[50:51], -v[42:43], v[62:63], v[50:51]
	s_waitcnt lgkmcnt(1)
	v_fma_f64 v[50:51], -v[40:41], v[60:61], v[50:51]
	v_mul_f64 v[50:51], v[58:59], v[50:51]
	s_waitcnt lgkmcnt(0)
	v_mul_f64 v[58:59], v[56:57], v[68:69]
	s_add_i32 s8, s6, 0xffffee68
	v_fma_f64 v[48:49], v[48:49], s[0:1], -v[58:59]
	v_mov_b32_e32 v58, s8
	ds_read2_b64 v[58:61], v58 offset1:1
	s_add_i32 s8, s6, 0xffffee58
	v_fma_f64 v[48:49], -v[54:55], v[66:67], v[48:49]
	v_mov_b32_e32 v62, s8
	ds_read2_b64 v[62:65], v62 offset1:1
	s_waitcnt lgkmcnt(1)
	v_fma_f64 v[48:49], -v[10:11], v[60:61], v[48:49]
	s_add_i32 s8, s6, 0xffffee48
	v_fma_f64 v[48:49], -v[8:9], v[58:59], v[48:49]
	v_mov_b32_e32 v58, s8
	ds_read2_b64 v[58:61], v58 offset1:1
	s_add_i32 s8, s6, 0xffffee38
	s_waitcnt lgkmcnt(1)
	v_fma_f64 v[48:49], -v[6:7], v[64:65], v[48:49]
	v_mov_b32_e32 v66, s8
	ds_read2_b64 v[66:69], v66 offset1:1
	v_fma_f64 v[48:49], -v[4:5], v[62:63], v[48:49]
	s_waitcnt lgkmcnt(1)
	v_fma_f64 v[48:49], -v[14:15], v[60:61], v[48:49]
	s_add_i32 s8, s6, 0xffffee28
	v_fma_f64 v[48:49], -v[12:13], v[58:59], v[48:49]
	v_mov_b32_e32 v58, s8
	ds_read2_b64 v[58:61], v58 offset1:1
	s_waitcnt lgkmcnt(1)
	v_fma_f64 v[48:49], -v[18:19], v[68:69], v[48:49]
	s_add_i32 s8, s6, 0xffffee18
	v_fma_f64 v[48:49], -v[16:17], v[66:67], v[48:49]
	v_mov_b32_e32 v62, s8
	ds_read2_b64 v[62:65], v62 offset1:1
	s_waitcnt lgkmcnt(1)
	v_fma_f64 v[48:49], -v[22:23], v[60:61], v[48:49]
	s_add_i32 s8, s6, 0xffffee08
	v_fma_f64 v[48:49], -v[20:21], v[58:59], v[48:49]
	v_mov_b32_e32 v58, s8
	ds_read2_b64 v[58:61], v58 offset1:1
	s_add_i32 s8, s6, 0xffffedf8
	s_waitcnt lgkmcnt(1)
	v_fma_f64 v[48:49], -v[30:31], v[64:65], v[48:49]
	v_mov_b32_e32 v66, s8
	ds_read2_b64 v[66:69], v66 offset1:1
	v_fma_f64 v[48:49], -v[28:29], v[62:63], v[48:49]
	s_waitcnt lgkmcnt(1)
	v_fma_f64 v[48:49], -v[34:35], v[60:61], v[48:49]
	s_add_i32 s8, s7, 0xffffede0
	v_fma_f64 v[48:49], -v[32:33], v[58:59], v[48:49]
	v_mov_b32_e32 v58, s8
	ds_read2_b64 v[58:61], v58 offset1:1
	s_waitcnt lgkmcnt(1)
	v_fma_f64 v[48:49], -v[42:43], v[68:69], v[48:49]
	s_add_i32 s8, s6, 0xffffeda0
	v_fma_f64 v[48:49], -v[40:41], v[66:67], v[48:49]
	v_mov_b32_e32 v62, s8
	ds_read_b64 v[66:67], v62
	s_waitcnt lgkmcnt(1)
	v_fma_f64 v[48:49], -v[50:51], v[60:61], v[48:49]
	s_add_i32 s8, s6, 0xffffed90
	v_mul_f64 v[48:49], v[58:59], v[48:49]
	v_mov_b32_e32 v58, s8
	ds_read2_b64 v[58:61], v58 offset1:1
	s_add_i32 s8, s6, 0xffffed80
	s_waitcnt lgkmcnt(1)
	v_mul_f64 v[66:67], v[56:57], v[66:67]
	v_mov_b32_e32 v62, s8
	ds_read2_b64 v[62:65], v62 offset1:1
	s_waitcnt vmcnt(9)
	v_fma_f64 v[46:47], v[46:47], s[0:1], -v[66:67]
	s_waitcnt lgkmcnt(1)
	v_fma_f64 v[46:47], -v[54:55], v[60:61], v[46:47]
	s_add_i32 s8, s6, 0xffffed70
	v_fma_f64 v[46:47], -v[10:11], v[58:59], v[46:47]
	v_mov_b32_e32 v58, s8
	ds_read2_b64 v[58:61], v58 offset1:1
	s_waitcnt lgkmcnt(1)
	v_fma_f64 v[46:47], -v[8:9], v[64:65], v[46:47]
	s_add_i32 s8, s6, 0xffffed60
	v_fma_f64 v[46:47], -v[6:7], v[62:63], v[46:47]
	v_mov_b32_e32 v62, s8
	ds_read2_b64 v[62:65], v62 offset1:1
	;; [unrolled: 6-line block ×3, first 2 shown]
	s_add_i32 s8, s6, 0xffffed40
	s_waitcnt lgkmcnt(1)
	v_fma_f64 v[46:47], -v[12:13], v[64:65], v[46:47]
	v_mov_b32_e32 v66, s8
	ds_read2_b64 v[66:69], v66 offset1:1
	v_fma_f64 v[46:47], -v[18:19], v[62:63], v[46:47]
	s_waitcnt lgkmcnt(1)
	v_fma_f64 v[46:47], -v[16:17], v[60:61], v[46:47]
	s_add_i32 s8, s6, 0xffffed30
	v_fma_f64 v[46:47], -v[22:23], v[58:59], v[46:47]
	v_mov_b32_e32 v58, s8
	ds_read2_b64 v[58:61], v58 offset1:1
	s_waitcnt lgkmcnt(1)
	v_fma_f64 v[46:47], -v[20:21], v[68:69], v[46:47]
	s_add_i32 s8, s6, 0xffffed20
	v_fma_f64 v[46:47], -v[30:31], v[66:67], v[46:47]
	v_mov_b32_e32 v62, s8
	ds_read2_b64 v[62:65], v62 offset1:1
	;; [unrolled: 6-line block ×3, first 2 shown]
	s_add_i32 s8, s7, 0xffffecf8
	s_waitcnt lgkmcnt(1)
	v_fma_f64 v[46:47], -v[32:33], v[64:65], v[46:47]
	v_mov_b32_e32 v66, s8
	ds_read2_b64 v[66:69], v66 offset1:1
	v_fma_f64 v[46:47], -v[42:43], v[62:63], v[46:47]
	s_waitcnt lgkmcnt(1)
	v_fma_f64 v[46:47], -v[40:41], v[60:61], v[46:47]
	s_add_i32 s8, s6, 0xffffecb8
	v_fma_f64 v[46:47], -v[50:51], v[58:59], v[46:47]
	v_mov_b32_e32 v58, s8
	ds_read2_b64 v[58:61], v58 offset1:1
	s_add_i32 s8, s6, 0xffffeca8
	v_mov_b32_e32 v62, s8
	ds_read2_b64 v[62:65], v62 offset1:1
	s_add_i32 s8, s6, 0xffffec98
	s_waitcnt lgkmcnt(1)
	v_mul_f64 v[60:61], v[56:57], v[60:61]
	v_fma_f64 v[44:45], v[44:45], s[0:1], -v[60:61]
	v_fma_f64 v[44:45], -v[54:55], v[58:59], v[44:45]
	v_mov_b32_e32 v58, s8
	ds_read2_b64 v[58:61], v58 offset1:1
	s_waitcnt lgkmcnt(1)
	v_fma_f64 v[44:45], -v[10:11], v[64:65], v[44:45]
	s_add_i32 s8, s6, 0xffffec88
	v_fma_f64 v[44:45], -v[8:9], v[62:63], v[44:45]
	v_mov_b32_e32 v62, s8
	ds_read2_b64 v[62:65], v62 offset1:1
	s_waitcnt lgkmcnt(1)
	v_fma_f64 v[44:45], -v[6:7], v[60:61], v[44:45]
	s_add_i32 s8, s6, 0xffffec78
	v_fma_f64 v[44:45], -v[4:5], v[58:59], v[44:45]
	v_mov_b32_e32 v58, s8
	ds_read2_b64 v[58:61], v58 offset1:1
	v_fma_f64 v[46:47], -v[48:49], v[68:69], v[46:47]
	s_add_i32 s8, s6, 0xffffec68
	s_waitcnt lgkmcnt(1)
	v_fma_f64 v[44:45], -v[14:15], v[64:65], v[44:45]
	v_mul_f64 v[46:47], v[66:67], v[46:47]
	v_mov_b32_e32 v66, s8
	ds_read2_b64 v[66:69], v66 offset1:1
	v_fma_f64 v[44:45], -v[12:13], v[62:63], v[44:45]
	s_waitcnt lgkmcnt(1)
	v_fma_f64 v[44:45], -v[18:19], v[60:61], v[44:45]
	s_add_i32 s8, s6, 0xffffec58
	v_fma_f64 v[44:45], -v[16:17], v[58:59], v[44:45]
	v_mov_b32_e32 v58, s8
	ds_read2_b64 v[58:61], v58 offset1:1
	s_waitcnt lgkmcnt(1)
	v_fma_f64 v[44:45], -v[22:23], v[68:69], v[44:45]
	s_add_i32 s8, s6, 0xffffec48
	v_fma_f64 v[44:45], -v[20:21], v[66:67], v[44:45]
	v_mov_b32_e32 v62, s8
	ds_read2_b64 v[62:65], v62 offset1:1
	;; [unrolled: 6-line block ×3, first 2 shown]
	s_add_i32 s8, s6, 0xffffec28
	s_waitcnt lgkmcnt(1)
	v_fma_f64 v[44:45], -v[34:35], v[64:65], v[44:45]
	v_mov_b32_e32 v66, s8
	ds_read2_b64 v[66:69], v66 offset1:1
	v_fma_f64 v[44:45], -v[32:33], v[62:63], v[44:45]
	s_waitcnt lgkmcnt(1)
	v_fma_f64 v[44:45], -v[42:43], v[60:61], v[44:45]
	s_add_i32 s8, s7, 0xffffec10
	v_fma_f64 v[44:45], -v[40:41], v[58:59], v[44:45]
	v_mov_b32_e32 v58, s8
	ds_read2_b64 v[58:61], v58 offset1:1
	s_waitcnt lgkmcnt(1)
	v_fma_f64 v[44:45], -v[50:51], v[68:69], v[44:45]
	s_add_i32 s8, s6, 0xffffebe0
	v_mov_b32_e32 v62, s8
	ds_read_b64 v[62:63], v62
	v_fma_f64 v[44:45], -v[48:49], v[66:67], v[44:45]
	s_waitcnt lgkmcnt(1)
	v_fma_f64 v[44:45], -v[46:47], v[60:61], v[44:45]
	s_add_i32 s8, s6, 0xffffebd0
	v_mul_f64 v[44:45], v[58:59], v[44:45]
	v_mov_b32_e32 v58, s8
	ds_read2_b64 v[58:61], v58 offset1:1
	s_waitcnt lgkmcnt(1)
	v_mul_f64 v[62:63], v[56:57], v[62:63]
	s_add_i32 s8, s6, 0xffffebc0
	s_waitcnt vmcnt(8)
	v_fma_f64 v[38:39], v[38:39], s[0:1], -v[62:63]
	v_mov_b32_e32 v62, s8
	ds_read2_b64 v[62:65], v62 offset1:1
	s_waitcnt lgkmcnt(1)
	v_fma_f64 v[38:39], -v[54:55], v[60:61], v[38:39]
	s_add_i32 s8, s6, 0xffffebb0
	v_fma_f64 v[38:39], -v[10:11], v[58:59], v[38:39]
	v_mov_b32_e32 v58, s8
	ds_read2_b64 v[58:61], v58 offset1:1
	s_add_i32 s8, s6, 0xffffeba0
	s_waitcnt lgkmcnt(1)
	v_fma_f64 v[38:39], -v[8:9], v[64:65], v[38:39]
	v_mov_b32_e32 v66, s8
	ds_read2_b64 v[66:69], v66 offset1:1
	v_fma_f64 v[38:39], -v[6:7], v[62:63], v[38:39]
	s_waitcnt lgkmcnt(1)
	v_fma_f64 v[38:39], -v[4:5], v[60:61], v[38:39]
	s_add_i32 s8, s6, 0xffffeb90
	v_fma_f64 v[38:39], -v[14:15], v[58:59], v[38:39]
	v_mov_b32_e32 v58, s8
	ds_read2_b64 v[58:61], v58 offset1:1
	s_waitcnt lgkmcnt(1)
	v_fma_f64 v[38:39], -v[12:13], v[68:69], v[38:39]
	s_add_i32 s8, s6, 0xffffeb80
	v_fma_f64 v[38:39], -v[18:19], v[66:67], v[38:39]
	v_mov_b32_e32 v62, s8
	ds_read2_b64 v[62:65], v62 offset1:1
	;; [unrolled: 6-line block ×3, first 2 shown]
	s_add_i32 s8, s6, 0xffffeb60
	s_waitcnt lgkmcnt(1)
	v_fma_f64 v[38:39], -v[20:21], v[64:65], v[38:39]
	v_mov_b32_e32 v66, s8
	ds_read2_b64 v[66:69], v66 offset1:1
	v_fma_f64 v[38:39], -v[30:31], v[62:63], v[38:39]
	s_waitcnt lgkmcnt(1)
	v_fma_f64 v[38:39], -v[28:29], v[60:61], v[38:39]
	s_add_i32 s8, s6, 0xffffeb50
	v_fma_f64 v[38:39], -v[34:35], v[58:59], v[38:39]
	v_mov_b32_e32 v58, s8
	ds_read2_b64 v[58:61], v58 offset1:1
	s_waitcnt lgkmcnt(1)
	v_fma_f64 v[38:39], -v[32:33], v[68:69], v[38:39]
	s_add_i32 s8, s6, 0xffffeb40
	v_fma_f64 v[38:39], -v[42:43], v[66:67], v[38:39]
	v_mov_b32_e32 v62, s8
	ds_read2_b64 v[62:65], v62 offset1:1
	;; [unrolled: 6-line block ×3, first 2 shown]
	s_add_i32 s8, s6, 0xffffeaf8
	v_mov_b32_e32 v66, s8
	ds_read2_b64 v[66:69], v66 offset1:1
	s_waitcnt lgkmcnt(2)
	v_fma_f64 v[38:39], -v[48:49], v[64:65], v[38:39]
	v_fma_f64 v[38:39], -v[46:47], v[62:63], v[38:39]
	s_waitcnt lgkmcnt(1)
	v_fma_f64 v[38:39], -v[44:45], v[60:61], v[38:39]
	s_add_i32 s8, s6, 0xffffeae8
	v_mul_f64 v[38:39], v[58:59], v[38:39]
	v_mov_b32_e32 v58, s8
	ds_read2_b64 v[58:61], v58 offset1:1
	s_waitcnt lgkmcnt(1)
	v_mul_f64 v[68:69], v[56:57], v[68:69]
	s_add_i32 s8, s6, 0xffffead8
	v_fma_f64 v[36:37], v[36:37], s[0:1], -v[68:69]
	v_mov_b32_e32 v62, s8
	ds_read2_b64 v[62:65], v62 offset1:1
	v_fma_f64 v[36:37], -v[54:55], v[66:67], v[36:37]
	s_waitcnt lgkmcnt(1)
	v_fma_f64 v[36:37], -v[10:11], v[60:61], v[36:37]
	s_add_i32 s8, s6, 0xffffeac8
	v_fma_f64 v[36:37], -v[8:9], v[58:59], v[36:37]
	v_mov_b32_e32 v58, s8
	ds_read2_b64 v[58:61], v58 offset1:1
	s_waitcnt lgkmcnt(1)
	v_fma_f64 v[36:37], -v[6:7], v[64:65], v[36:37]
	s_add_i32 s8, s6, 0xffffeab8
	v_fma_f64 v[36:37], -v[4:5], v[62:63], v[36:37]
	v_mov_b32_e32 v62, s8
	ds_read2_b64 v[62:65], v62 offset1:1
	;; [unrolled: 6-line block ×3, first 2 shown]
	s_add_i32 s8, s6, 0xffffea98
	s_waitcnt lgkmcnt(1)
	v_fma_f64 v[36:37], -v[18:19], v[64:65], v[36:37]
	v_mov_b32_e32 v66, s8
	ds_read2_b64 v[66:69], v66 offset1:1
	v_fma_f64 v[36:37], -v[16:17], v[62:63], v[36:37]
	s_waitcnt lgkmcnt(1)
	v_fma_f64 v[36:37], -v[22:23], v[60:61], v[36:37]
	s_add_i32 s8, s6, 0xffffea88
	v_fma_f64 v[36:37], -v[20:21], v[58:59], v[36:37]
	v_mov_b32_e32 v58, s8
	ds_read2_b64 v[58:61], v58 offset1:1
	s_waitcnt lgkmcnt(1)
	v_fma_f64 v[36:37], -v[30:31], v[68:69], v[36:37]
	s_add_i32 s8, s6, 0xffffea78
	v_fma_f64 v[36:37], -v[28:29], v[66:67], v[36:37]
	v_mov_b32_e32 v62, s8
	ds_read2_b64 v[62:65], v62 offset1:1
	;; [unrolled: 6-line block ×3, first 2 shown]
	s_add_i32 s8, s6, 0xffffea58
	s_waitcnt lgkmcnt(1)
	v_fma_f64 v[36:37], -v[42:43], v[64:65], v[36:37]
	v_mov_b32_e32 v66, s8
	ds_read2_b64 v[66:69], v66 offset1:1
	v_fma_f64 v[36:37], -v[40:41], v[62:63], v[36:37]
	s_waitcnt lgkmcnt(1)
	v_fma_f64 v[36:37], -v[50:51], v[60:61], v[36:37]
	s_add_i32 s8, s7, 0xffffea40
	v_fma_f64 v[36:37], -v[48:49], v[58:59], v[36:37]
	v_mov_b32_e32 v58, s8
	ds_read2_b64 v[58:61], v58 offset1:1
	s_waitcnt lgkmcnt(1)
	v_fma_f64 v[36:37], -v[46:47], v[68:69], v[36:37]
	s_add_i32 s8, s6, 0xffffea20
	v_mov_b32_e32 v62, s8
	ds_read_b64 v[62:63], v62
	v_fma_f64 v[36:37], -v[44:45], v[66:67], v[36:37]
	s_waitcnt lgkmcnt(1)
	v_fma_f64 v[36:37], -v[38:39], v[60:61], v[36:37]
	s_add_i32 s8, s6, 0xffffea10
	v_mul_f64 v[36:37], v[58:59], v[36:37]
	v_mov_b32_e32 v58, s8
	ds_read2_b64 v[58:61], v58 offset1:1
	s_waitcnt lgkmcnt(1)
	v_mul_f64 v[62:63], v[56:57], v[62:63]
	s_add_i32 s8, s6, 0xffffea00
	s_waitcnt vmcnt(7)
	v_fma_f64 v[26:27], v[26:27], s[0:1], -v[62:63]
	v_mov_b32_e32 v62, s8
	ds_read2_b64 v[62:65], v62 offset1:1
	s_waitcnt lgkmcnt(1)
	v_fma_f64 v[26:27], -v[54:55], v[60:61], v[26:27]
	s_add_i32 s8, s6, 0xffffe9f0
	v_fma_f64 v[26:27], -v[10:11], v[58:59], v[26:27]
	v_mov_b32_e32 v58, s8
	ds_read2_b64 v[58:61], v58 offset1:1
	s_add_i32 s8, s6, 0xffffe9e0
	s_waitcnt lgkmcnt(1)
	v_fma_f64 v[26:27], -v[8:9], v[64:65], v[26:27]
	v_mov_b32_e32 v66, s8
	ds_read2_b64 v[66:69], v66 offset1:1
	v_fma_f64 v[26:27], -v[6:7], v[62:63], v[26:27]
	s_waitcnt lgkmcnt(1)
	v_fma_f64 v[26:27], -v[4:5], v[60:61], v[26:27]
	s_add_i32 s8, s6, 0xffffe9d0
	v_fma_f64 v[26:27], -v[14:15], v[58:59], v[26:27]
	v_mov_b32_e32 v58, s8
	ds_read2_b64 v[58:61], v58 offset1:1
	s_waitcnt lgkmcnt(1)
	v_fma_f64 v[26:27], -v[12:13], v[68:69], v[26:27]
	s_add_i32 s8, s6, 0xffffe9c0
	v_fma_f64 v[26:27], -v[18:19], v[66:67], v[26:27]
	v_mov_b32_e32 v62, s8
	ds_read2_b64 v[62:65], v62 offset1:1
	s_waitcnt lgkmcnt(1)
	v_fma_f64 v[26:27], -v[16:17], v[60:61], v[26:27]
	s_add_i32 s8, s6, 0xffffe9b0
	v_fma_f64 v[26:27], -v[22:23], v[58:59], v[26:27]
	v_mov_b32_e32 v58, s8
	ds_read2_b64 v[58:61], v58 offset1:1
	s_add_i32 s8, s6, 0xffffe9a0
	s_waitcnt lgkmcnt(1)
	v_fma_f64 v[26:27], -v[20:21], v[64:65], v[26:27]
	v_mov_b32_e32 v66, s8
	ds_read2_b64 v[66:69], v66 offset1:1
	v_fma_f64 v[26:27], -v[30:31], v[62:63], v[26:27]
	s_waitcnt lgkmcnt(1)
	v_fma_f64 v[26:27], -v[28:29], v[60:61], v[26:27]
	s_add_i32 s8, s6, 0xffffe990
	v_fma_f64 v[26:27], -v[34:35], v[58:59], v[26:27]
	v_mov_b32_e32 v58, s8
	ds_read2_b64 v[58:61], v58 offset1:1
	s_waitcnt lgkmcnt(1)
	v_fma_f64 v[26:27], -v[32:33], v[68:69], v[26:27]
	s_add_i32 s8, s6, 0xffffe980
	v_fma_f64 v[26:27], -v[42:43], v[66:67], v[26:27]
	v_mov_b32_e32 v62, s8
	ds_read2_b64 v[62:65], v62 offset1:1
	s_waitcnt lgkmcnt(1)
	v_fma_f64 v[26:27], -v[40:41], v[60:61], v[26:27]
	s_add_i32 s8, s6, 0xffffe970
	v_fma_f64 v[26:27], -v[50:51], v[58:59], v[26:27]
	v_mov_b32_e32 v58, s8
	ds_read2_b64 v[58:61], v58 offset1:1
	s_add_i32 s8, s7, 0xffffe958
	s_waitcnt lgkmcnt(1)
	v_fma_f64 v[26:27], -v[48:49], v[64:65], v[26:27]
	v_mov_b32_e32 v66, s8
	ds_read2_b64 v[66:69], v66 offset1:1
	v_fma_f64 v[26:27], -v[46:47], v[62:63], v[26:27]
	s_waitcnt lgkmcnt(1)
	v_fma_f64 v[26:27], -v[44:45], v[60:61], v[26:27]
	s_add_i32 s8, s6, 0xffffe938
	v_fma_f64 v[26:27], -v[38:39], v[58:59], v[26:27]
	v_mov_b32_e32 v58, s8
	ds_read2_b64 v[58:61], v58 offset1:1
	s_add_i32 s8, s6, 0xffffe928
	v_mov_b32_e32 v62, s8
	ds_read2_b64 v[62:65], v62 offset1:1
	s_add_i32 s8, s6, 0xffffe918
	s_waitcnt lgkmcnt(1)
	v_mul_f64 v[60:61], v[56:57], v[60:61]
	v_fma_f64 v[24:25], v[24:25], s[0:1], -v[60:61]
	v_fma_f64 v[24:25], -v[54:55], v[58:59], v[24:25]
	v_mov_b32_e32 v58, s8
	ds_read2_b64 v[58:61], v58 offset1:1
	v_fma_f64 v[26:27], -v[36:37], v[68:69], v[26:27]
	s_add_i32 s8, s6, 0xffffe908
	s_waitcnt lgkmcnt(1)
	v_fma_f64 v[24:25], -v[10:11], v[64:65], v[24:25]
	v_mul_f64 v[26:27], v[66:67], v[26:27]
	v_mov_b32_e32 v66, s8
	ds_read2_b64 v[66:69], v66 offset1:1
	v_fma_f64 v[24:25], -v[8:9], v[62:63], v[24:25]
	s_waitcnt lgkmcnt(1)
	v_fma_f64 v[24:25], -v[6:7], v[60:61], v[24:25]
	s_add_i32 s8, s6, 0xffffe8f8
	v_fma_f64 v[24:25], -v[4:5], v[58:59], v[24:25]
	v_mov_b32_e32 v58, s8
	ds_read2_b64 v[58:61], v58 offset1:1
	s_waitcnt lgkmcnt(1)
	v_fma_f64 v[24:25], -v[14:15], v[68:69], v[24:25]
	s_add_i32 s8, s6, 0xffffe8e8
	v_fma_f64 v[24:25], -v[12:13], v[66:67], v[24:25]
	v_mov_b32_e32 v62, s8
	ds_read2_b64 v[62:65], v62 offset1:1
	;; [unrolled: 6-line block ×3, first 2 shown]
	s_add_i32 s8, s6, 0xffffe8c8
	s_waitcnt lgkmcnt(1)
	v_fma_f64 v[24:25], -v[22:23], v[64:65], v[24:25]
	v_mov_b32_e32 v66, s8
	ds_read2_b64 v[66:69], v66 offset1:1
	v_fma_f64 v[24:25], -v[20:21], v[62:63], v[24:25]
	s_waitcnt lgkmcnt(1)
	v_fma_f64 v[24:25], -v[30:31], v[60:61], v[24:25]
	s_add_i32 s8, s6, 0xffffe8b8
	v_fma_f64 v[24:25], -v[28:29], v[58:59], v[24:25]
	v_mov_b32_e32 v58, s8
	ds_read2_b64 v[58:61], v58 offset1:1
	s_waitcnt lgkmcnt(1)
	v_fma_f64 v[24:25], -v[34:35], v[68:69], v[24:25]
	s_add_i32 s8, s6, 0xffffe8a8
	v_fma_f64 v[24:25], -v[32:33], v[66:67], v[24:25]
	v_mov_b32_e32 v62, s8
	ds_read2_b64 v[62:65], v62 offset1:1
	;; [unrolled: 6-line block ×3, first 2 shown]
	s_add_i32 s8, s6, 0xffffe888
	s_waitcnt lgkmcnt(1)
	v_fma_f64 v[24:25], -v[50:51], v[64:65], v[24:25]
	v_mov_b32_e32 v66, s8
	ds_read2_b64 v[66:69], v66 offset1:1
	v_fma_f64 v[24:25], -v[48:49], v[62:63], v[24:25]
	s_waitcnt lgkmcnt(1)
	v_fma_f64 v[24:25], -v[46:47], v[60:61], v[24:25]
	s_add_i32 s8, s7, 0xffffe870
	v_fma_f64 v[24:25], -v[44:45], v[58:59], v[24:25]
	v_mov_b32_e32 v58, s8
	ds_read2_b64 v[58:61], v58 offset1:1
	s_waitcnt lgkmcnt(1)
	v_fma_f64 v[24:25], -v[38:39], v[68:69], v[24:25]
	s_add_i32 s8, s6, 0xffffe860
	v_fma_f64 v[24:25], -v[36:37], v[66:67], v[24:25]
	v_mov_b32_e32 v62, s8
	ds_read_b64 v[66:67], v62
	s_waitcnt lgkmcnt(1)
	v_fma_f64 v[24:25], -v[26:27], v[60:61], v[24:25]
	s_add_i32 s8, s6, 0xffffe850
	v_mul_f64 v[24:25], v[58:59], v[24:25]
	v_mov_b32_e32 v58, s8
	ds_read2_b64 v[58:61], v58 offset1:1
	s_add_i32 s8, s6, 0xffffe840
	s_waitcnt lgkmcnt(1)
	v_mul_f64 v[66:67], v[56:57], v[66:67]
	v_mov_b32_e32 v62, s8
	ds_read2_b64 v[62:65], v62 offset1:1
	s_waitcnt vmcnt(6)
	v_fma_f64 v[2:3], v[2:3], s[0:1], -v[66:67]
	s_waitcnt lgkmcnt(1)
	v_fma_f64 v[2:3], -v[54:55], v[60:61], v[2:3]
	s_add_i32 s8, s6, 0xffffe830
	v_fma_f64 v[2:3], -v[10:11], v[58:59], v[2:3]
	v_mov_b32_e32 v58, s8
	ds_read2_b64 v[58:61], v58 offset1:1
	s_waitcnt lgkmcnt(1)
	v_fma_f64 v[2:3], -v[8:9], v[64:65], v[2:3]
	s_add_i32 s8, s6, 0xffffe820
	v_fma_f64 v[2:3], -v[6:7], v[62:63], v[2:3]
	v_mov_b32_e32 v62, s8
	ds_read2_b64 v[62:65], v62 offset1:1
	;; [unrolled: 6-line block ×3, first 2 shown]
	s_add_i32 s8, s6, 0xffffe800
	s_waitcnt lgkmcnt(1)
	v_fma_f64 v[2:3], -v[12:13], v[64:65], v[2:3]
	v_mov_b32_e32 v66, s8
	ds_read2_b64 v[66:69], v66 offset1:1
	v_fma_f64 v[2:3], -v[18:19], v[62:63], v[2:3]
	s_waitcnt lgkmcnt(1)
	v_fma_f64 v[2:3], -v[16:17], v[60:61], v[2:3]
	s_add_i32 s8, s6, 0xffffe7f0
	v_fma_f64 v[2:3], -v[22:23], v[58:59], v[2:3]
	v_mov_b32_e32 v58, s8
	ds_read2_b64 v[58:61], v58 offset1:1
	s_waitcnt lgkmcnt(1)
	v_fma_f64 v[2:3], -v[20:21], v[68:69], v[2:3]
	s_add_i32 s8, s6, 0xffffe7e0
	v_fma_f64 v[2:3], -v[30:31], v[66:67], v[2:3]
	v_mov_b32_e32 v62, s8
	ds_read2_b64 v[62:65], v62 offset1:1
	;; [unrolled: 6-line block ×3, first 2 shown]
	s_add_i32 s8, s6, 0xffffe7c0
	s_waitcnt lgkmcnt(1)
	v_fma_f64 v[2:3], -v[32:33], v[64:65], v[2:3]
	v_mov_b32_e32 v66, s8
	ds_read2_b64 v[66:69], v66 offset1:1
	v_fma_f64 v[2:3], -v[42:43], v[62:63], v[2:3]
	s_waitcnt lgkmcnt(1)
	v_fma_f64 v[2:3], -v[40:41], v[60:61], v[2:3]
	s_add_i32 s8, s6, 0xffffe7b0
	v_fma_f64 v[2:3], -v[50:51], v[58:59], v[2:3]
	v_mov_b32_e32 v58, s8
	ds_read2_b64 v[58:61], v58 offset1:1
	s_waitcnt lgkmcnt(1)
	v_fma_f64 v[2:3], -v[48:49], v[68:69], v[2:3]
	s_add_i32 s8, s6, 0xffffe7a0
	v_fma_f64 v[2:3], -v[46:47], v[66:67], v[2:3]
	v_mov_b32_e32 v62, s8
	ds_read2_b64 v[62:65], v62 offset1:1
	s_waitcnt lgkmcnt(1)
	v_fma_f64 v[2:3], -v[44:45], v[60:61], v[2:3]
	s_add_i32 s8, s7, 0xffffe788
	v_fma_f64 v[2:3], -v[38:39], v[58:59], v[2:3]
	v_mov_b32_e32 v58, s8
	s_add_i32 s8, s6, 0xffffe778
	v_mov_b32_e32 v66, s8
	ds_read2_b64 v[58:61], v58 offset1:1
	ds_read2_b64 v[66:69], v66 offset1:1
	s_waitcnt lgkmcnt(2)
	v_fma_f64 v[2:3], -v[36:37], v[64:65], v[2:3]
	v_fma_f64 v[2:3], -v[26:27], v[62:63], v[2:3]
	s_add_i32 s8, s6, 0xffffe768
	s_waitcnt lgkmcnt(1)
	v_fma_f64 v[2:3], -v[24:25], v[60:61], v[2:3]
	s_waitcnt lgkmcnt(0)
	v_mul_f64 v[64:65], v[56:57], v[68:69]
	v_mov_b32_e32 v56, s8
	v_mul_f64 v[2:3], v[58:59], v[2:3]
	s_add_i32 s8, s6, 0xffffe758
	ds_read2_b64 v[56:59], v56 offset1:1
	v_mov_b32_e32 v60, s8
	ds_read2_b64 v[60:63], v60 offset1:1
	v_fma_f64 v[0:1], v[0:1], s[0:1], -v[64:65]
	v_fma_f64 v[0:1], -v[54:55], v[66:67], v[0:1]
	s_waitcnt lgkmcnt(1)
	v_fma_f64 v[0:1], -v[10:11], v[58:59], v[0:1]
	v_fma_f64 v[0:1], -v[8:9], v[56:57], v[0:1]
	s_add_i32 s8, s6, 0xffffe748
	s_waitcnt lgkmcnt(0)
	v_fma_f64 v[0:1], -v[6:7], v[62:63], v[0:1]
	v_mov_b32_e32 v6, s8
	ds_read2_b64 v[6:9], v6 offset1:1
	s_add_i32 s8, s6, 0xffffe738
	v_fma_f64 v[0:1], -v[4:5], v[60:61], v[0:1]
	v_mov_b32_e32 v4, s8
	ds_read2_b64 v[54:57], v4 offset1:1
	s_add_i32 s8, s6, 0xffffe728
	s_waitcnt lgkmcnt(1)
	v_fma_f64 v[0:1], -v[14:15], v[8:9], v[0:1]
	v_mov_b32_e32 v4, s8
	v_fma_f64 v[0:1], -v[12:13], v[6:7], v[0:1]
	ds_read2_b64 v[4:7], v4 offset1:1
	s_add_i32 s8, s6, 0xffffe718
	s_waitcnt lgkmcnt(1)
	v_fma_f64 v[0:1], -v[18:19], v[56:57], v[0:1]
	v_mov_b32_e32 v8, s8
	ds_read2_b64 v[8:11], v8 offset1:1
	v_fma_f64 v[0:1], -v[16:17], v[54:55], v[0:1]
	s_waitcnt lgkmcnt(1)
	v_fma_f64 v[0:1], -v[22:23], v[6:7], v[0:1]
	s_add_i32 s8, s6, 0xffffe708
	v_fma_f64 v[0:1], -v[20:21], v[4:5], v[0:1]
	v_mov_b32_e32 v4, s8
	ds_read2_b64 v[4:7], v4 offset1:1
	s_waitcnt lgkmcnt(1)
	v_fma_f64 v[0:1], -v[30:31], v[10:11], v[0:1]
	s_add_i32 s8, s6, 0xffffe6f8
	v_fma_f64 v[0:1], -v[28:29], v[8:9], v[0:1]
	v_mov_b32_e32 v8, s8
	ds_read2_b64 v[8:11], v8 offset1:1
	;; [unrolled: 6-line block ×3, first 2 shown]
	s_add_i32 s8, s6, 0xffffe6d8
	v_mov_b32_e32 v12, s8
	ds_read2_b64 v[12:15], v12 offset1:1
	s_waitcnt lgkmcnt(2)
	v_fma_f64 v[0:1], -v[42:43], v[10:11], v[0:1]
	v_fma_f64 v[0:1], -v[40:41], v[8:9], v[0:1]
	s_waitcnt lgkmcnt(1)
	v_fma_f64 v[0:1], -v[50:51], v[6:7], v[0:1]
	s_add_i32 s8, s6, 0xffffe6c8
	s_addk_i32 s6, 0xe6b8
	global_store_dwordx4 v[52:53], v[20:23], off offset:-96
	global_store_dwordx4 v[52:53], v[28:31], off offset:-112
	;; [unrolled: 1-line block ×8, first 2 shown]
	v_fma_f64 v[0:1], -v[48:49], v[4:5], v[0:1]
	v_mov_b32_e32 v4, s8
	v_mov_b32_e32 v8, s6
	ds_read2_b64 v[4:7], v4 offset1:1
	ds_read2_b64 v[8:11], v8 offset1:1
	s_waitcnt lgkmcnt(2)
	v_fma_f64 v[0:1], -v[46:47], v[14:15], v[0:1]
	s_add_i32 s6, s7, 0xffffe6a0
	v_fma_f64 v[0:1], -v[44:45], v[12:13], v[0:1]
	v_mov_b32_e32 v12, s6
	ds_read2_b64 v[12:15], v12 offset1:1
	s_waitcnt lgkmcnt(2)
	v_fma_f64 v[0:1], -v[38:39], v[6:7], v[0:1]
	v_fma_f64 v[0:1], -v[36:37], v[4:5], v[0:1]
	s_waitcnt lgkmcnt(1)
	v_fma_f64 v[0:1], -v[26:27], v[10:11], v[0:1]
	v_fma_f64 v[0:1], -v[24:25], v[8:9], v[0:1]
	s_waitcnt lgkmcnt(0)
	v_fma_f64 v[0:1], -v[2:3], v[14:15], v[0:1]
	v_mul_f64 v[0:1], v[12:13], v[0:1]
	s_sub_i32 s6, s16, 29
	global_store_dwordx4 v[52:53], v[0:3], off offset:-224
.LBB100_14:
	s_cmp_gt_i32 s6, -1
	s_cbranch_scc0 .LBB100_33
; %bb.15:
	s_cmp_lt_u32 s6, 23
	s_cbranch_scc1 .LBB100_20
; %bb.16:
	s_mov_b32 s7, 0
	s_lshl_b64 s[8:9], s[6:7], 3
	v_mov_b32_e32 v1, s9
	v_add_co_u32_e32 v0, vcc, s8, v148
	v_addc_co_u32_e32 v1, vcc, v149, v1, vcc
	global_load_dwordx4 v[2:5], v[0:1], off offset:-8
	global_load_dwordx4 v[6:9], v[0:1], off offset:-24
	;; [unrolled: 1-line block ×12, first 2 shown]
	s_cmp_le_i32 s18, s6
	s_waitcnt vmcnt(11)
	v_mul_f64 v[46:47], v[4:5], s[0:1]
	v_mul_f64 v[42:43], v[2:3], s[0:1]
	s_waitcnt vmcnt(10)
	v_mul_f64 v[2:3], v[8:9], s[0:1]
	v_mul_f64 v[50:51], v[6:7], s[0:1]
	;; [unrolled: 3-line block ×12, first 2 shown]
	s_cbranch_scc1 .LBB100_19
; %bb.17:
	s_mul_i32 s7, s6, 0xe0
	s_lshl_b32 s8, s16, 3
	s_add_i32 s7, s7, s8
	s_ashr_i32 s19, s18, 31
	s_addk_i32 s7, 0xebd8
	s_lshl_b64 s[8:9], s[18:19], 3
	s_add_u32 s8, s10, s8
	s_addc_u32 s9, s11, s9
	s_add_u32 s8, s8, s4
	s_addc_u32 s9, s9, s5
	;; [unrolled: 2-line block ×3, first 2 shown]
	v_mov_b32_e32 v49, s9
	v_add_co_u32_e32 v48, vcc, s8, v150
	v_addc_co_u32_e32 v49, vcc, v49, v151, vcc
	s_mov_b32 s8, s18
.LBB100_18:                             ; =>This Inner Loop Header: Depth=1
	global_load_dwordx2 v[100:101], v[48:49], off
	v_mov_b32_e32 v68, s7
	v_add_u32_e32 v76, 0x1000, v68
	v_add_u32_e32 v80, 0xc00, v68
	;; [unrolled: 1-line block ×3, first 2 shown]
	ds_read2_b64 v[52:55], v68 offset0:224 offset1:252
	ds_read2_b64 v[56:59], v68 offset0:168 offset1:196
	;; [unrolled: 1-line block ×4, first 2 shown]
	ds_read2_b64 v[68:71], v68 offset1:28
	ds_read2_b64 v[72:75], v76 offset0:104 offset1:132
	ds_read2_b64 v[76:79], v76 offset0:48 offset1:76
	ds_read2_b64 v[80:83], v80 offset0:120 offset1:148
	ds_read2_b64 v[84:87], v96 offset0:192 offset1:220
	ds_read2_b64 v[88:91], v96 offset0:136 offset1:164
	ds_read2_b64 v[92:95], v96 offset0:80 offset1:108
	ds_read2_b64 v[96:99], v96 offset0:24 offset1:52
	s_add_i32 s8, s8, -1
	s_add_i32 s7, s7, -8
	v_add_co_u32_e32 v48, vcc, -8, v48
	v_addc_co_u32_e32 v49, vcc, -1, v49, vcc
	s_cmp_gt_i32 s8, s6
	s_waitcnt vmcnt(0) lgkmcnt(6)
	v_fma_f64 v[46:47], -v[100:101], v[74:75], v[46:47]
	v_fma_f64 v[42:43], -v[100:101], v[72:73], v[42:43]
	s_waitcnt lgkmcnt(5)
	v_fma_f64 v[2:3], -v[100:101], v[78:79], v[2:3]
	v_fma_f64 v[50:51], -v[100:101], v[76:77], v[50:51]
	s_waitcnt lgkmcnt(4)
	v_fma_f64 v[6:7], -v[100:101], v[82:83], v[6:7]
	v_fma_f64 v[4:5], -v[100:101], v[80:81], v[4:5]
	s_waitcnt lgkmcnt(3)
	v_fma_f64 v[10:11], -v[100:101], v[86:87], v[10:11]
	v_fma_f64 v[8:9], -v[100:101], v[84:85], v[8:9]
	s_waitcnt lgkmcnt(2)
	v_fma_f64 v[14:15], -v[100:101], v[90:91], v[14:15]
	v_fma_f64 v[12:13], -v[100:101], v[88:89], v[12:13]
	s_waitcnt lgkmcnt(1)
	v_fma_f64 v[18:19], -v[100:101], v[94:95], v[18:19]
	v_fma_f64 v[16:17], -v[100:101], v[92:93], v[16:17]
	s_waitcnt lgkmcnt(0)
	v_fma_f64 v[22:23], -v[100:101], v[98:99], v[22:23]
	v_fma_f64 v[20:21], -v[100:101], v[96:97], v[20:21]
	;; [unrolled: 1-line block ×12, first 2 shown]
	s_cbranch_scc1 .LBB100_18
.LBB100_19:
	s_mul_i32 s8, s6, 0xe8
	v_mov_b32_e32 v48, s8
	s_add_i32 s7, s8, 0xffffff18
	ds_read_b64 v[48:49], v48
	v_mov_b32_e32 v52, s7
	ds_read2_b64 v[52:55], v52 offset1:1
	s_ashr_i32 s7, s6, 31
	s_lshl_b64 s[12:13], s[6:7], 3
	s_waitcnt lgkmcnt(1)
	v_mul_f64 v[46:47], v[48:49], v[46:47]
	global_store_dwordx2 v[0:1], v[46:47], off
	s_waitcnt lgkmcnt(0)
	v_fma_f64 v[0:1], -v[46:47], v[54:55], v[42:43]
	s_add_i32 s7, s8, 0xfffffe40
	v_mul_f64 v[48:49], v[52:53], v[0:1]
	v_mov_b32_e32 v0, s7
	s_add_i32 s7, s8, 0xfffffe30
	v_mov_b32_e32 v42, s7
	ds_read_b64 v[0:1], v0
	ds_read2_b64 v[52:55], v42 offset1:1
	s_add_i32 s7, s8, 0xfffffd58
	v_mov_b32_e32 v43, s13
	v_add_co_u32_e32 v42, vcc, s12, v148
	s_waitcnt lgkmcnt(1)
	v_fma_f64 v[0:1], -v[46:47], v[0:1], v[2:3]
	v_mov_b32_e32 v2, s7
	s_waitcnt lgkmcnt(0)
	v_fma_f64 v[0:1], -v[48:49], v[54:55], v[0:1]
	ds_read2_b64 v[54:57], v2 offset1:1
	s_add_i32 s7, s8, 0xfffffd48
	v_mul_f64 v[2:3], v[52:53], v[0:1]
	v_mov_b32_e32 v0, s7
	s_add_i32 s7, s8, 0xfffffc80
	v_addc_co_u32_e32 v43, vcc, v149, v43, vcc
	ds_read2_b64 v[58:61], v0 offset1:1
	s_waitcnt lgkmcnt(1)
	v_fma_f64 v[0:1], -v[46:47], v[56:57], v[50:51]
	v_mov_b32_e32 v50, s7
	s_add_i32 s7, s8, 0xfffffc70
	global_store_dwordx2 v[42:43], v[48:49], off offset:-8
	v_mov_b32_e32 v51, s7
	v_fma_f64 v[0:1], -v[48:49], v[54:55], v[0:1]
	ds_read_b64 v[54:55], v50
	ds_read2_b64 v[50:53], v51 offset1:1
	s_add_i32 s7, s8, 0xfffffc60
	s_waitcnt lgkmcnt(2)
	v_fma_f64 v[0:1], -v[2:3], v[60:61], v[0:1]
	v_mul_f64 v[0:1], v[58:59], v[0:1]
	s_waitcnt lgkmcnt(1)
	v_fma_f64 v[6:7], -v[46:47], v[54:55], v[6:7]
	s_waitcnt lgkmcnt(0)
	v_fma_f64 v[6:7], -v[48:49], v[52:53], v[6:7]
	v_mov_b32_e32 v52, s7
	ds_read2_b64 v[52:55], v52 offset1:1
	s_add_i32 s7, s8, 0xfffffb98
	v_fma_f64 v[6:7], -v[2:3], v[50:51], v[6:7]
	v_mov_b32_e32 v50, s7
	ds_read2_b64 v[56:59], v50 offset1:1
	s_add_i32 s7, s8, 0xfffffb88
	s_waitcnt lgkmcnt(1)
	v_fma_f64 v[6:7], -v[0:1], v[54:55], v[6:7]
	v_mov_b32_e32 v50, s7
	v_mul_f64 v[6:7], v[52:53], v[6:7]
	s_add_i32 s7, s8, 0xfffffb78
	ds_read2_b64 v[50:53], v50 offset1:1
	v_mov_b32_e32 v54, s7
	ds_read2_b64 v[60:63], v54 offset1:1
	s_waitcnt lgkmcnt(2)
	v_fma_f64 v[4:5], -v[46:47], v[58:59], v[4:5]
	v_fma_f64 v[4:5], -v[48:49], v[56:57], v[4:5]
	s_waitcnt lgkmcnt(1)
	v_fma_f64 v[4:5], -v[2:3], v[52:53], v[4:5]
	v_fma_f64 v[4:5], -v[0:1], v[50:51], v[4:5]
	s_add_i32 s7, s8, 0xfffffac0
	s_waitcnt lgkmcnt(0)
	v_fma_f64 v[4:5], -v[6:7], v[62:63], v[4:5]
	v_mov_b32_e32 v50, s7
	s_add_i32 s7, s8, 0xfffffab8
	v_mul_f64 v[4:5], v[60:61], v[4:5]
	ds_read_b64 v[58:59], v50
	v_mov_b32_e32 v50, s7
	s_add_i32 s7, s8, 0xfffffaa8
	global_store_dwordx4 v[42:43], v[0:3], off offset:-24
	global_store_dwordx4 v[42:43], v[4:7], off offset:-40
	v_mov_b32_e32 v51, s7
	ds_read_b64 v[60:61], v50
	ds_read2_b64 v[50:53], v51 offset1:1
	s_add_i32 s7, s8, 0xfffffa98
	s_waitcnt lgkmcnt(2)
	v_fma_f64 v[10:11], -v[46:47], v[58:59], v[10:11]
	v_mov_b32_e32 v54, s7
	s_waitcnt lgkmcnt(1)
	v_fma_f64 v[10:11], -v[48:49], v[60:61], v[10:11]
	ds_read2_b64 v[54:57], v54 offset1:1
	s_waitcnt lgkmcnt(1)
	v_fma_f64 v[10:11], -v[2:3], v[52:53], v[10:11]
	s_add_i32 s7, s8, 0xfffffa90
	v_fma_f64 v[10:11], -v[0:1], v[50:51], v[10:11]
	v_mov_b32_e32 v50, s7
	ds_read_b64 v[50:51], v50
	s_waitcnt lgkmcnt(1)
	v_fma_f64 v[10:11], -v[6:7], v[56:57], v[10:11]
	s_add_i32 s7, s8, 0xfffff9e0
	v_fma_f64 v[10:11], -v[4:5], v[54:55], v[10:11]
	v_mov_b32_e32 v52, s7
	s_add_i32 s7, s8, 0xfffff9d0
	ds_read_b64 v[54:55], v52
	s_waitcnt lgkmcnt(1)
	v_mul_f64 v[10:11], v[50:51], v[10:11]
	v_mov_b32_e32 v50, s7
	ds_read2_b64 v[50:53], v50 offset1:1
	s_add_i32 s7, s8, 0xfffff9c0
	s_waitcnt lgkmcnt(1)
	v_fma_f64 v[8:9], -v[46:47], v[54:55], v[8:9]
	v_mov_b32_e32 v54, s7
	ds_read2_b64 v[54:57], v54 offset1:1
	s_waitcnt lgkmcnt(1)
	v_fma_f64 v[8:9], -v[48:49], v[52:53], v[8:9]
	s_add_i32 s7, s8, 0xfffff9b0
	v_fma_f64 v[8:9], -v[2:3], v[50:51], v[8:9]
	v_mov_b32_e32 v50, s7
	ds_read2_b64 v[50:53], v50 offset1:1
	s_waitcnt lgkmcnt(1)
	v_fma_f64 v[8:9], -v[0:1], v[56:57], v[8:9]
	s_add_i32 s7, s8, 0xfffff9a8
	v_fma_f64 v[8:9], -v[6:7], v[54:55], v[8:9]
	v_mov_b32_e32 v58, s7
	s_waitcnt lgkmcnt(0)
	v_fma_f64 v[8:9], -v[4:5], v[52:53], v[8:9]
	s_add_i32 s7, s8, 0xfffff900
	v_fma_f64 v[8:9], -v[10:11], v[50:51], v[8:9]
	v_mov_b32_e32 v50, s7
	ds_read_b64 v[50:51], v50
	s_add_i32 s7, s8, 0xfffff8f8
	v_mov_b32_e32 v52, s7
	ds_read_b64 v[54:55], v52
	ds_read_b64 v[58:59], v58
	s_add_i32 s7, s8, 0xfffff8e8
	s_waitcnt lgkmcnt(2)
	v_fma_f64 v[14:15], -v[46:47], v[50:51], v[14:15]
	v_mov_b32_e32 v50, s7
	ds_read2_b64 v[50:53], v50 offset1:1
	s_add_i32 s7, s8, 0xfffff8d8
	s_waitcnt lgkmcnt(2)
	v_fma_f64 v[14:15], -v[48:49], v[54:55], v[14:15]
	v_mov_b32_e32 v54, s7
	ds_read2_b64 v[54:57], v54 offset1:1
	s_add_i32 s7, s8, 0xfffff8c8
	s_waitcnt lgkmcnt(2)
	v_mul_f64 v[8:9], v[58:59], v[8:9]
	v_mov_b32_e32 v58, s7
	ds_read2_b64 v[58:61], v58 offset1:1
	s_waitcnt lgkmcnt(2)
	v_fma_f64 v[14:15], -v[2:3], v[52:53], v[14:15]
	v_fma_f64 v[14:15], -v[0:1], v[50:51], v[14:15]
	s_waitcnt lgkmcnt(1)
	v_fma_f64 v[14:15], -v[6:7], v[56:57], v[14:15]
	v_fma_f64 v[14:15], -v[4:5], v[54:55], v[14:15]
	s_add_i32 s7, s8, 0xfffff8c0
	s_waitcnt lgkmcnt(0)
	v_fma_f64 v[14:15], -v[10:11], v[60:61], v[14:15]
	v_mov_b32_e32 v50, s7
	s_add_i32 s7, s8, 0xfffff820
	v_fma_f64 v[14:15], -v[8:9], v[58:59], v[14:15]
	ds_read_b64 v[58:59], v50
	v_mov_b32_e32 v50, s7
	s_add_i32 s7, s8, 0xfffff810
	ds_read_b64 v[60:61], v50
	v_mov_b32_e32 v50, s7
	s_add_i32 s7, s8, 0xfffff800
	ds_read2_b64 v[50:53], v50 offset1:1
	v_mov_b32_e32 v54, s7
	ds_read2_b64 v[54:57], v54 offset1:1
	s_waitcnt lgkmcnt(2)
	v_fma_f64 v[12:13], -v[46:47], v[60:61], v[12:13]
	s_add_i32 s7, s8, 0xfffff7f0
	s_waitcnt lgkmcnt(1)
	v_fma_f64 v[12:13], -v[48:49], v[52:53], v[12:13]
	v_fma_f64 v[12:13], -v[2:3], v[50:51], v[12:13]
	s_waitcnt lgkmcnt(0)
	v_fma_f64 v[12:13], -v[0:1], v[56:57], v[12:13]
	v_mov_b32_e32 v50, s7
	s_add_i32 s7, s8, 0xfffff7e0
	global_store_dwordx4 v[42:43], v[8:11], off offset:-56
	v_fma_f64 v[12:13], -v[6:7], v[54:55], v[12:13]
	v_mov_b32_e32 v54, s7
	ds_read2_b64 v[50:53], v50 offset1:1
	ds_read2_b64 v[54:57], v54 offset1:1
	s_add_i32 s7, s8, 0xfffff7d8
	v_mul_f64 v[14:15], v[58:59], v[14:15]
	v_mov_b32_e32 v58, s7
	s_waitcnt lgkmcnt(1)
	v_fma_f64 v[12:13], -v[4:5], v[52:53], v[12:13]
	s_add_i32 s7, s8, 0xfffff740
	v_fma_f64 v[12:13], -v[10:11], v[50:51], v[12:13]
	v_mov_b32_e32 v50, s7
	ds_read_b64 v[50:51], v50
	s_add_i32 s7, s8, 0xfffff738
	s_waitcnt lgkmcnt(1)
	v_fma_f64 v[12:13], -v[8:9], v[56:57], v[12:13]
	v_mov_b32_e32 v52, s7
	v_fma_f64 v[12:13], -v[14:15], v[54:55], v[12:13]
	ds_read_b64 v[54:55], v52
	s_add_i32 s7, s8, 0xfffff728
	ds_read_b64 v[58:59], v58
	s_waitcnt lgkmcnt(2)
	v_fma_f64 v[18:19], -v[46:47], v[50:51], v[18:19]
	v_mov_b32_e32 v50, s7
	ds_read2_b64 v[50:53], v50 offset1:1
	s_add_i32 s7, s8, 0xfffff718
	s_waitcnt lgkmcnt(2)
	v_fma_f64 v[18:19], -v[48:49], v[54:55], v[18:19]
	v_mov_b32_e32 v54, s7
	ds_read2_b64 v[54:57], v54 offset1:1
	s_add_i32 s7, s8, 0xfffff708
	s_waitcnt lgkmcnt(2)
	v_mul_f64 v[12:13], v[58:59], v[12:13]
	v_mov_b32_e32 v58, s7
	ds_read2_b64 v[58:61], v58 offset1:1
	s_waitcnt lgkmcnt(2)
	v_fma_f64 v[18:19], -v[2:3], v[52:53], v[18:19]
	s_add_i32 s7, s8, 0xfffff6f8
	v_fma_f64 v[18:19], -v[0:1], v[50:51], v[18:19]
	v_mov_b32_e32 v50, s7
	ds_read2_b64 v[50:53], v50 offset1:1
	s_waitcnt lgkmcnt(2)
	v_fma_f64 v[18:19], -v[6:7], v[56:57], v[18:19]
	v_fma_f64 v[18:19], -v[4:5], v[54:55], v[18:19]
	s_add_i32 s7, s8, 0xfffff6f0
	s_waitcnt lgkmcnt(1)
	v_fma_f64 v[18:19], -v[10:11], v[60:61], v[18:19]
	v_mov_b32_e32 v54, s7
	s_add_i32 s7, s8, 0xfffff658
	global_store_dwordx4 v[42:43], v[12:15], off offset:-72
	v_mov_b32_e32 v55, s7
	v_fma_f64 v[18:19], -v[8:9], v[58:59], v[18:19]
	ds_read_b64 v[60:61], v54
	ds_read2_b64 v[54:57], v55 offset1:1
	s_waitcnt lgkmcnt(2)
	v_fma_f64 v[18:19], -v[14:15], v[52:53], v[18:19]
	s_add_i32 s7, s8, 0xfffff648
	v_fma_f64 v[18:19], -v[12:13], v[50:51], v[18:19]
	v_mov_b32_e32 v50, s7
	ds_read2_b64 v[50:53], v50 offset1:1
	s_waitcnt lgkmcnt(1)
	v_fma_f64 v[16:17], -v[46:47], v[56:57], v[16:17]
	s_add_i32 s7, s8, 0xfffff638
	v_fma_f64 v[16:17], -v[48:49], v[54:55], v[16:17]
	v_mov_b32_e32 v54, s7
	ds_read2_b64 v[54:57], v54 offset1:1
	s_waitcnt lgkmcnt(1)
	v_fma_f64 v[16:17], -v[2:3], v[52:53], v[16:17]
	s_add_i32 s7, s8, 0xfffff628
	v_fma_f64 v[16:17], -v[0:1], v[50:51], v[16:17]
	v_mov_b32_e32 v50, s7
	ds_read2_b64 v[50:53], v50 offset1:1
	s_add_i32 s7, s8, 0xfffff618
	s_waitcnt lgkmcnt(1)
	v_fma_f64 v[16:17], -v[6:7], v[56:57], v[16:17]
	v_mov_b32_e32 v58, s7
	v_fma_f64 v[16:17], -v[4:5], v[54:55], v[16:17]
	v_mul_f64 v[18:19], v[60:61], v[18:19]
	ds_read2_b64 v[58:61], v58 offset1:1
	s_waitcnt lgkmcnt(1)
	v_fma_f64 v[16:17], -v[10:11], v[52:53], v[16:17]
	s_add_i32 s7, s8, 0xfffff608
	v_fma_f64 v[16:17], -v[8:9], v[50:51], v[16:17]
	v_mov_b32_e32 v50, s7
	ds_read2_b64 v[50:53], v50 offset1:1
	s_waitcnt lgkmcnt(1)
	v_fma_f64 v[16:17], -v[14:15], v[60:61], v[16:17]
	s_add_i32 s7, s8, 0xfffff580
	v_fma_f64 v[16:17], -v[12:13], v[58:59], v[16:17]
	v_mov_b32_e32 v54, s7
	ds_read_b64 v[54:55], v54
	s_waitcnt lgkmcnt(1)
	v_fma_f64 v[16:17], -v[18:19], v[52:53], v[16:17]
	s_add_i32 s7, s8, 0xfffff570
	v_mul_f64 v[16:17], v[50:51], v[16:17]
	v_mov_b32_e32 v50, s7
	ds_read2_b64 v[50:53], v50 offset1:1
	s_add_i32 s7, s8, 0xfffff560
	s_waitcnt lgkmcnt(1)
	v_fma_f64 v[22:23], -v[46:47], v[54:55], v[22:23]
	v_mov_b32_e32 v54, s7
	ds_read2_b64 v[54:57], v54 offset1:1
	s_waitcnt lgkmcnt(1)
	v_fma_f64 v[22:23], -v[48:49], v[52:53], v[22:23]
	s_add_i32 s7, s8, 0xfffff550
	v_fma_f64 v[22:23], -v[2:3], v[50:51], v[22:23]
	v_mov_b32_e32 v50, s7
	ds_read2_b64 v[50:53], v50 offset1:1
	s_add_i32 s7, s8, 0xfffff540
	s_waitcnt lgkmcnt(1)
	v_fma_f64 v[22:23], -v[0:1], v[56:57], v[22:23]
	v_mov_b32_e32 v58, s7
	ds_read2_b64 v[58:61], v58 offset1:1
	v_fma_f64 v[22:23], -v[6:7], v[54:55], v[22:23]
	s_waitcnt lgkmcnt(1)
	v_fma_f64 v[22:23], -v[4:5], v[52:53], v[22:23]
	s_add_i32 s7, s8, 0xfffff530
	v_fma_f64 v[22:23], -v[10:11], v[50:51], v[22:23]
	v_mov_b32_e32 v50, s7
	ds_read2_b64 v[50:53], v50 offset1:1
	s_waitcnt lgkmcnt(1)
	v_fma_f64 v[22:23], -v[8:9], v[60:61], v[22:23]
	s_add_i32 s7, s8, 0xfffff520
	v_fma_f64 v[22:23], -v[14:15], v[58:59], v[22:23]
	v_mov_b32_e32 v54, s7
	ds_read2_b64 v[54:57], v54 offset1:1
	;; [unrolled: 6-line block ×3, first 2 shown]
	s_add_i32 s7, s8, 0xfffff488
	v_mov_b32_e32 v58, s7
	ds_read2_b64 v[58:61], v58 offset1:1
	s_add_i32 s7, s8, 0xfffff478
	s_waitcnt lgkmcnt(1)
	v_fma_f64 v[20:21], -v[46:47], v[52:53], v[20:21]
	v_fma_f64 v[20:21], -v[48:49], v[50:51], v[20:21]
	v_mov_b32_e32 v50, s7
	ds_read2_b64 v[50:53], v50 offset1:1
	v_fma_f64 v[22:23], -v[16:17], v[56:57], v[22:23]
	s_waitcnt lgkmcnt(1)
	v_fma_f64 v[20:21], -v[2:3], v[60:61], v[20:21]
	s_add_i32 s7, s8, 0xfffff468
	v_mul_f64 v[22:23], v[54:55], v[22:23]
	v_fma_f64 v[20:21], -v[0:1], v[58:59], v[20:21]
	v_mov_b32_e32 v54, s7
	ds_read2_b64 v[54:57], v54 offset1:1
	s_waitcnt lgkmcnt(1)
	v_fma_f64 v[20:21], -v[6:7], v[52:53], v[20:21]
	s_add_i32 s7, s8, 0xfffff458
	v_fma_f64 v[20:21], -v[4:5], v[50:51], v[20:21]
	v_mov_b32_e32 v50, s7
	ds_read2_b64 v[50:53], v50 offset1:1
	s_add_i32 s7, s8, 0xfffff448
	s_waitcnt lgkmcnt(1)
	v_fma_f64 v[20:21], -v[10:11], v[56:57], v[20:21]
	v_mov_b32_e32 v58, s7
	ds_read2_b64 v[58:61], v58 offset1:1
	v_fma_f64 v[20:21], -v[8:9], v[54:55], v[20:21]
	s_waitcnt lgkmcnt(1)
	v_fma_f64 v[20:21], -v[14:15], v[52:53], v[20:21]
	s_add_i32 s7, s8, 0xfffff438
	v_fma_f64 v[20:21], -v[12:13], v[50:51], v[20:21]
	v_mov_b32_e32 v50, s7
	ds_read2_b64 v[50:53], v50 offset1:1
	s_waitcnt lgkmcnt(1)
	v_fma_f64 v[20:21], -v[18:19], v[60:61], v[20:21]
	s_add_i32 s7, s8, 0xfffff3c0
	v_fma_f64 v[20:21], -v[16:17], v[58:59], v[20:21]
	v_mov_b32_e32 v54, s7
	ds_read_b64 v[58:59], v54
	s_waitcnt lgkmcnt(1)
	v_fma_f64 v[20:21], -v[22:23], v[52:53], v[20:21]
	s_add_i32 s7, s8, 0xfffff3b0
	v_mul_f64 v[20:21], v[50:51], v[20:21]
	v_mov_b32_e32 v50, s7
	ds_read2_b64 v[50:53], v50 offset1:1
	s_add_i32 s7, s8, 0xfffff3a0
	v_mov_b32_e32 v54, s7
	ds_read2_b64 v[54:57], v54 offset1:1
	s_waitcnt lgkmcnt(2)
	v_fma_f64 v[26:27], -v[46:47], v[58:59], v[26:27]
	s_waitcnt lgkmcnt(1)
	v_fma_f64 v[26:27], -v[48:49], v[52:53], v[26:27]
	s_add_i32 s7, s8, 0xfffff390
	v_fma_f64 v[26:27], -v[2:3], v[50:51], v[26:27]
	v_mov_b32_e32 v50, s7
	ds_read2_b64 v[50:53], v50 offset1:1
	s_waitcnt lgkmcnt(1)
	v_fma_f64 v[26:27], -v[0:1], v[56:57], v[26:27]
	s_add_i32 s7, s8, 0xfffff380
	v_fma_f64 v[26:27], -v[6:7], v[54:55], v[26:27]
	v_mov_b32_e32 v54, s7
	ds_read2_b64 v[54:57], v54 offset1:1
	;; [unrolled: 6-line block ×3, first 2 shown]
	s_add_i32 s7, s8, 0xfffff360
	s_waitcnt lgkmcnt(1)
	v_fma_f64 v[26:27], -v[8:9], v[56:57], v[26:27]
	v_mov_b32_e32 v58, s7
	ds_read2_b64 v[58:61], v58 offset1:1
	v_fma_f64 v[26:27], -v[14:15], v[54:55], v[26:27]
	s_waitcnt lgkmcnt(1)
	v_fma_f64 v[26:27], -v[12:13], v[52:53], v[26:27]
	s_add_i32 s7, s8, 0xfffff350
	v_fma_f64 v[26:27], -v[18:19], v[50:51], v[26:27]
	v_mov_b32_e32 v50, s7
	ds_read2_b64 v[50:53], v50 offset1:1
	s_waitcnt lgkmcnt(1)
	v_fma_f64 v[26:27], -v[16:17], v[60:61], v[26:27]
	s_add_i32 s7, s8, 0xfffff2d8
	v_fma_f64 v[26:27], -v[22:23], v[58:59], v[26:27]
	v_mov_b32_e32 v54, s7
	ds_read2_b64 v[54:57], v54 offset1:1
	s_waitcnt lgkmcnt(1)
	v_fma_f64 v[26:27], -v[20:21], v[52:53], v[26:27]
	s_add_i32 s7, s8, 0xfffff2c8
	v_mul_f64 v[26:27], v[50:51], v[26:27]
	v_mov_b32_e32 v50, s7
	ds_read2_b64 v[50:53], v50 offset1:1
	s_add_i32 s7, s8, 0xfffff2b8
	s_waitcnt lgkmcnt(1)
	v_fma_f64 v[24:25], -v[46:47], v[56:57], v[24:25]
	v_mov_b32_e32 v58, s7
	ds_read2_b64 v[58:61], v58 offset1:1
	v_fma_f64 v[24:25], -v[48:49], v[54:55], v[24:25]
	s_waitcnt lgkmcnt(1)
	v_fma_f64 v[24:25], -v[2:3], v[52:53], v[24:25]
	s_add_i32 s7, s8, 0xfffff2a8
	v_fma_f64 v[24:25], -v[0:1], v[50:51], v[24:25]
	v_mov_b32_e32 v50, s7
	ds_read2_b64 v[50:53], v50 offset1:1
	s_waitcnt lgkmcnt(1)
	v_fma_f64 v[24:25], -v[6:7], v[60:61], v[24:25]
	s_add_i32 s7, s8, 0xfffff298
	v_fma_f64 v[24:25], -v[4:5], v[58:59], v[24:25]
	v_mov_b32_e32 v54, s7
	ds_read2_b64 v[54:57], v54 offset1:1
	;; [unrolled: 6-line block ×3, first 2 shown]
	s_add_i32 s7, s8, 0xfffff278
	s_waitcnt lgkmcnt(1)
	v_fma_f64 v[24:25], -v[14:15], v[56:57], v[24:25]
	v_mov_b32_e32 v58, s7
	ds_read2_b64 v[58:61], v58 offset1:1
	v_fma_f64 v[24:25], -v[12:13], v[54:55], v[24:25]
	s_waitcnt lgkmcnt(1)
	v_fma_f64 v[24:25], -v[18:19], v[52:53], v[24:25]
	s_add_i32 s7, s8, 0xfffff268
	v_fma_f64 v[24:25], -v[16:17], v[50:51], v[24:25]
	v_mov_b32_e32 v50, s7
	ds_read2_b64 v[50:53], v50 offset1:1
	s_waitcnt lgkmcnt(1)
	v_fma_f64 v[24:25], -v[22:23], v[60:61], v[24:25]
	s_add_i32 s7, s8, 0xfffff200
	v_fma_f64 v[24:25], -v[20:21], v[58:59], v[24:25]
	v_mov_b32_e32 v54, s7
	ds_read_b64 v[54:55], v54
	s_waitcnt lgkmcnt(1)
	v_fma_f64 v[24:25], -v[26:27], v[52:53], v[24:25]
	s_add_i32 s7, s8, 0xfffff1f0
	v_mul_f64 v[24:25], v[50:51], v[24:25]
	v_mov_b32_e32 v50, s7
	ds_read2_b64 v[50:53], v50 offset1:1
	s_add_i32 s7, s8, 0xfffff1e0
	s_waitcnt lgkmcnt(1)
	v_fma_f64 v[30:31], -v[46:47], v[54:55], v[30:31]
	v_mov_b32_e32 v54, s7
	ds_read2_b64 v[54:57], v54 offset1:1
	s_waitcnt lgkmcnt(1)
	v_fma_f64 v[30:31], -v[48:49], v[52:53], v[30:31]
	s_add_i32 s7, s8, 0xfffff1d0
	v_fma_f64 v[30:31], -v[2:3], v[50:51], v[30:31]
	v_mov_b32_e32 v50, s7
	ds_read2_b64 v[50:53], v50 offset1:1
	s_add_i32 s7, s8, 0xfffff1c0
	s_waitcnt lgkmcnt(1)
	v_fma_f64 v[30:31], -v[0:1], v[56:57], v[30:31]
	v_mov_b32_e32 v58, s7
	ds_read2_b64 v[58:61], v58 offset1:1
	v_fma_f64 v[30:31], -v[6:7], v[54:55], v[30:31]
	s_waitcnt lgkmcnt(1)
	v_fma_f64 v[30:31], -v[4:5], v[52:53], v[30:31]
	s_add_i32 s7, s8, 0xfffff1b0
	v_fma_f64 v[30:31], -v[10:11], v[50:51], v[30:31]
	v_mov_b32_e32 v50, s7
	ds_read2_b64 v[50:53], v50 offset1:1
	s_waitcnt lgkmcnt(1)
	v_fma_f64 v[30:31], -v[8:9], v[60:61], v[30:31]
	s_add_i32 s7, s8, 0xfffff1a0
	v_fma_f64 v[30:31], -v[14:15], v[58:59], v[30:31]
	v_mov_b32_e32 v54, s7
	ds_read2_b64 v[54:57], v54 offset1:1
	;; [unrolled: 6-line block ×3, first 2 shown]
	s_add_i32 s7, s8, 0xfffff180
	s_waitcnt lgkmcnt(1)
	v_fma_f64 v[30:31], -v[16:17], v[56:57], v[30:31]
	v_mov_b32_e32 v58, s7
	ds_read2_b64 v[58:61], v58 offset1:1
	v_fma_f64 v[30:31], -v[22:23], v[54:55], v[30:31]
	s_waitcnt lgkmcnt(1)
	v_fma_f64 v[30:31], -v[20:21], v[52:53], v[30:31]
	s_add_i32 s7, s8, 0xfffff118
	v_fma_f64 v[30:31], -v[26:27], v[50:51], v[30:31]
	v_mov_b32_e32 v50, s7
	ds_read2_b64 v[50:53], v50 offset1:1
	s_add_i32 s7, s8, 0xfffff108
	v_mov_b32_e32 v54, s7
	ds_read2_b64 v[54:57], v54 offset1:1
	s_add_i32 s7, s8, 0xfffff0f8
	s_waitcnt lgkmcnt(1)
	v_fma_f64 v[28:29], -v[46:47], v[52:53], v[28:29]
	v_fma_f64 v[28:29], -v[48:49], v[50:51], v[28:29]
	v_mov_b32_e32 v50, s7
	ds_read2_b64 v[50:53], v50 offset1:1
	v_fma_f64 v[30:31], -v[24:25], v[60:61], v[30:31]
	s_add_i32 s7, s8, 0xfffff0e8
	s_waitcnt lgkmcnt(1)
	v_fma_f64 v[28:29], -v[2:3], v[56:57], v[28:29]
	v_mul_f64 v[30:31], v[58:59], v[30:31]
	v_mov_b32_e32 v58, s7
	ds_read2_b64 v[58:61], v58 offset1:1
	v_fma_f64 v[28:29], -v[0:1], v[54:55], v[28:29]
	s_waitcnt lgkmcnt(1)
	v_fma_f64 v[28:29], -v[6:7], v[52:53], v[28:29]
	s_add_i32 s7, s8, 0xfffff0d8
	v_fma_f64 v[28:29], -v[4:5], v[50:51], v[28:29]
	v_mov_b32_e32 v50, s7
	ds_read2_b64 v[50:53], v50 offset1:1
	s_waitcnt lgkmcnt(1)
	v_fma_f64 v[28:29], -v[10:11], v[60:61], v[28:29]
	s_add_i32 s7, s8, 0xfffff0c8
	v_fma_f64 v[28:29], -v[8:9], v[58:59], v[28:29]
	v_mov_b32_e32 v54, s7
	ds_read2_b64 v[54:57], v54 offset1:1
	;; [unrolled: 6-line block ×3, first 2 shown]
	s_add_i32 s7, s8, 0xfffff0a8
	s_waitcnt lgkmcnt(1)
	v_fma_f64 v[28:29], -v[18:19], v[56:57], v[28:29]
	v_mov_b32_e32 v58, s7
	ds_read2_b64 v[58:61], v58 offset1:1
	v_fma_f64 v[28:29], -v[16:17], v[54:55], v[28:29]
	s_waitcnt lgkmcnt(1)
	v_fma_f64 v[28:29], -v[22:23], v[52:53], v[28:29]
	s_add_i32 s7, s8, 0xfffff098
	v_fma_f64 v[28:29], -v[20:21], v[50:51], v[28:29]
	v_mov_b32_e32 v50, s7
	ds_read2_b64 v[50:53], v50 offset1:1
	s_waitcnt lgkmcnt(1)
	v_fma_f64 v[28:29], -v[26:27], v[60:61], v[28:29]
	s_add_i32 s7, s8, 0xfffff040
	v_fma_f64 v[28:29], -v[24:25], v[58:59], v[28:29]
	v_mov_b32_e32 v54, s7
	ds_read_b64 v[58:59], v54
	s_waitcnt lgkmcnt(1)
	v_fma_f64 v[28:29], -v[30:31], v[52:53], v[28:29]
	s_add_i32 s7, s8, 0xfffff030
	v_mul_f64 v[28:29], v[50:51], v[28:29]
	v_mov_b32_e32 v50, s7
	ds_read2_b64 v[50:53], v50 offset1:1
	s_add_i32 s7, s8, 0xfffff020
	v_mov_b32_e32 v54, s7
	ds_read2_b64 v[54:57], v54 offset1:1
	s_waitcnt lgkmcnt(2)
	v_fma_f64 v[34:35], -v[46:47], v[58:59], v[34:35]
	s_waitcnt lgkmcnt(1)
	v_fma_f64 v[34:35], -v[48:49], v[52:53], v[34:35]
	s_add_i32 s7, s8, 0xfffff010
	v_fma_f64 v[34:35], -v[2:3], v[50:51], v[34:35]
	v_mov_b32_e32 v50, s7
	ds_read2_b64 v[50:53], v50 offset1:1
	s_waitcnt lgkmcnt(1)
	v_fma_f64 v[34:35], -v[0:1], v[56:57], v[34:35]
	s_add_i32 s7, s8, 0xfffff000
	v_fma_f64 v[34:35], -v[6:7], v[54:55], v[34:35]
	v_mov_b32_e32 v54, s7
	ds_read2_b64 v[54:57], v54 offset1:1
	;; [unrolled: 6-line block ×3, first 2 shown]
	s_add_i32 s7, s8, 0xffffefe0
	s_waitcnt lgkmcnt(1)
	v_fma_f64 v[34:35], -v[8:9], v[56:57], v[34:35]
	v_mov_b32_e32 v58, s7
	ds_read2_b64 v[58:61], v58 offset1:1
	v_fma_f64 v[34:35], -v[14:15], v[54:55], v[34:35]
	s_waitcnt lgkmcnt(1)
	v_fma_f64 v[34:35], -v[12:13], v[52:53], v[34:35]
	s_add_i32 s7, s8, 0xffffefd0
	v_fma_f64 v[34:35], -v[18:19], v[50:51], v[34:35]
	v_mov_b32_e32 v50, s7
	ds_read2_b64 v[50:53], v50 offset1:1
	s_waitcnt lgkmcnt(1)
	v_fma_f64 v[34:35], -v[16:17], v[60:61], v[34:35]
	s_add_i32 s7, s8, 0xffffefc0
	v_fma_f64 v[34:35], -v[22:23], v[58:59], v[34:35]
	v_mov_b32_e32 v54, s7
	ds_read2_b64 v[54:57], v54 offset1:1
	;; [unrolled: 6-line block ×3, first 2 shown]
	s_add_i32 s7, s8, 0xffffef58
	s_waitcnt lgkmcnt(1)
	v_fma_f64 v[34:35], -v[24:25], v[56:57], v[34:35]
	v_mov_b32_e32 v58, s7
	ds_read2_b64 v[58:61], v58 offset1:1
	v_fma_f64 v[34:35], -v[30:31], v[54:55], v[34:35]
	s_waitcnt lgkmcnt(1)
	v_fma_f64 v[34:35], -v[28:29], v[52:53], v[34:35]
	s_add_i32 s7, s8, 0xffffef48
	v_mul_f64 v[34:35], v[50:51], v[34:35]
	v_mov_b32_e32 v50, s7
	ds_read2_b64 v[50:53], v50 offset1:1
	s_waitcnt lgkmcnt(1)
	v_fma_f64 v[32:33], -v[46:47], v[60:61], v[32:33]
	s_add_i32 s7, s8, 0xffffef38
	v_fma_f64 v[32:33], -v[48:49], v[58:59], v[32:33]
	v_mov_b32_e32 v54, s7
	ds_read2_b64 v[54:57], v54 offset1:1
	s_waitcnt lgkmcnt(1)
	v_fma_f64 v[32:33], -v[2:3], v[52:53], v[32:33]
	s_add_i32 s7, s8, 0xffffef28
	v_fma_f64 v[32:33], -v[0:1], v[50:51], v[32:33]
	v_mov_b32_e32 v50, s7
	ds_read2_b64 v[50:53], v50 offset1:1
	s_add_i32 s7, s8, 0xffffef18
	s_waitcnt lgkmcnt(1)
	v_fma_f64 v[32:33], -v[6:7], v[56:57], v[32:33]
	v_mov_b32_e32 v58, s7
	ds_read2_b64 v[58:61], v58 offset1:1
	v_fma_f64 v[32:33], -v[4:5], v[54:55], v[32:33]
	s_waitcnt lgkmcnt(1)
	v_fma_f64 v[32:33], -v[10:11], v[52:53], v[32:33]
	s_add_i32 s7, s8, 0xffffef08
	v_fma_f64 v[32:33], -v[8:9], v[50:51], v[32:33]
	v_mov_b32_e32 v50, s7
	ds_read2_b64 v[50:53], v50 offset1:1
	s_waitcnt lgkmcnt(1)
	v_fma_f64 v[32:33], -v[14:15], v[60:61], v[32:33]
	s_add_i32 s7, s8, 0xffffeef8
	v_fma_f64 v[32:33], -v[12:13], v[58:59], v[32:33]
	v_mov_b32_e32 v54, s7
	ds_read2_b64 v[54:57], v54 offset1:1
	;; [unrolled: 6-line block ×3, first 2 shown]
	s_add_i32 s7, s8, 0xffffeed8
	s_waitcnt lgkmcnt(1)
	v_fma_f64 v[32:33], -v[22:23], v[56:57], v[32:33]
	v_mov_b32_e32 v58, s7
	ds_read2_b64 v[58:61], v58 offset1:1
	v_fma_f64 v[32:33], -v[20:21], v[54:55], v[32:33]
	s_waitcnt lgkmcnt(1)
	v_fma_f64 v[32:33], -v[26:27], v[52:53], v[32:33]
	s_add_i32 s7, s8, 0xffffeec8
	v_fma_f64 v[32:33], -v[24:25], v[50:51], v[32:33]
	v_mov_b32_e32 v50, s7
	ds_read2_b64 v[50:53], v50 offset1:1
	s_waitcnt lgkmcnt(1)
	v_fma_f64 v[32:33], -v[30:31], v[60:61], v[32:33]
	s_add_i32 s7, s8, 0xffffee80
	v_fma_f64 v[32:33], -v[28:29], v[58:59], v[32:33]
	v_mov_b32_e32 v54, s7
	ds_read_b64 v[54:55], v54
	s_waitcnt lgkmcnt(1)
	v_fma_f64 v[32:33], -v[34:35], v[52:53], v[32:33]
	s_add_i32 s7, s8, 0xffffee70
	v_mul_f64 v[32:33], v[50:51], v[32:33]
	v_mov_b32_e32 v50, s7
	ds_read2_b64 v[50:53], v50 offset1:1
	s_add_i32 s7, s8, 0xffffee60
	s_waitcnt lgkmcnt(1)
	v_fma_f64 v[38:39], -v[46:47], v[54:55], v[38:39]
	v_mov_b32_e32 v54, s7
	ds_read2_b64 v[54:57], v54 offset1:1
	s_waitcnt lgkmcnt(1)
	v_fma_f64 v[38:39], -v[48:49], v[52:53], v[38:39]
	s_add_i32 s7, s8, 0xffffee50
	v_fma_f64 v[38:39], -v[2:3], v[50:51], v[38:39]
	v_mov_b32_e32 v50, s7
	ds_read2_b64 v[50:53], v50 offset1:1
	s_add_i32 s7, s8, 0xffffee40
	s_waitcnt lgkmcnt(1)
	v_fma_f64 v[38:39], -v[0:1], v[56:57], v[38:39]
	v_mov_b32_e32 v58, s7
	ds_read2_b64 v[58:61], v58 offset1:1
	v_fma_f64 v[38:39], -v[6:7], v[54:55], v[38:39]
	s_waitcnt lgkmcnt(1)
	v_fma_f64 v[38:39], -v[4:5], v[52:53], v[38:39]
	s_add_i32 s7, s8, 0xffffee30
	v_fma_f64 v[38:39], -v[10:11], v[50:51], v[38:39]
	v_mov_b32_e32 v50, s7
	ds_read2_b64 v[50:53], v50 offset1:1
	s_waitcnt lgkmcnt(1)
	v_fma_f64 v[38:39], -v[8:9], v[60:61], v[38:39]
	s_add_i32 s7, s8, 0xffffee20
	v_fma_f64 v[38:39], -v[14:15], v[58:59], v[38:39]
	v_mov_b32_e32 v54, s7
	ds_read2_b64 v[54:57], v54 offset1:1
	;; [unrolled: 6-line block ×3, first 2 shown]
	s_add_i32 s7, s8, 0xffffee00
	s_waitcnt lgkmcnt(1)
	v_fma_f64 v[38:39], -v[16:17], v[56:57], v[38:39]
	v_mov_b32_e32 v58, s7
	ds_read2_b64 v[58:61], v58 offset1:1
	v_fma_f64 v[38:39], -v[22:23], v[54:55], v[38:39]
	s_waitcnt lgkmcnt(1)
	v_fma_f64 v[38:39], -v[20:21], v[52:53], v[38:39]
	s_add_i32 s7, s8, 0xffffedf0
	v_fma_f64 v[38:39], -v[26:27], v[50:51], v[38:39]
	v_mov_b32_e32 v50, s7
	ds_read2_b64 v[50:53], v50 offset1:1
	s_waitcnt lgkmcnt(1)
	v_fma_f64 v[38:39], -v[24:25], v[60:61], v[38:39]
	s_add_i32 s7, s8, 0xffffede0
	v_fma_f64 v[38:39], -v[30:31], v[58:59], v[38:39]
	v_mov_b32_e32 v54, s7
	ds_read2_b64 v[54:57], v54 offset1:1
	;; [unrolled: 6-line block ×3, first 2 shown]
	s_add_i32 s7, s8, 0xffffed88
	v_mov_b32_e32 v58, s7
	ds_read2_b64 v[58:61], v58 offset1:1
	s_add_i32 s7, s8, 0xffffed78
	s_waitcnt lgkmcnt(1)
	v_fma_f64 v[36:37], -v[46:47], v[52:53], v[36:37]
	v_fma_f64 v[36:37], -v[48:49], v[50:51], v[36:37]
	v_mov_b32_e32 v50, s7
	ds_read2_b64 v[50:53], v50 offset1:1
	v_fma_f64 v[38:39], -v[32:33], v[56:57], v[38:39]
	s_waitcnt lgkmcnt(1)
	v_fma_f64 v[36:37], -v[2:3], v[60:61], v[36:37]
	s_add_i32 s7, s8, 0xffffed68
	v_mul_f64 v[38:39], v[54:55], v[38:39]
	v_fma_f64 v[36:37], -v[0:1], v[58:59], v[36:37]
	v_mov_b32_e32 v54, s7
	ds_read2_b64 v[54:57], v54 offset1:1
	s_waitcnt lgkmcnt(1)
	v_fma_f64 v[36:37], -v[6:7], v[52:53], v[36:37]
	s_add_i32 s7, s8, 0xffffed58
	v_fma_f64 v[36:37], -v[4:5], v[50:51], v[36:37]
	v_mov_b32_e32 v50, s7
	ds_read2_b64 v[50:53], v50 offset1:1
	s_add_i32 s7, s8, 0xffffed48
	s_waitcnt lgkmcnt(1)
	v_fma_f64 v[36:37], -v[10:11], v[56:57], v[36:37]
	v_mov_b32_e32 v58, s7
	ds_read2_b64 v[58:61], v58 offset1:1
	v_fma_f64 v[36:37], -v[8:9], v[54:55], v[36:37]
	s_waitcnt lgkmcnt(1)
	v_fma_f64 v[36:37], -v[14:15], v[52:53], v[36:37]
	s_add_i32 s7, s8, 0xffffed38
	v_fma_f64 v[36:37], -v[12:13], v[50:51], v[36:37]
	v_mov_b32_e32 v50, s7
	ds_read2_b64 v[50:53], v50 offset1:1
	s_waitcnt lgkmcnt(1)
	v_fma_f64 v[36:37], -v[18:19], v[60:61], v[36:37]
	s_add_i32 s7, s8, 0xffffed28
	v_fma_f64 v[36:37], -v[16:17], v[58:59], v[36:37]
	v_mov_b32_e32 v54, s7
	ds_read2_b64 v[54:57], v54 offset1:1
	;; [unrolled: 6-line block ×3, first 2 shown]
	s_add_i32 s7, s8, 0xffffed08
	s_waitcnt lgkmcnt(1)
	v_fma_f64 v[36:37], -v[26:27], v[56:57], v[36:37]
	v_mov_b32_e32 v58, s7
	ds_read2_b64 v[58:61], v58 offset1:1
	v_fma_f64 v[36:37], -v[24:25], v[54:55], v[36:37]
	s_waitcnt lgkmcnt(1)
	v_fma_f64 v[36:37], -v[30:31], v[52:53], v[36:37]
	s_add_i32 s7, s8, 0xffffecf8
	v_fma_f64 v[36:37], -v[28:29], v[50:51], v[36:37]
	v_mov_b32_e32 v50, s7
	ds_read2_b64 v[50:53], v50 offset1:1
	s_waitcnt lgkmcnt(1)
	v_fma_f64 v[36:37], -v[34:35], v[60:61], v[36:37]
	s_add_i32 s7, s8, 0xffffecc0
	v_fma_f64 v[36:37], -v[32:33], v[58:59], v[36:37]
	v_mov_b32_e32 v54, s7
	ds_read_b64 v[54:55], v54
	s_waitcnt lgkmcnt(1)
	v_fma_f64 v[36:37], -v[38:39], v[52:53], v[36:37]
	s_add_i32 s7, s8, 0xffffecb0
	v_mul_f64 v[36:37], v[50:51], v[36:37]
	v_mov_b32_e32 v50, s7
	ds_read2_b64 v[50:53], v50 offset1:1
	s_add_i32 s7, s8, 0xffffeca0
	s_waitcnt lgkmcnt(1)
	v_fma_f64 v[44:45], -v[46:47], v[54:55], v[44:45]
	v_mov_b32_e32 v54, s7
	ds_read2_b64 v[54:57], v54 offset1:1
	s_waitcnt lgkmcnt(1)
	v_fma_f64 v[44:45], -v[48:49], v[52:53], v[44:45]
	s_add_i32 s7, s8, 0xffffec90
	v_fma_f64 v[44:45], -v[2:3], v[50:51], v[44:45]
	v_mov_b32_e32 v50, s7
	ds_read2_b64 v[50:53], v50 offset1:1
	s_add_i32 s7, s8, 0xffffec80
	s_waitcnt lgkmcnt(1)
	v_fma_f64 v[44:45], -v[0:1], v[56:57], v[44:45]
	v_mov_b32_e32 v58, s7
	ds_read2_b64 v[58:61], v58 offset1:1
	v_fma_f64 v[44:45], -v[6:7], v[54:55], v[44:45]
	s_waitcnt lgkmcnt(1)
	v_fma_f64 v[44:45], -v[4:5], v[52:53], v[44:45]
	s_add_i32 s7, s8, 0xffffec70
	v_fma_f64 v[44:45], -v[10:11], v[50:51], v[44:45]
	v_mov_b32_e32 v50, s7
	ds_read2_b64 v[50:53], v50 offset1:1
	s_waitcnt lgkmcnt(1)
	v_fma_f64 v[44:45], -v[8:9], v[60:61], v[44:45]
	s_add_i32 s7, s8, 0xffffec60
	v_fma_f64 v[44:45], -v[14:15], v[58:59], v[44:45]
	v_mov_b32_e32 v54, s7
	ds_read2_b64 v[54:57], v54 offset1:1
	;; [unrolled: 6-line block ×3, first 2 shown]
	s_add_i32 s7, s8, 0xffffec40
	s_waitcnt lgkmcnt(1)
	v_fma_f64 v[44:45], -v[16:17], v[56:57], v[44:45]
	v_mov_b32_e32 v58, s7
	ds_read2_b64 v[58:61], v58 offset1:1
	v_fma_f64 v[44:45], -v[22:23], v[54:55], v[44:45]
	s_waitcnt lgkmcnt(1)
	v_fma_f64 v[44:45], -v[20:21], v[52:53], v[44:45]
	s_add_i32 s7, s8, 0xffffec30
	v_fma_f64 v[44:45], -v[26:27], v[50:51], v[44:45]
	v_mov_b32_e32 v50, s7
	ds_read2_b64 v[50:53], v50 offset1:1
	s_waitcnt lgkmcnt(1)
	v_fma_f64 v[44:45], -v[24:25], v[60:61], v[44:45]
	s_add_i32 s7, s8, 0xffffec20
	v_fma_f64 v[44:45], -v[30:31], v[58:59], v[44:45]
	v_mov_b32_e32 v54, s7
	ds_read2_b64 v[54:57], v54 offset1:1
	s_waitcnt lgkmcnt(1)
	v_fma_f64 v[44:45], -v[28:29], v[52:53], v[44:45]
	s_add_i32 s7, s8, 0xffffec10
	v_fma_f64 v[44:45], -v[34:35], v[50:51], v[44:45]
	v_mov_b32_e32 v50, s7
	s_add_i32 s7, s8, 0xffffebd8
	ds_read2_b64 v[50:53], v50 offset1:1
	v_mov_b32_e32 v58, s7
	ds_read2_b64 v[58:61], v58 offset1:1
	s_waitcnt lgkmcnt(2)
	v_fma_f64 v[44:45], -v[32:33], v[56:57], v[44:45]
	v_fma_f64 v[44:45], -v[38:39], v[54:55], v[44:45]
	s_waitcnt lgkmcnt(1)
	v_fma_f64 v[44:45], -v[36:37], v[52:53], v[44:45]
	s_add_i32 s7, s8, 0xffffebc8
	v_mul_f64 v[50:51], v[50:51], v[44:45]
	v_mov_b32_e32 v44, s7
	s_waitcnt lgkmcnt(0)
	v_fma_f64 v[40:41], -v[46:47], v[60:61], v[40:41]
	ds_read2_b64 v[44:47], v44 offset1:1
	s_add_i32 s7, s8, 0xffffebb8
	v_fma_f64 v[40:41], -v[48:49], v[58:59], v[40:41]
	v_mov_b32_e32 v48, s7
	ds_read2_b64 v[52:55], v48 offset1:1
	s_waitcnt lgkmcnt(1)
	v_fma_f64 v[2:3], -v[2:3], v[46:47], v[40:41]
	s_add_i32 s7, s8, 0xffffeba8
	v_fma_f64 v[40:41], -v[0:1], v[44:45], v[2:3]
	v_mov_b32_e32 v0, s7
	s_add_i32 s7, s8, 0xffffeb98
	ds_read2_b64 v[0:3], v0 offset1:1
	v_mov_b32_e32 v44, s7
	ds_read2_b64 v[44:47], v44 offset1:1
	s_waitcnt lgkmcnt(2)
	v_fma_f64 v[6:7], -v[6:7], v[54:55], v[40:41]
	v_fma_f64 v[4:5], -v[4:5], v[52:53], v[6:7]
	s_waitcnt lgkmcnt(1)
	v_fma_f64 v[2:3], -v[10:11], v[2:3], v[4:5]
	v_fma_f64 v[0:1], -v[8:9], v[0:1], v[2:3]
	s_add_i32 s7, s8, 0xffffeb88
	s_waitcnt lgkmcnt(0)
	v_fma_f64 v[4:5], -v[14:15], v[46:47], v[0:1]
	v_mov_b32_e32 v0, s7
	ds_read2_b64 v[0:3], v0 offset1:1
	s_add_i32 s7, s8, 0xffffeb78
	v_fma_f64 v[8:9], -v[12:13], v[44:45], v[4:5]
	v_mov_b32_e32 v4, s7
	ds_read2_b64 v[4:7], v4 offset1:1
	s_waitcnt lgkmcnt(1)
	v_fma_f64 v[2:3], -v[18:19], v[2:3], v[8:9]
	s_add_i32 s7, s8, 0xffffeb68
	v_fma_f64 v[12:13], -v[16:17], v[0:1], v[2:3]
	v_mov_b32_e32 v0, s7
	s_add_i32 s7, s8, 0xffffeb58
	ds_read2_b64 v[0:3], v0 offset1:1
	v_mov_b32_e32 v8, s7
	ds_read2_b64 v[8:11], v8 offset1:1
	s_waitcnt lgkmcnt(2)
	v_fma_f64 v[6:7], -v[22:23], v[6:7], v[12:13]
	v_fma_f64 v[4:5], -v[20:21], v[4:5], v[6:7]
	s_waitcnt lgkmcnt(1)
	v_fma_f64 v[2:3], -v[26:27], v[2:3], v[4:5]
	v_fma_f64 v[0:1], -v[24:25], v[0:1], v[2:3]
	s_waitcnt lgkmcnt(0)
	v_fma_f64 v[0:1], -v[30:31], v[10:11], v[0:1]
	s_add_i32 s7, s8, 0xffffeb48
	v_fma_f64 v[12:13], -v[28:29], v[8:9], v[0:1]
	v_mov_b32_e32 v0, s7
	s_add_i32 s7, s8, 0xffffeb38
	global_store_dwordx4 v[42:43], v[16:19], off offset:-88
	global_store_dwordx4 v[42:43], v[20:23], off offset:-104
	;; [unrolled: 1-line block ×6, first 2 shown]
	v_mov_b32_e32 v4, s7
	ds_read2_b64 v[0:3], v0 offset1:1
	ds_read2_b64 v[4:7], v4 offset1:1
	s_add_i32 s7, s8, 0xffffeb28
	v_mov_b32_e32 v8, s7
	ds_read2_b64 v[8:11], v8 offset1:1
	s_waitcnt lgkmcnt(2)
	v_fma_f64 v[2:3], -v[34:35], v[2:3], v[12:13]
	v_fma_f64 v[0:1], -v[32:33], v[0:1], v[2:3]
	s_waitcnt lgkmcnt(1)
	v_fma_f64 v[0:1], -v[38:39], v[6:7], v[0:1]
	v_fma_f64 v[0:1], -v[36:37], v[4:5], v[0:1]
	s_waitcnt lgkmcnt(0)
	v_fma_f64 v[0:1], -v[50:51], v[10:11], v[0:1]
	v_mul_f64 v[48:49], v[8:9], v[0:1]
	s_sub_i32 s6, s6, 24
	global_store_dwordx4 v[42:43], v[48:51], off offset:-184
.LBB100_20:
	s_cmp_lt_i32 s6, 0
	s_cbranch_scc1 .LBB100_33
; %bb.21:
	s_bitcmp1_b32 s6, 0
	s_cselect_b64 s[8:9], -1, 0
	s_and_b64 vcc, exec, s[8:9]
	s_mov_b32 s8, s6
	s_cbranch_vccnz .LBB100_26
; %bb.22:
	s_mov_b32 s7, 0
	s_lshl_b64 s[8:9], s[6:7], 3
	v_mov_b32_e32 v1, s9
	v_add_co_u32_e32 v0, vcc, s8, v148
	v_addc_co_u32_e32 v1, vcc, v149, v1, vcc
	global_load_dwordx2 v[2:3], v[0:1], off
	s_cmp_le_i32 s18, s6
	s_waitcnt vmcnt(0)
	v_mul_f64 v[2:3], v[2:3], s[0:1]
	s_cbranch_scc1 .LBB100_25
; %bb.23:
	s_mul_i32 s7, s6, 0xe0
	s_lshl_b32 s8, s16, 3
	s_add_i32 s7, s7, s8
	s_ashr_i32 s19, s18, 31
	s_add_i32 s7, s7, -8
	s_lshl_b64 s[8:9], s[18:19], 3
	s_add_u32 s8, s10, s8
	s_addc_u32 s9, s11, s9
	s_add_u32 s8, s8, s4
	s_addc_u32 s9, s9, s5
	;; [unrolled: 2-line block ×3, first 2 shown]
	v_mov_b32_e32 v5, s9
	v_add_co_u32_e32 v4, vcc, s8, v150
	v_addc_co_u32_e32 v5, vcc, v5, v151, vcc
	s_mov_b32 s8, s18
.LBB100_24:                             ; =>This Inner Loop Header: Depth=1
	global_load_dwordx2 v[6:7], v[4:5], off
	v_mov_b32_e32 v8, s7
	ds_read_b64 v[8:9], v8
	s_add_i32 s8, s8, -1
	s_add_i32 s7, s7, -8
	v_add_co_u32_e32 v4, vcc, -8, v4
	v_addc_co_u32_e32 v5, vcc, -1, v5, vcc
	s_cmp_gt_i32 s8, s6
	s_waitcnt vmcnt(0) lgkmcnt(0)
	v_fma_f64 v[2:3], -v[6:7], v[8:9], v[2:3]
	s_cbranch_scc1 .LBB100_24
.LBB100_25:
	s_mul_i32 s7, s6, 0xe8
	v_mov_b32_e32 v4, s7
	ds_read_b64 v[4:5], v4
	s_add_i32 s8, s6, -1
	s_waitcnt lgkmcnt(0)
	v_mul_f64 v[2:3], v[4:5], v[2:3]
	global_store_dwordx2 v[0:1], v[2:3], off
.LBB100_26:
	s_cmp_eq_u32 s6, 0
	s_mov_b32 s9, 0
	s_cbranch_scc1 .LBB100_33
; %bb.27:
	s_mul_i32 s6, s8, 0xe0
	s_lshl_b32 s7, s16, 3
	s_add_i32 s7, s6, s7
	s_ashr_i32 s19, s18, 31
	s_add_i32 s6, s7, -8
	s_lshl_b64 s[12:13], s[18:19], 3
	s_add_u32 s12, s10, s12
	s_addc_u32 s13, s11, s13
	s_add_u32 s12, s12, s4
	s_addc_u32 s13, s13, s5
	;; [unrolled: 2-line block ×3, first 2 shown]
	v_mov_b32_e32 v1, s13
	v_add_co_u32_e32 v0, vcc, s12, v150
	v_addc_co_u32_e32 v1, vcc, v1, v151, vcc
	s_addk_i32 s7, 0xff18
	s_branch .LBB100_29
.LBB100_28:                             ;   in Loop: Header=BB100_29 Depth=1
	s_addk_i32 s12, 0xff18
	v_mov_b32_e32 v6, s12
	ds_read_b64 v[6:7], v6
	s_add_i32 s12, s8, -2
	s_addk_i32 s6, 0xfe40
	s_addk_i32 s7, 0xfe40
	s_cmp_lt_i32 s8, 2
	s_waitcnt lgkmcnt(0)
	v_mul_f64 v[2:3], v[6:7], v[2:3]
	s_mov_b32 s8, s12
	global_store_dwordx2 v[4:5], v[2:3], off offset:-8
	s_cbranch_scc1 .LBB100_33
.LBB100_29:                             ; =>This Loop Header: Depth=1
                                        ;     Child Loop BB100_30 Depth 2
                                        ;     Child Loop BB100_32 Depth 2
	s_lshl_b64 s[12:13], s[8:9], 3
	v_mov_b32_e32 v3, s13
	v_add_co_u32_e32 v2, vcc, s12, v148
	v_addc_co_u32_e32 v3, vcc, v149, v3, vcc
	global_load_dwordx2 v[2:3], v[2:3], off
	v_pk_mov_b32 v[4:5], v[0:1], v[0:1] op_sel:[0,1]
	s_mov_b32 s12, s6
	s_cmp_le_i32 s18, s8
	s_mov_b32 s13, s18
	s_waitcnt vmcnt(0)
	v_mul_f64 v[2:3], v[2:3], s[0:1]
	s_cbranch_scc1 .LBB100_31
.LBB100_30:                             ;   Parent Loop BB100_29 Depth=1
                                        ; =>  This Inner Loop Header: Depth=2
	global_load_dwordx2 v[6:7], v[4:5], off
	v_mov_b32_e32 v8, s12
	ds_read_b64 v[8:9], v8
	s_add_i32 s13, s13, -1
	s_add_i32 s12, s12, -8
	v_add_co_u32_e32 v4, vcc, -8, v4
	v_addc_co_u32_e32 v5, vcc, -1, v5, vcc
	s_cmp_gt_i32 s13, s8
	s_waitcnt vmcnt(0) lgkmcnt(0)
	v_fma_f64 v[2:3], -v[6:7], v[8:9], v[2:3]
	s_cbranch_scc1 .LBB100_30
.LBB100_31:                             ;   in Loop: Header=BB100_29 Depth=1
	s_add_i32 s12, s8, -1
	s_mov_b32 s13, s9
	s_lshl_b64 s[12:13], s[12:13], 3
	v_mov_b32_e32 v5, s13
	v_add_co_u32_e32 v4, vcc, s12, v148
	v_addc_co_u32_e32 v5, vcc, v149, v5, vcc
	global_load_dwordx2 v[8:9], v[4:5], off
	s_mul_i32 s12, s8, 0xe8
	v_mov_b32_e32 v4, s12
	ds_read_b64 v[10:11], v4
	s_ashr_i32 s21, s8, 31
	s_mov_b32 s20, s8
	s_lshl_b64 s[20:21], s[20:21], 3
	v_mov_b32_e32 v5, s21
	v_add_co_u32_e32 v4, vcc, s20, v148
	v_addc_co_u32_e32 v5, vcc, v149, v5, vcc
	s_waitcnt lgkmcnt(0)
	v_mul_f64 v[2:3], v[10:11], v[2:3]
	v_pk_mov_b32 v[6:7], v[0:1], v[0:1] op_sel:[0,1]
	s_mov_b32 s13, s7
	s_cmp_lt_i32 s18, s8
	global_store_dwordx2 v[4:5], v[2:3], off
	s_mov_b32 s15, s16
	s_waitcnt vmcnt(1)
	v_mul_f64 v[2:3], v[8:9], s[0:1]
	s_cbranch_scc1 .LBB100_28
.LBB100_32:                             ;   Parent Loop BB100_29 Depth=1
                                        ; =>  This Inner Loop Header: Depth=2
	global_load_dwordx2 v[8:9], v[6:7], off
	v_mov_b32_e32 v10, s13
	ds_read_b64 v[10:11], v10
	s_add_i32 s15, s15, -1
	s_add_i32 s13, s13, -8
	v_add_co_u32_e32 v6, vcc, -8, v6
	v_addc_co_u32_e32 v7, vcc, -1, v7, vcc
	s_cmp_gt_i32 s15, s8
	s_waitcnt vmcnt(0) lgkmcnt(0)
	v_fma_f64 v[2:3], -v[8:9], v[10:11], v[2:3]
	s_cbranch_scc1 .LBB100_32
	s_branch .LBB100_28
.LBB100_33:
	s_mov_b64 s[6:7], 0
.LBB100_34:
	s_and_b64 vcc, exec, s[6:7]
	s_cbranch_vccz .LBB100_54
; %bb.35:
	s_cmp_gt_i32 s14, 27
	s_cselect_b64 s[6:7], -1, 0
	s_mov_b32 s8, 0
	s_and_b64 vcc, exec, s[6:7]
	s_cbranch_vccz .LBB100_37
; %bb.36:
	global_load_dwordx4 v[16:19], v[148:149], off
	global_load_dwordx4 v[132:135], v[148:149], off offset:16
	global_load_dwordx4 v[72:75], v[148:149], off offset:32
	;; [unrolled: 1-line block ×12, first 2 shown]
	v_mov_b32_e32 v158, 0
	ds_read_b128 v[128:131], v158
	ds_read_b128 v[68:71], v158 offset:16
	ds_read2_b64 v[52:55], v158 offset0:29 offset1:30
	ds_read2_b64 v[64:67], v158 offset0:31 offset1:32
	;; [unrolled: 1-line block ×4, first 2 shown]
	ds_read_b128 v[140:143], v158 offset:32
	ds_read_b128 v[144:147], v158 offset:48
	;; [unrolled: 1-line block ×6, first 2 shown]
	ds_read2_b64 v[96:99], v158 offset0:33 offset1:34
	ds_read2_b64 v[104:107], v158 offset0:35 offset1:36
	;; [unrolled: 1-line block ×8, first 2 shown]
	ds_read_b128 v[120:123], v158 offset:64
	ds_read_b128 v[48:51], v158 offset:80
	;; [unrolled: 1-line block ×4, first 2 shown]
	s_movk_i32 s8, 0x800
	s_waitcnt vmcnt(12)
	v_mul_f64 v[16:17], v[16:17], s[0:1]
	s_waitcnt lgkmcnt(14)
	v_mul_f64 v[16:17], v[128:129], v[16:17]
	v_mul_f64 v[152:153], v[16:17], v[130:131]
	;; [unrolled: 1-line block ×4, first 2 shown]
	v_fma_f64 v[18:19], v[18:19], s[0:1], -v[152:153]
	s_waitcnt vmcnt(9)
	v_fma_f64 v[152:153], v[136:137], s[0:1], -v[144:145]
	v_fma_f64 v[144:145], v[138:139], s[0:1], -v[162:163]
	ds_read_b128 v[136:139], v158 offset:464
	v_mul_f64 v[154:155], v[16:17], v[68:69]
	v_mul_f64 v[156:157], v[16:17], v[70:71]
	;; [unrolled: 1-line block ×3, first 2 shown]
	v_fma_f64 v[140:141], v[132:133], s[0:1], -v[154:155]
	v_mul_f64 v[18:19], v[52:53], v[18:19]
	v_mul_f64 v[142:143], v[16:17], v[142:143]
	v_fma_f64 v[154:155], v[134:135], s[0:1], -v[156:157]
	v_fma_f64 v[52:53], -v[18:19], v[54:55], v[140:141]
	v_fma_f64 v[156:157], v[72:73], s[0:1], -v[160:161]
	v_fma_f64 v[146:147], v[74:75], s[0:1], -v[142:143]
	ds_read2_b64 v[140:143], v158 offset0:53 offset1:54
	v_fma_f64 v[54:55], -v[18:19], v[64:65], v[154:155]
	s_waitcnt lgkmcnt(1)
	v_mul_f64 v[52:53], v[136:137], v[52:53]
	v_fma_f64 v[154:155], -v[18:19], v[66:67], v[156:157]
	v_fma_f64 v[54:55], -v[52:53], v[138:139], v[54:55]
	;; [unrolled: 1-line block ×4, first 2 shown]
	v_mul_f64 v[54:55], v[60:61], v[54:55]
	ds_read_b128 v[64:67], v158 offset:1392
	v_fma_f64 v[152:153], -v[18:19], v[98:99], v[152:153]
	ds_read2_b64 v[96:99], v158 offset0:165 offset1:166
	v_fma_f64 v[82:83], -v[52:53], v[82:83], v[146:147]
	v_fma_f64 v[60:61], -v[54:55], v[62:63], v[80:81]
	;; [unrolled: 1-line block ×5, first 2 shown]
	v_mul_f64 v[60:61], v[84:85], v[60:61]
	ds_read_b128 v[128:131], v158 offset:960
	ds_read_b128 v[68:71], v158 offset:976
	v_mul_f64 v[120:121], v[16:17], v[120:121]
	v_fma_f64 v[90:91], -v[52:53], v[90:91], v[104:105]
	v_fma_f64 v[76:77], -v[54:55], v[78:79], v[88:89]
	;; [unrolled: 1-line block ×3, first 2 shown]
	s_waitcnt vmcnt(8)
	v_fma_f64 v[36:37], v[36:37], s[0:1], -v[120:121]
	v_fma_f64 v[78:79], -v[54:55], v[112:113], v[90:91]
	v_fma_f64 v[76:77], -v[60:61], v[92:93], v[76:77]
	v_mul_f64 v[62:63], v[100:101], v[62:63]
	ds_read_b128 v[132:135], v158 offset:1408
	ds_read_b128 v[72:75], v158 offset:1424
	v_fma_f64 v[36:37], -v[18:19], v[106:107], v[36:37]
	v_fma_f64 v[78:79], -v[60:61], v[94:95], v[78:79]
	;; [unrolled: 1-line block ×5, first 2 shown]
	s_waitcnt lgkmcnt(5)
	v_mul_f64 v[64:65], v[64:65], v[76:77]
	v_fma_f64 v[36:37], -v[54:55], v[114:115], v[36:37]
	v_fma_f64 v[66:67], -v[64:65], v[66:67], v[78:79]
	ds_read_b128 v[76:79], v158 offset:1856
	s_waitcnt lgkmcnt(4)
	v_fma_f64 v[36:37], -v[60:61], v[128:129], v[36:37]
	v_fma_f64 v[36:37], -v[62:63], v[110:111], v[36:37]
	ds_read_b128 v[88:91], v158 offset:1872
	ds_read2_b64 v[92:95], v158 offset0:37 offset1:38
	v_mul_f64 v[66:67], v[116:117], v[66:67]
	s_waitcnt lgkmcnt(4)
	v_fma_f64 v[36:37], -v[64:65], v[132:133], v[36:37]
	v_fma_f64 v[36:37], -v[66:67], v[118:119], v[36:37]
	s_waitcnt lgkmcnt(2)
	v_mul_f64 v[36:37], v[76:77], v[36:37]
	v_mul_f64 v[76:77], v[16:17], v[122:123]
	v_fma_f64 v[38:39], v[38:39], s[0:1], -v[76:77]
	ds_read2_b64 v[100:103], v158 offset0:149 offset1:150
	s_waitcnt lgkmcnt(1)
	v_fma_f64 v[38:39], -v[18:19], v[92:93], v[38:39]
	v_fma_f64 v[38:39], -v[52:53], v[126:127], v[38:39]
	;; [unrolled: 1-line block ×4, first 2 shown]
	s_waitcnt lgkmcnt(0)
	v_fma_f64 v[76:77], -v[62:63], v[100:101], v[38:39]
	v_mov_b32_e32 v38, 0x828
	ds_read2_b64 v[38:41], v38 offset1:1
	ds_read_b128 v[104:107], v158 offset:112
	v_fma_f64 v[76:77], -v[64:65], v[134:135], v[76:77]
	v_fma_f64 v[44:45], -v[66:67], v[44:45], v[76:77]
	;; [unrolled: 1-line block ×3, first 2 shown]
	s_waitcnt lgkmcnt(1)
	v_mul_f64 v[38:39], v[38:39], v[44:45]
	v_mul_f64 v[44:45], v[16:17], v[48:49]
	s_waitcnt vmcnt(7)
	v_fma_f64 v[32:33], v[32:33], s[0:1], -v[44:45]
	v_fma_f64 v[32:33], -v[18:19], v[94:95], v[32:33]
	v_fma_f64 v[32:33], -v[52:53], v[56:57], v[32:33]
	;; [unrolled: 1-line block ×5, first 2 shown]
	ds_read_b128 v[42:45], v158 offset:2320
	v_fma_f64 v[32:33], -v[64:65], v[72:73], v[32:33]
	v_fma_f64 v[32:33], -v[66:67], v[46:47], v[32:33]
	ds_read_b128 v[46:49], v158 offset:2336
	ds_read2_b64 v[84:87], v158 offset0:39 offset1:40
	v_fma_f64 v[32:33], -v[36:37], v[88:89], v[32:33]
	v_fma_f64 v[32:33], -v[38:39], v[40:41], v[32:33]
	s_waitcnt lgkmcnt(2)
	v_mul_f64 v[32:33], v[42:43], v[32:33]
	ds_read2_b64 v[40:43], v158 offset0:95 offset1:96
	v_mul_f64 v[50:51], v[16:17], v[50:51]
	ds_read2_b64 v[80:83], v158 offset0:151 offset1:152
	v_fma_f64 v[34:35], v[34:35], s[0:1], -v[50:51]
	s_waitcnt lgkmcnt(2)
	v_fma_f64 v[34:35], -v[18:19], v[84:85], v[34:35]
	v_fma_f64 v[34:35], -v[52:53], v[58:59], v[34:35]
	ds_read2_b64 v[56:59], v158 offset0:97 offset1:98
	ds_read2_b64 v[92:95], v158 offset0:207 offset1:208
	s_waitcnt lgkmcnt(3)
	v_fma_f64 v[34:35], -v[54:55], v[40:41], v[34:35]
	v_fma_f64 v[34:35], -v[60:61], v[70:71], v[34:35]
	ds_read2_b64 v[68:71], v158 offset0:209 offset1:210
	s_waitcnt lgkmcnt(3)
	v_fma_f64 v[34:35], -v[62:63], v[80:81], v[34:35]
	v_fma_f64 v[34:35], -v[64:65], v[74:75], v[34:35]
	s_waitcnt lgkmcnt(1)
	v_fma_f64 v[34:35], -v[66:67], v[92:93], v[34:35]
	v_mov_b32_e32 v40, 0x838
	ds_read2_b64 v[72:75], v40 offset1:1
	v_fma_f64 v[34:35], -v[36:37], v[90:91], v[34:35]
	ds_read_b128 v[88:91], v158 offset:96
	v_mov_b32_e32 v40, 0x9f8
	ds_read2_b64 v[100:103], v40 offset1:1
	ds_read_b128 v[108:111], v158 offset:544
	ds_read_b128 v[76:79], v158 offset:6032
	s_waitcnt lgkmcnt(3)
	v_mul_f64 v[40:41], v[16:17], v[88:89]
	s_waitcnt vmcnt(5)
	v_fma_f64 v[28:29], v[28:29], s[0:1], -v[40:41]
	v_fma_f64 v[28:29], -v[18:19], v[86:87], v[28:29]
	ds_read_b128 v[84:87], v158 offset:560
	ds_read_b128 v[112:115], v158 offset:992
	v_fma_f64 v[34:35], -v[38:39], v[72:73], v[34:35]
	s_waitcnt lgkmcnt(3)
	v_fma_f64 v[28:29], -v[52:53], v[108:109], v[28:29]
	v_fma_f64 v[34:35], -v[32:33], v[44:45], v[34:35]
	;; [unrolled: 1-line block ×3, first 2 shown]
	ds_read_b128 v[116:119], v158 offset:1008
	ds_read_b128 v[42:45], v158 offset:1440
	s_waitcnt lgkmcnt(2)
	v_fma_f64 v[28:29], -v[60:61], v[112:113], v[28:29]
	v_fma_f64 v[28:29], -v[62:63], v[82:83], v[28:29]
	ds_read_b128 v[80:83], v158 offset:1888
	ds_read_b128 v[120:123], v158 offset:1456
	v_mul_f64 v[34:35], v[100:101], v[34:35]
	s_waitcnt lgkmcnt(2)
	v_fma_f64 v[28:29], -v[64:65], v[42:43], v[28:29]
	v_fma_f64 v[28:29], -v[66:67], v[94:95], v[28:29]
	s_waitcnt lgkmcnt(1)
	v_fma_f64 v[28:29], -v[36:37], v[80:81], v[28:29]
	v_fma_f64 v[28:29], -v[38:39], v[74:75], v[28:29]
	;; [unrolled: 1-line block ×3, first 2 shown]
	ds_read_b128 v[92:95], v158 offset:1904
	ds_read_b128 v[72:75], v158 offset:2784
	v_fma_f64 v[28:29], -v[34:35], v[102:103], v[28:29]
	ds_read_b128 v[40:43], v158 offset:2448
	ds_read2_b64 v[100:103], v158 offset0:41 offset1:42
	v_mul_f64 v[46:47], v[16:17], v[90:91]
	v_fma_f64 v[30:31], v[30:31], s[0:1], -v[46:47]
	ds_read2_b64 v[124:127], v158 offset0:153 offset1:154
	v_mov_b32_e32 v50, 0xa08
	s_waitcnt lgkmcnt(1)
	v_fma_f64 v[30:31], -v[18:19], v[100:101], v[30:31]
	v_fma_f64 v[30:31], -v[52:53], v[110:111], v[30:31]
	;; [unrolled: 1-line block ×4, first 2 shown]
	s_waitcnt lgkmcnt(0)
	v_fma_f64 v[30:31], -v[62:63], v[124:125], v[30:31]
	v_fma_f64 v[30:31], -v[64:65], v[44:45], v[30:31]
	v_mov_b32_e32 v44, 0x848
	ds_read2_b64 v[44:47], v44 offset1:1
	v_fma_f64 v[30:31], -v[66:67], v[68:69], v[30:31]
	v_fma_f64 v[30:31], -v[36:37], v[82:83], v[30:31]
	ds_read2_b64 v[80:83], v50 offset1:1
	v_mul_f64 v[28:29], v[72:73], v[28:29]
	s_waitcnt lgkmcnt(1)
	v_fma_f64 v[30:31], -v[38:39], v[44:45], v[30:31]
	v_fma_f64 v[30:31], -v[32:33], v[48:49], v[30:31]
	v_mov_b32_e32 v44, 0xbc8
	ds_read2_b64 v[88:91], v158 offset0:43 offset1:44
	ds_read2_b64 v[48:51], v44 offset1:1
	s_waitcnt lgkmcnt(2)
	v_fma_f64 v[30:31], -v[34:35], v[80:81], v[30:31]
	v_mov_b32_e32 v44, 0x858
	ds_read2_b64 v[108:111], v158 offset0:155 offset1:156
	v_fma_f64 v[30:31], -v[28:29], v[74:75], v[30:31]
	ds_read2_b64 v[72:75], v44 offset1:1
	v_mul_f64 v[44:45], v[16:17], v[104:105]
	v_fma_f64 v[24:25], v[24:25], s[0:1], -v[44:45]
	v_fma_f64 v[24:25], -v[18:19], v[102:103], v[24:25]
	v_fma_f64 v[24:25], -v[52:53], v[84:85], v[24:25]
	;; [unrolled: 1-line block ×7, first 2 shown]
	ds_read_b128 v[56:59], v158 offset:2352
	v_fma_f64 v[24:25], -v[36:37], v[92:93], v[24:25]
	s_waitcnt lgkmcnt(3)
	v_mul_f64 v[30:31], v[48:49], v[30:31]
	v_fma_f64 v[24:25], -v[38:39], v[46:47], v[24:25]
	ds_read_b128 v[68:71], v158 offset:2368
	ds_read_b128 v[46:49], v158 offset:2800
	s_waitcnt lgkmcnt(2)
	v_fma_f64 v[24:25], -v[32:33], v[56:57], v[24:25]
	v_fma_f64 v[24:25], -v[34:35], v[82:83], v[24:25]
	ds_read_b128 v[80:83], v158 offset:3248
	ds_read_b128 v[100:103], v158 offset:2816
	ds_read2_b64 v[112:115], v158 offset0:211 offset1:212
	s_waitcnt lgkmcnt(3)
	v_fma_f64 v[24:25], -v[28:29], v[46:47], v[24:25]
	v_fma_f64 v[24:25], -v[30:31], v[50:51], v[24:25]
	v_mul_f64 v[50:51], v[16:17], v[106:107]
	ds_read2_b64 v[104:107], v158 offset0:99 offset1:100
	ds_read_b128 v[128:131], v158 offset:576
	v_fma_f64 v[26:27], v[26:27], s[0:1], -v[50:51]
	v_fma_f64 v[26:27], -v[18:19], v[88:89], v[26:27]
	v_fma_f64 v[26:27], -v[52:53], v[86:87], v[26:27]
	ds_read2_b64 v[84:87], v158 offset0:101 offset1:102
	s_waitcnt lgkmcnt(2)
	v_fma_f64 v[26:27], -v[54:55], v[104:105], v[26:27]
	v_fma_f64 v[26:27], -v[60:61], v[118:119], v[26:27]
	;; [unrolled: 1-line block ×5, first 2 shown]
	v_mov_b32_e32 v50, 0xa18
	v_fma_f64 v[26:27], -v[36:37], v[94:95], v[26:27]
	ds_read2_b64 v[92:95], v50 offset1:1
	v_fma_f64 v[26:27], -v[38:39], v[72:73], v[26:27]
	v_fma_f64 v[26:27], -v[32:33], v[58:59], v[26:27]
	ds_read_b128 v[56:59], v158 offset:128
	v_mov_b32_e32 v50, 0xbd8
	ds_read2_b64 v[120:123], v50 offset1:1
	ds_read_b128 v[124:127], v158 offset:144
	s_waitcnt lgkmcnt(3)
	v_fma_f64 v[26:27], -v[34:35], v[92:93], v[26:27]
	v_fma_f64 v[26:27], -v[28:29], v[48:49], v[26:27]
	v_mov_b32_e32 v48, 0xd98
	ds_read2_b64 v[48:51], v48 offset1:1
	v_mul_f64 v[24:25], v[80:81], v[24:25]
	s_waitcnt lgkmcnt(2)
	v_fma_f64 v[26:27], -v[30:31], v[120:121], v[26:27]
	v_fma_f64 v[26:27], -v[24:25], v[82:83], v[26:27]
	v_mov_b32_e32 v72, 0x868
	ds_read2_b64 v[80:83], v72 offset1:1
	s_waitcnt lgkmcnt(1)
	v_mul_f64 v[26:27], v[48:49], v[26:27]
	v_mul_f64 v[48:49], v[16:17], v[56:57]
	s_waitcnt vmcnt(1)
	v_fma_f64 v[20:21], v[20:21], s[0:1], -v[48:49]
	ds_read_b128 v[44:47], v158 offset:2896
	ds_read2_b64 v[116:119], v158 offset0:213 offset1:214
	v_fma_f64 v[20:21], -v[18:19], v[90:91], v[20:21]
	ds_read_b128 v[88:91], v158 offset:592
	ds_read_b128 v[132:135], v158 offset:1024
	v_fma_f64 v[20:21], -v[52:53], v[128:129], v[20:21]
	v_fma_f64 v[20:21], -v[54:55], v[106:107], v[20:21]
	ds_read_b128 v[104:107], v158 offset:1040
	ds_read_b128 v[136:139], v158 offset:1472
	v_mul_f64 v[56:57], v[16:17], v[58:59]
	s_waitcnt lgkmcnt(2)
	v_fma_f64 v[20:21], -v[60:61], v[132:133], v[20:21]
	v_fma_f64 v[20:21], -v[62:63], v[110:111], v[20:21]
	ds_read_b128 v[108:111], v158 offset:1920
	ds_read_b128 v[144:147], v158 offset:1488
	s_waitcnt lgkmcnt(2)
	v_fma_f64 v[20:21], -v[64:65], v[136:137], v[20:21]
	v_fma_f64 v[20:21], -v[66:67], v[114:115], v[20:21]
	ds_read_b128 v[112:115], v158 offset:1936
	s_waitcnt lgkmcnt(2)
	v_fma_f64 v[20:21], -v[36:37], v[108:109], v[20:21]
	v_fma_f64 v[20:21], -v[38:39], v[74:75], v[20:21]
	ds_read_b128 v[72:75], v158 offset:3264
	v_fma_f64 v[20:21], -v[32:33], v[68:69], v[20:21]
	v_fma_f64 v[20:21], -v[34:35], v[94:95], v[20:21]
	;; [unrolled: 1-line block ×4, first 2 shown]
	s_waitcnt lgkmcnt(0)
	v_fma_f64 v[20:21], -v[24:25], v[72:73], v[20:21]
	ds_read_b128 v[92:95], v158 offset:3280
	ds_read_b128 v[120:123], v158 offset:3712
	v_fma_f64 v[20:21], -v[26:27], v[50:51], v[20:21]
	ds_read2_b64 v[48:51], v158 offset0:45 offset1:46
	ds_read_b128 v[152:155], v158 offset:3728
	v_fma_f64 v[22:23], v[22:23], s[0:1], -v[56:57]
	ds_read2_b64 v[56:59], v158 offset0:157 offset1:158
	s_waitcnt lgkmcnt(3)
	v_mul_f64 v[20:21], v[120:121], v[20:21]
	s_waitcnt lgkmcnt(2)
	v_fma_f64 v[22:23], -v[18:19], v[48:49], v[22:23]
	v_fma_f64 v[22:23], -v[52:53], v[130:131], v[22:23]
	v_fma_f64 v[22:23], -v[54:55], v[84:85], v[22:23]
	v_fma_f64 v[22:23], -v[60:61], v[134:135], v[22:23]
	s_waitcnt lgkmcnt(0)
	v_fma_f64 v[22:23], -v[62:63], v[56:57], v[22:23]
	v_fma_f64 v[22:23], -v[64:65], v[138:139], v[22:23]
	v_fma_f64 v[22:23], -v[66:67], v[116:117], v[22:23]
	v_mov_b32_e32 v48, 0xa28
	ds_read2_b64 v[128:131], v158 offset0:47 offset1:48
	v_fma_f64 v[22:23], -v[36:37], v[110:111], v[22:23]
	ds_read2_b64 v[108:111], v48 offset1:1
	v_fma_f64 v[22:23], -v[38:39], v[80:81], v[22:23]
	v_fma_f64 v[22:23], -v[32:33], v[70:71], v[22:23]
	v_mov_b32_e32 v48, 0xbe8
	ds_read2_b64 v[132:135], v158 offset0:159 offset1:160
	ds_read2_b64 v[68:71], v48 offset1:1
	s_waitcnt lgkmcnt(2)
	v_fma_f64 v[22:23], -v[34:35], v[108:109], v[22:23]
	v_mov_b32_e32 v48, 0xda8
	v_fma_f64 v[22:23], -v[28:29], v[102:103], v[22:23]
	ds_read2_b64 v[100:103], v48 offset1:1
	v_mov_b32_e32 v48, 0xf68
	ds_read2_b64 v[136:139], v48 offset1:1
	v_mul_f64 v[48:49], v[16:17], v[124:125]
	v_fma_f64 v[12:13], v[12:13], s[0:1], -v[48:49]
	v_fma_f64 v[12:13], -v[18:19], v[50:51], v[12:13]
	v_fma_f64 v[12:13], -v[52:53], v[88:89], v[12:13]
	;; [unrolled: 1-line block ×5, first 2 shown]
	ds_read_b128 v[48:51], v158 offset:2384
	v_fma_f64 v[12:13], -v[64:65], v[144:145], v[12:13]
	s_waitcnt lgkmcnt(3)
	v_fma_f64 v[22:23], -v[30:31], v[68:69], v[22:23]
	v_fma_f64 v[12:13], -v[66:67], v[118:119], v[12:13]
	;; [unrolled: 1-line block ×4, first 2 shown]
	ds_read_b128 v[56:59], v158 offset:2832
	ds_read_b128 v[72:75], v158 offset:2400
	v_fma_f64 v[12:13], -v[38:39], v[82:83], v[12:13]
	s_waitcnt lgkmcnt(2)
	v_fma_f64 v[12:13], -v[32:33], v[48:49], v[12:13]
	v_fma_f64 v[12:13], -v[34:35], v[110:111], v[12:13]
	s_waitcnt lgkmcnt(1)
	v_fma_f64 v[12:13], -v[28:29], v[56:57], v[12:13]
	v_fma_f64 v[12:13], -v[30:31], v[70:71], v[12:13]
	;; [unrolled: 1-line block ×5, first 2 shown]
	ds_read2_b64 v[100:103], v158 offset0:103 offset1:104
	v_mul_f64 v[48:49], v[16:17], v[126:127]
	v_fma_f64 v[14:15], v[14:15], s[0:1], -v[48:49]
	v_fma_f64 v[14:15], -v[18:19], v[128:129], v[14:15]
	v_fma_f64 v[14:15], -v[52:53], v[90:91], v[14:15]
	ds_read2_b64 v[88:91], v158 offset0:105 offset1:106
	s_waitcnt lgkmcnt(1)
	v_fma_f64 v[14:15], -v[54:55], v[100:101], v[14:15]
	ds_read_b128 v[80:83], v158 offset:2848
	v_fma_f64 v[14:15], -v[60:61], v[106:107], v[14:15]
	ds_read2_b64 v[104:107], v158 offset0:215 offset1:216
	ds_read_b128 v[68:71], v158 offset:4176
	ds_read_b128 v[84:87], v158 offset:4192
	v_mov_b32_e32 v48, 0x878
	ds_read2_b64 v[108:111], v158 offset0:217 offset1:218
	ds_read2_b64 v[116:119], v48 offset1:1
	v_fma_f64 v[14:15], -v[62:63], v[132:133], v[14:15]
	v_fma_f64 v[14:15], -v[64:65], v[146:147], v[14:15]
	s_waitcnt lgkmcnt(4)
	v_fma_f64 v[14:15], -v[66:67], v[104:105], v[14:15]
	v_mov_b32_e32 v48, 0xa38
	v_fma_f64 v[14:15], -v[36:37], v[114:115], v[14:15]
	ds_read2_b64 v[112:115], v48 offset1:1
	v_mov_b32_e32 v56, 0xdb8
	v_fma_f64 v[22:23], -v[20:21], v[122:123], v[22:23]
	ds_read2_b64 v[120:123], v56 offset1:1
	s_waitcnt lgkmcnt(2)
	v_fma_f64 v[14:15], -v[38:39], v[116:117], v[14:15]
	v_mov_b32_e32 v48, 0xbf8
	v_fma_f64 v[14:15], -v[32:33], v[50:51], v[14:15]
	ds_read2_b64 v[48:51], v48 offset1:1
	ds_read_b128 v[124:127], v158 offset:160
	s_waitcnt lgkmcnt(3)
	v_fma_f64 v[14:15], -v[34:35], v[112:113], v[14:15]
	v_fma_f64 v[14:15], -v[28:29], v[58:59], v[14:15]
	v_mul_f64 v[22:23], v[136:137], v[22:23]
	s_waitcnt lgkmcnt(1)
	v_fma_f64 v[14:15], -v[30:31], v[48:49], v[14:15]
	v_mov_b32_e32 v48, 0xf78
	ds_read2_b64 v[56:59], v48 offset1:1
	v_fma_f64 v[14:15], -v[24:25], v[94:95], v[14:15]
	v_fma_f64 v[12:13], -v[20:21], v[152:153], v[12:13]
	;; [unrolled: 1-line block ×4, first 2 shown]
	ds_read_b128 v[136:139], v158 offset:608
	v_fma_f64 v[14:15], -v[20:21], v[154:155], v[14:15]
	v_mul_f64 v[12:13], v[68:69], v[12:13]
	v_mov_b32_e32 v48, 0x1138
	s_waitcnt lgkmcnt(1)
	v_fma_f64 v[14:15], -v[22:23], v[56:57], v[14:15]
	ds_read2_b64 v[92:95], v48 offset1:1
	v_fma_f64 v[14:15], -v[12:13], v[70:71], v[14:15]
	ds_read_b128 v[68:71], v158 offset:176
	v_mul_f64 v[48:49], v[16:17], v[124:125]
	v_fma_f64 v[8:9], v[8:9], s[0:1], -v[48:49]
	v_fma_f64 v[8:9], -v[18:19], v[130:131], v[8:9]
	ds_read_b128 v[128:131], v158 offset:1056
	ds_read_b128 v[144:147], v158 offset:624
	s_waitcnt lgkmcnt(4)
	v_fma_f64 v[8:9], -v[52:53], v[136:137], v[8:9]
	v_fma_f64 v[8:9], -v[54:55], v[102:103], v[8:9]
	ds_read_b128 v[100:103], v158 offset:1504
	s_waitcnt lgkmcnt(2)
	v_fma_f64 v[8:9], -v[60:61], v[128:129], v[8:9]
	v_fma_f64 v[8:9], -v[62:63], v[134:135], v[8:9]
	ds_read_b128 v[132:135], v158 offset:1952
	ds_read_b128 v[152:155], v158 offset:1072
	v_mul_f64 v[14:15], v[92:93], v[14:15]
	s_waitcnt lgkmcnt(2)
	v_fma_f64 v[8:9], -v[64:65], v[100:101], v[8:9]
	v_fma_f64 v[8:9], -v[66:67], v[106:107], v[8:9]
	s_waitcnt lgkmcnt(1)
	v_fma_f64 v[8:9], -v[36:37], v[132:133], v[8:9]
	v_fma_f64 v[8:9], -v[38:39], v[118:119], v[8:9]
	;; [unrolled: 1-line block ×3, first 2 shown]
	ds_read_b128 v[104:107], v158 offset:1520
	v_fma_f64 v[8:9], -v[34:35], v[114:115], v[8:9]
	ds_read_b128 v[112:115], v158 offset:3296
	v_fma_f64 v[8:9], -v[28:29], v[80:81], v[8:9]
	v_fma_f64 v[8:9], -v[30:31], v[50:51], v[8:9]
	ds_read_b128 v[48:51], v158 offset:3744
	ds_read_b128 v[116:119], v158 offset:1968
	v_mov_b32_e32 v72, 0x888
	s_waitcnt lgkmcnt(2)
	v_fma_f64 v[8:9], -v[24:25], v[112:113], v[8:9]
	v_fma_f64 v[8:9], -v[26:27], v[122:123], v[8:9]
	s_waitcnt lgkmcnt(1)
	v_fma_f64 v[8:9], -v[20:21], v[48:49], v[8:9]
	v_fma_f64 v[8:9], -v[22:23], v[58:59], v[8:9]
	ds_read2_b64 v[56:59], v158 offset0:49 offset1:50
	v_fma_f64 v[8:9], -v[12:13], v[84:85], v[8:9]
	v_fma_f64 v[48:49], -v[14:15], v[94:95], v[8:9]
	v_mul_f64 v[8:9], v[16:17], v[126:127]
	ds_read2_b64 v[124:127], v158 offset0:161 offset1:162
	v_fma_f64 v[8:9], v[10:11], s[0:1], -v[8:9]
	s_waitcnt lgkmcnt(1)
	v_fma_f64 v[8:9], -v[18:19], v[56:57], v[8:9]
	v_fma_f64 v[56:57], -v[52:53], v[138:139], v[8:9]
	;; [unrolled: 1-line block ×4, first 2 shown]
	s_waitcnt lgkmcnt(0)
	v_fma_f64 v[56:57], -v[62:63], v[124:125], v[56:57]
	ds_read2_b64 v[128:131], v158 offset0:51 offset1:52
	v_fma_f64 v[56:57], -v[64:65], v[102:103], v[56:57]
	ds_read2_b64 v[100:103], v72 offset1:1
	v_fma_f64 v[56:57], -v[66:67], v[108:109], v[56:57]
	v_mov_b32_e32 v72, 0xa48
	ds_read_b128 v[120:123], v158 offset:3312
	v_fma_f64 v[56:57], -v[36:37], v[134:135], v[56:57]
	ds_read2_b64 v[132:135], v72 offset1:1
	s_waitcnt lgkmcnt(2)
	v_fma_f64 v[56:57], -v[38:39], v[100:101], v[56:57]
	v_mov_b32_e32 v72, 0xc08
	v_fma_f64 v[56:57], -v[32:33], v[74:75], v[56:57]
	ds_read2_b64 v[72:75], v72 offset1:1
	s_waitcnt lgkmcnt(1)
	v_fma_f64 v[56:57], -v[34:35], v[132:133], v[56:57]
	v_mov_b32_e32 v80, 0xdc8
	v_fma_f64 v[56:57], -v[28:29], v[82:83], v[56:57]
	ds_read2_b64 v[80:83], v80 offset1:1
	s_waitcnt lgkmcnt(1)
	v_fma_f64 v[56:57], -v[30:31], v[72:73], v[56:57]
	v_fma_f64 v[56:57], -v[24:25], v[114:115], v[56:57]
	v_mov_b32_e32 v72, 0xf88
	ds_read2_b64 v[112:115], v72 offset1:1
	s_waitcnt lgkmcnt(1)
	v_fma_f64 v[56:57], -v[26:27], v[80:81], v[56:57]
	v_fma_f64 v[50:51], -v[20:21], v[50:51], v[56:57]
	v_mov_b32_e32 v56, 0x1148
	ds_read2_b64 v[136:139], v56 offset1:1
	ds_read_b128 v[8:11], v158 offset:4640
	s_waitcnt lgkmcnt(2)
	v_fma_f64 v[50:51], -v[22:23], v[112:113], v[50:51]
	v_fma_f64 v[50:51], -v[12:13], v[86:87], v[50:51]
	ds_read2_b64 v[84:87], v158 offset0:163 offset1:164
	ds_read_b128 v[92:95], v158 offset:3760
	s_waitcnt lgkmcnt(2)
	v_mul_f64 v[8:9], v[8:9], v[48:49]
	v_fma_f64 v[48:49], -v[14:15], v[136:137], v[50:51]
	v_fma_f64 v[10:11], -v[8:9], v[10:11], v[48:49]
	v_mul_f64 v[48:49], v[16:17], v[68:69]
	v_fma_f64 v[4:5], v[4:5], s[0:1], -v[48:49]
	v_fma_f64 v[4:5], -v[18:19], v[58:59], v[4:5]
	v_fma_f64 v[4:5], -v[52:53], v[144:145], v[4:5]
	;; [unrolled: 1-line block ×7, first 2 shown]
	ds_read_b128 v[108:111], v158 offset:2416
	v_mov_b32_e32 v50, 0x1308
	v_mov_b32_e32 v68, 0x898
	v_fma_f64 v[4:5], -v[36:37], v[116:117], v[4:5]
	ds_read2_b64 v[56:59], v50 offset1:1
	ds_read2_b64 v[88:91], v68 offset1:1
	ds_read_b128 v[48:51], v158 offset:4240
	v_fma_f64 v[4:5], -v[38:39], v[102:103], v[4:5]
	ds_read_b128 v[100:103], v158 offset:2864
	ds_read_b128 v[124:127], v158 offset:2432
	s_waitcnt lgkmcnt(5)
	v_fma_f64 v[4:5], -v[32:33], v[108:109], v[4:5]
	v_fma_f64 v[4:5], -v[34:35], v[134:135], v[4:5]
	ds_read_b128 v[132:135], v158 offset:2880
	s_waitcnt lgkmcnt(2)
	v_fma_f64 v[4:5], -v[28:29], v[100:101], v[4:5]
	v_fma_f64 v[4:5], -v[30:31], v[74:75], v[4:5]
	ds_read_b128 v[72:75], v158 offset:4208
	v_fma_f64 v[4:5], -v[24:25], v[120:121], v[4:5]
	v_fma_f64 v[4:5], -v[26:27], v[82:83], v[4:5]
	;; [unrolled: 1-line block ×4, first 2 shown]
	ds_read_b128 v[80:83], v158 offset:4656
	ds_read_b128 v[112:115], v158 offset:4224
	s_waitcnt lgkmcnt(2)
	v_fma_f64 v[4:5], -v[12:13], v[72:73], v[4:5]
	v_fma_f64 v[4:5], -v[14:15], v[138:139], v[4:5]
	v_mul_f64 v[10:11], v[56:57], v[10:11]
	s_waitcnt lgkmcnt(1)
	v_fma_f64 v[4:5], -v[8:9], v[80:81], v[4:5]
	v_fma_f64 v[120:121], -v[10:11], v[58:59], v[4:5]
	ds_read2_b64 v[56:59], v158 offset0:107 offset1:108
	v_mul_f64 v[4:5], v[16:17], v[70:71]
	v_fma_f64 v[4:5], v[6:7], s[0:1], -v[4:5]
	v_fma_f64 v[4:5], -v[18:19], v[128:129], v[4:5]
	v_fma_f64 v[68:69], -v[52:53], v[146:147], v[4:5]
	ds_read2_b64 v[4:7], v158 offset0:219 offset1:220
	s_waitcnt lgkmcnt(1)
	v_fma_f64 v[56:57], -v[54:55], v[56:57], v[68:69]
	v_fma_f64 v[56:57], -v[60:61], v[154:155], v[56:57]
	;; [unrolled: 1-line block ×4, first 2 shown]
	s_waitcnt lgkmcnt(0)
	v_fma_f64 v[4:5], -v[66:67], v[4:5], v[56:57]
	v_mov_b32_e32 v56, 0xa58
	ds_read_b128 v[136:139], v158 offset:4672
	ds_read2_b64 v[68:71], v56 offset1:1
	v_fma_f64 v[4:5], -v[36:37], v[118:119], v[4:5]
	v_fma_f64 v[4:5], -v[38:39], v[88:89], v[4:5]
	v_mov_b32_e32 v56, 0xc18
	v_fma_f64 v[4:5], -v[32:33], v[110:111], v[4:5]
	ds_read2_b64 v[104:107], v56 offset1:1
	s_waitcnt lgkmcnt(1)
	v_fma_f64 v[4:5], -v[34:35], v[68:69], v[4:5]
	v_mov_b32_e32 v56, 0xdd8
	v_fma_f64 v[4:5], -v[28:29], v[102:103], v[4:5]
	ds_read2_b64 v[100:103], v56 offset1:1
	v_mov_b32_e32 v56, 0xf98
	s_waitcnt lgkmcnt(1)
	v_fma_f64 v[4:5], -v[30:31], v[104:105], v[4:5]
	ds_read2_b64 v[108:111], v56 offset1:1
	v_fma_f64 v[4:5], -v[24:25], v[122:123], v[4:5]
	s_waitcnt lgkmcnt(1)
	v_fma_f64 v[4:5], -v[26:27], v[100:101], v[4:5]
	v_mov_b32_e32 v56, 0x1158
	v_fma_f64 v[4:5], -v[20:21], v[94:95], v[4:5]
	ds_read2_b64 v[92:95], v56 offset1:1
	s_waitcnt lgkmcnt(1)
	v_fma_f64 v[4:5], -v[22:23], v[108:109], v[4:5]
	v_fma_f64 v[4:5], -v[12:13], v[74:75], v[4:5]
	v_mov_b32_e32 v56, 0x1318
	ds_read_b128 v[72:75], v158 offset:5104
	ds_read2_b64 v[116:119], v56 offset1:1
	s_waitcnt lgkmcnt(2)
	v_fma_f64 v[4:5], -v[14:15], v[92:93], v[4:5]
	v_fma_f64 v[56:57], -v[8:9], v[82:83], v[4:5]
	ds_read_b128 v[80:83], v158 offset:192
	s_waitcnt lgkmcnt(2)
	v_mul_f64 v[4:5], v[72:73], v[120:121]
	s_waitcnt lgkmcnt(1)
	v_fma_f64 v[56:57], -v[10:11], v[116:117], v[56:57]
	v_fma_f64 v[152:153], -v[4:5], v[74:75], v[56:57]
	ds_read_b128 v[72:75], v158 offset:640
	s_waitcnt lgkmcnt(1)
	v_mul_f64 v[56:57], v[16:17], v[80:81]
	s_waitcnt vmcnt(0)
	v_fma_f64 v[0:1], v[0:1], s[0:1], -v[56:57]
	v_fma_f64 v[0:1], -v[18:19], v[130:131], v[0:1]
	global_load_dwordx4 v[128:131], v[148:149], off offset:208
	ds_read_b128 v[120:123], v158 offset:1088
	ds_read2_b64 v[144:147], v158 offset0:109 offset1:110
	s_waitcnt lgkmcnt(2)
	v_fma_f64 v[0:1], -v[52:53], v[72:73], v[0:1]
	v_fma_f64 v[0:1], -v[54:55], v[58:59], v[0:1]
	ds_read_b128 v[56:59], v158 offset:1536
	s_waitcnt lgkmcnt(2)
	v_fma_f64 v[0:1], -v[60:61], v[120:121], v[0:1]
	v_fma_f64 v[0:1], -v[62:63], v[86:87], v[0:1]
	ds_read_b128 v[84:87], v158 offset:1984
	s_waitcnt lgkmcnt(1)
	v_fma_f64 v[0:1], -v[64:65], v[56:57], v[0:1]
	v_fma_f64 v[0:1], -v[66:67], v[6:7], v[0:1]
	v_mov_b32_e32 v6, 0x14d8
	s_waitcnt lgkmcnt(0)
	v_fma_f64 v[0:1], -v[36:37], v[84:85], v[0:1]
	v_fma_f64 v[0:1], -v[38:39], v[90:91], v[0:1]
	;; [unrolled: 1-line block ×4, first 2 shown]
	ds_read_b128 v[68:71], v158 offset:3328
	v_fma_f64 v[0:1], -v[28:29], v[132:133], v[0:1]
	v_fma_f64 v[0:1], -v[30:31], v[106:107], v[0:1]
	ds_read_b128 v[88:91], v158 offset:3776
	ds_read2_b64 v[104:107], v158 offset0:221 offset1:222
	v_mov_b32_e32 v84, 0xa68
	s_waitcnt lgkmcnt(2)
	v_fma_f64 v[0:1], -v[24:25], v[68:69], v[0:1]
	v_fma_f64 v[0:1], -v[26:27], v[102:103], v[0:1]
	s_waitcnt lgkmcnt(1)
	v_fma_f64 v[0:1], -v[20:21], v[88:89], v[0:1]
	v_fma_f64 v[0:1], -v[22:23], v[110:111], v[0:1]
	;; [unrolled: 1-line block ×4, first 2 shown]
	ds_read2_b64 v[92:95], v6 offset1:1
	ds_read_b128 v[108:111], v158 offset:5120
	v_fma_f64 v[0:1], -v[8:9], v[136:137], v[0:1]
	v_fma_f64 v[0:1], -v[10:11], v[118:119], v[0:1]
	ds_read_b128 v[116:119], v158 offset:208
	s_waitcnt lgkmcnt(2)
	v_mul_f64 v[6:7], v[92:93], v[152:153]
	s_waitcnt lgkmcnt(1)
	v_fma_f64 v[0:1], -v[4:5], v[108:109], v[0:1]
	v_fma_f64 v[136:137], -v[6:7], v[94:95], v[0:1]
	v_mul_f64 v[0:1], v[16:17], v[82:83]
	v_fma_f64 v[56:57], v[2:3], s[0:1], -v[0:1]
	v_fma_f64 v[56:57], -v[18:19], v[140:141], v[56:57]
	v_fma_f64 v[56:57], -v[52:53], v[74:75], v[56:57]
	v_mov_b32_e32 v68, 0x8a8
	v_fma_f64 v[56:57], -v[54:55], v[144:145], v[56:57]
	ds_read_b128 v[152:155], v158 offset:656
	ds_read2_b64 v[80:83], v68 offset1:1
	v_fma_f64 v[56:57], -v[60:61], v[122:123], v[56:57]
	v_fma_f64 v[56:57], -v[62:63], v[96:97], v[56:57]
	;; [unrolled: 1-line block ×5, first 2 shown]
	ds_read2_b64 v[84:87], v84 offset1:1
	s_waitcnt lgkmcnt(1)
	v_fma_f64 v[68:69], -v[38:39], v[80:81], v[68:69]
	v_mov_b32_e32 v80, 0xc28
	ds_read2_b64 v[120:123], v80 offset1:1
	v_fma_f64 v[68:69], -v[32:33], v[126:127], v[68:69]
	s_waitcnt lgkmcnt(1)
	v_fma_f64 v[68:69], -v[34:35], v[84:85], v[68:69]
	v_fma_f64 v[68:69], -v[28:29], v[134:135], v[68:69]
	v_mov_b32_e32 v80, 0xde8
	ds_read_b128 v[92:95], v158 offset:1104
	ds_read2_b64 v[124:127], v80 offset1:1
	s_waitcnt lgkmcnt(2)
	v_fma_f64 v[68:69], -v[30:31], v[120:121], v[68:69]
	v_fma_f64 v[80:81], -v[24:25], v[70:71], v[68:69]
	v_mov_b32_e32 v68, 0xfa8
	ds_read2_b64 v[68:71], v68 offset1:1
	s_waitcnt lgkmcnt(1)
	v_fma_f64 v[80:81], -v[26:27], v[124:125], v[80:81]
	v_mov_b32_e32 v84, 0x1168
	v_fma_f64 v[80:81], -v[20:21], v[90:91], v[80:81]
	ds_read2_b64 v[88:91], v84 offset1:1
	s_waitcnt lgkmcnt(1)
	v_fma_f64 v[68:69], -v[22:23], v[68:69], v[80:81]
	v_mov_b32_e32 v80, 0x1328
	ds_read_b128 v[0:3], v158 offset:1552
	v_fma_f64 v[68:69], -v[12:13], v[114:115], v[68:69]
	ds_read2_b64 v[112:115], v80 offset1:1
	v_mov_b32_e32 v80, 0x14e8
	ds_read_b128 v[72:75], v158 offset:2000
	ds_read2_b64 v[132:135], v80 offset1:1
	ds_read_b128 v[56:59], v158 offset:5568
	s_waitcnt lgkmcnt(5)
	v_fma_f64 v[68:69], -v[14:15], v[88:89], v[68:69]
	v_fma_f64 v[68:69], -v[8:9], v[138:139], v[68:69]
	s_waitcnt lgkmcnt(3)
	v_fma_f64 v[68:69], -v[10:11], v[112:113], v[68:69]
	v_fma_f64 v[68:69], -v[4:5], v[110:111], v[68:69]
	s_waitcnt lgkmcnt(1)
	v_fma_f64 v[68:69], -v[6:7], v[132:133], v[68:69]
	s_waitcnt lgkmcnt(0)
	v_mul_f64 v[56:57], v[56:57], v[136:137]
	v_fma_f64 v[58:59], -v[56:57], v[58:59], v[68:69]
	v_mul_f64 v[68:69], v[16:17], v[116:117]
	s_waitcnt vmcnt(0)
	v_fma_f64 v[68:69], v[128:129], s[0:1], -v[68:69]
	v_fma_f64 v[68:69], -v[18:19], v[142:143], v[68:69]
	v_fma_f64 v[68:69], -v[52:53], v[152:153], v[68:69]
	;; [unrolled: 1-line block ×7, first 2 shown]
	v_mov_b32_e32 v80, 0x16a8
	v_fma_f64 v[0:1], -v[36:37], v[72:73], v[0:1]
	ds_read2_b64 v[108:111], v80 offset1:1
	ds_read_b128 v[136:139], v158 offset:3344
	v_fma_f64 v[0:1], -v[38:39], v[82:83], v[0:1]
	v_fma_f64 v[0:1], -v[32:33], v[40:41], v[0:1]
	ds_read_b128 v[100:103], v158 offset:4688
	ds_read_b128 v[140:143], v158 offset:3792
	v_fma_f64 v[0:1], -v[34:35], v[86:87], v[0:1]
	v_fma_f64 v[0:1], -v[28:29], v[44:45], v[0:1]
	;; [unrolled: 1-line block ×3, first 2 shown]
	s_waitcnt lgkmcnt(2)
	v_fma_f64 v[0:1], -v[24:25], v[136:137], v[0:1]
	v_fma_f64 v[0:1], -v[26:27], v[126:127], v[0:1]
	v_mul_f64 v[58:59], v[108:109], v[58:59]
	ds_read_b128 v[144:147], v158 offset:5136
	ds_read_b128 v[96:99], v158 offset:5584
	global_store_dwordx4 v[148:149], v[16:19], off
	global_store_dwordx4 v[148:149], v[52:55], off offset:16
	global_store_dwordx4 v[148:149], v[60:63], off offset:32
	;; [unrolled: 1-line block ×12, first 2 shown]
	s_waitcnt lgkmcnt(2)
	v_fma_f64 v[0:1], -v[20:21], v[140:141], v[0:1]
	v_fma_f64 v[0:1], -v[22:23], v[70:71], v[0:1]
	ds_read2_b64 v[68:71], v158 offset0:55 offset1:111
	v_mul_f64 v[16:17], v[16:17], v[118:119]
	v_fma_f64 v[16:17], v[130:131], s[0:1], -v[16:17]
	v_add_u32_e64 v44, s8, 0
	s_movk_i32 s8, 0xc00
	s_waitcnt lgkmcnt(0)
	v_fma_f64 v[16:17], -v[18:19], v[68:69], v[16:17]
	v_fma_f64 v[16:17], -v[52:53], v[154:155], v[16:17]
	;; [unrolled: 1-line block ×3, first 2 shown]
	ds_read2_b64 v[16:19], v158 offset0:167 offset1:223
	v_fma_f64 v[40:41], -v[60:61], v[94:95], v[40:41]
	ds_read2_b64 v[52:55], v44 offset0:23 offset1:79
	v_fma_f64 v[0:1], -v[12:13], v[48:49], v[0:1]
	v_fma_f64 v[0:1], -v[14:15], v[90:91], v[0:1]
	s_waitcnt lgkmcnt(1)
	v_fma_f64 v[16:17], -v[62:63], v[16:17], v[40:41]
	v_fma_f64 v[2:3], -v[64:65], v[2:3], v[16:17]
	;; [unrolled: 1-line block ×4, first 2 shown]
	s_waitcnt lgkmcnt(0)
	v_fma_f64 v[2:3], -v[38:39], v[52:53], v[2:3]
	ds_read2_b64 v[16:19], v44 offset0:135 offset1:191
	v_fma_f64 v[2:3], -v[32:33], v[42:43], v[2:3]
	v_fma_f64 v[2:3], -v[34:35], v[54:55], v[2:3]
	;; [unrolled: 1-line block ×3, first 2 shown]
	v_add_u32_e64 v28, s8, 0
	ds_read2_b64 v[32:35], v28 offset0:119 offset1:175
	s_waitcnt lgkmcnt(1)
	v_fma_f64 v[2:3], -v[30:31], v[16:17], v[2:3]
	v_fma_f64 v[2:3], -v[24:25], v[138:139], v[2:3]
	;; [unrolled: 1-line block ×4, first 2 shown]
	s_waitcnt lgkmcnt(0)
	v_fma_f64 v[2:3], -v[22:23], v[32:33], v[2:3]
	s_movk_i32 s8, 0x1000
	v_fma_f64 v[2:3], -v[12:13], v[50:51], v[2:3]
	v_add_u32_e64 v12, s8, 0
	v_fma_f64 v[2:3], -v[14:15], v[34:35], v[2:3]
	ds_read2_b64 v[12:15], v12 offset0:103 offset1:159
	s_movk_i32 s8, 0x1400
	v_fma_f64 v[0:1], -v[8:9], v[100:101], v[0:1]
	v_fma_f64 v[2:3], -v[8:9], v[102:103], v[2:3]
	v_add_u32_e64 v8, s8, 0
	v_fma_f64 v[0:1], -v[10:11], v[114:115], v[0:1]
	ds_read2_b64 v[16:19], v8 offset0:87 offset1:143
	v_fma_f64 v[0:1], -v[4:5], v[144:145], v[0:1]
	s_waitcnt lgkmcnt(1)
	v_fma_f64 v[2:3], -v[10:11], v[12:13], v[2:3]
	v_fma_f64 v[0:1], -v[6:7], v[134:135], v[0:1]
	;; [unrolled: 1-line block ×7, first 2 shown]
	v_mul_f64 v[0:1], v[76:77], v[0:1]
	s_waitcnt lgkmcnt(0)
	v_fma_f64 v[2:3], -v[58:59], v[16:17], v[2:3]
	v_fma_f64 v[2:3], -v[0:1], v[78:79], v[2:3]
	v_mul_f64 v[2:3], v[18:19], v[2:3]
	s_mov_b32 s8, 28
	global_store_dwordx4 v[148:149], v[0:3], off offset:208
.LBB100_37:
	s_cmp_lt_i32 s8, s16
	s_cbranch_scc0 .LBB100_54
; %bb.38:
	s_add_i32 s9, s8, 23
	s_cmp_ge_u32 s9, s16
	s_cbranch_scc1 .LBB100_43
; %bb.39:
	s_lshl_b32 s12, s8, 3
	v_add_co_u32_e32 v82, vcc, s12, v148
	v_addc_co_u32_e32 v83, vcc, 0, v149, vcc
	global_load_dwordx4 v[0:3], v[82:83], off
	global_load_dwordx4 v[4:7], v[82:83], off offset:16
	global_load_dwordx4 v[8:11], v[82:83], off offset:32
	;; [unrolled: 1-line block ×11, first 2 shown]
	s_mov_b32 s13, 0
	s_andn2_b64 vcc, exec, s[6:7]
	s_waitcnt vmcnt(11)
	v_mul_f64 v[0:1], v[0:1], s[0:1]
	v_mul_f64 v[2:3], v[2:3], s[0:1]
	s_waitcnt vmcnt(10)
	v_mul_f64 v[24:25], v[4:5], s[0:1]
	v_mul_f64 v[44:45], v[6:7], s[0:1]
	;; [unrolled: 3-line block ×12, first 2 shown]
	s_cbranch_vccnz .LBB100_42
; %bb.40:
	v_pk_mov_b32 v[4:5], v[148:149], v[148:149] op_sel:[0,1]
.LBB100_41:                             ; =>This Inner Loop Header: Depth=1
	global_load_dwordx2 v[22:23], v[4:5], off
	v_mov_b32_e32 v26, s12
	ds_read_b128 v[6:9], v26
	ds_read_b128 v[10:13], v26 offset:16
	ds_read_b128 v[14:17], v26 offset:32
	;; [unrolled: 1-line block ×11, first 2 shown]
	s_add_i32 s13, s13, 1
	s_addk_i32 s12, 0xe0
	v_add_co_u32_e32 v4, vcc, 8, v4
	v_addc_co_u32_e32 v5, vcc, 0, v5, vcc
	s_cmp_lt_u32 s13, s8
	s_waitcnt vmcnt(0) lgkmcnt(11)
	v_fma_f64 v[0:1], -v[22:23], v[6:7], v[0:1]
	v_fma_f64 v[2:3], -v[22:23], v[8:9], v[2:3]
	s_waitcnt lgkmcnt(10)
	v_fma_f64 v[24:25], -v[22:23], v[10:11], v[24:25]
	v_fma_f64 v[44:45], -v[22:23], v[12:13], v[44:45]
	s_waitcnt lgkmcnt(9)
	;; [unrolled: 3-line block ×11, first 2 shown]
	v_fma_f64 v[86:87], -v[22:23], v[102:103], v[86:87]
	v_fma_f64 v[84:85], -v[22:23], v[104:105], v[84:85]
	s_cbranch_scc1 .LBB100_41
.LBB100_42:
	s_mul_i32 s6, s8, 0xe8
	v_mov_b32_e32 v94, s6
	ds_read_b128 v[16:19], v94
	ds_read_b128 v[12:15], v94 offset:16
	ds_read_b128 v[8:11], v94 offset:32
	;; [unrolled: 1-line block ×3, first 2 shown]
	ds_read2_b64 v[46:49], v94 offset0:29 offset1:30
	s_waitcnt lgkmcnt(4)
	v_mul_f64 v[0:1], v[16:17], v[0:1]
	v_fma_f64 v[2:3], -v[0:1], v[18:19], v[2:3]
	ds_read2_b64 v[16:19], v94 offset0:31 offset1:32
	ds_read_b128 v[20:23], v94 offset:464
	s_waitcnt lgkmcnt(5)
	v_fma_f64 v[12:13], -v[0:1], v[12:13], v[24:25]
	s_waitcnt lgkmcnt(2)
	v_mul_f64 v[2:3], v[46:47], v[2:3]
	v_fma_f64 v[12:13], -v[2:3], v[48:49], v[12:13]
	ds_read2_b64 v[46:49], v94 offset0:87 offset1:88
	v_fma_f64 v[14:15], -v[0:1], v[14:15], v[44:45]
	s_waitcnt lgkmcnt(1)
	v_mul_f64 v[12:13], v[20:21], v[12:13]
	v_fma_f64 v[14:15], -v[2:3], v[16:17], v[14:15]
	v_fma_f64 v[14:15], -v[12:13], v[22:23], v[14:15]
	ds_read2_b64 v[20:23], v94 offset0:89 offset1:90
	ds_read2_b64 v[24:27], v94 offset0:49 offset1:50
	s_waitcnt lgkmcnt(2)
	v_mul_f64 v[14:15], v[46:47], v[14:15]
	ds_read_b128 v[44:47], v94 offset:480
	v_fma_f64 v[8:9], -v[0:1], v[8:9], v[38:39]
	v_fma_f64 v[8:9], -v[2:3], v[18:19], v[8:9]
	ds_read_b128 v[16:19], v94 offset:496
	ds_read_b128 v[54:57], v94 offset:928
	v_fma_f64 v[10:11], -v[0:1], v[10:11], v[36:37]
	s_waitcnt lgkmcnt(2)
	v_fma_f64 v[8:9], -v[12:13], v[44:45], v[8:9]
	v_fma_f64 v[8:9], -v[14:15], v[48:49], v[8:9]
	ds_read_b128 v[48:51], v94 offset:944
	ds_read2_b64 v[60:63], v94 offset0:33 offset1:34
	ds_read2_b64 v[36:39], v94 offset0:145 offset1:174
	;; [unrolled: 1-line block ×3, first 2 shown]
	v_fma_f64 v[4:5], -v[0:1], v[4:5], v[32:33]
	s_waitcnt lgkmcnt(4)
	v_mul_f64 v[8:9], v[54:55], v[8:9]
	v_fma_f64 v[6:7], -v[0:1], v[6:7], v[30:31]
	s_waitcnt lgkmcnt(2)
	v_fma_f64 v[10:11], -v[2:3], v[60:61], v[10:11]
	v_fma_f64 v[10:11], -v[12:13], v[46:47], v[10:11]
	ds_read_b128 v[44:47], v94 offset:1168
	v_fma_f64 v[4:5], -v[2:3], v[62:63], v[4:5]
	v_fma_f64 v[10:11], -v[14:15], v[20:21], v[10:11]
	;; [unrolled: 1-line block ×4, first 2 shown]
	ds_read_b128 v[54:57], v94 offset:1184
	v_fma_f64 v[4:5], -v[14:15], v[22:23], v[4:5]
	s_waitcnt lgkmcnt(3)
	v_mul_f64 v[10:11], v[36:37], v[10:11]
	v_fma_f64 v[4:5], -v[8:9], v[48:49], v[4:5]
	s_waitcnt lgkmcnt(1)
	v_fma_f64 v[4:5], -v[10:11], v[44:45], v[4:5]
	v_mul_f64 v[4:5], v[38:39], v[4:5]
	ds_read2_b64 v[36:39], v94 offset0:91 offset1:92
	ds_read2_b64 v[60:63], v94 offset0:93 offset1:94
	v_fma_f64 v[6:7], -v[2:3], v[68:69], v[6:7]
	v_fma_f64 v[6:7], -v[12:13], v[18:19], v[6:7]
	ds_read2_b64 v[30:33], v94 offset0:175 offset1:176
	ds_read2_b64 v[16:19], v94 offset0:191 offset1:203
	s_waitcnt lgkmcnt(3)
	v_fma_f64 v[6:7], -v[14:15], v[36:37], v[6:7]
	v_fma_f64 v[6:7], -v[8:9], v[50:51], v[6:7]
	;; [unrolled: 1-line block ×3, first 2 shown]
	ds_read_b128 v[20:23], v94 offset:1296
	ds_read_b128 v[44:47], v94 offset:64
	;; [unrolled: 1-line block ×4, first 2 shown]
	s_waitcnt lgkmcnt(5)
	v_fma_f64 v[6:7], -v[4:5], v[30:31], v[6:7]
	s_waitcnt lgkmcnt(4)
	v_mul_f64 v[6:7], v[18:19], v[6:7]
	v_add_u32_e32 v95, 0x800, v94
	s_waitcnt lgkmcnt(2)
	v_fma_f64 v[18:19], -v[0:1], v[44:45], v[28:29]
	v_fma_f64 v[18:19], -v[2:3], v[70:71], v[18:19]
	ds_read_b128 v[68:71], v94 offset:960
	ds_read_b128 v[100:103], v94 offset:528
	s_waitcnt lgkmcnt(2)
	v_fma_f64 v[18:19], -v[12:13], v[96:97], v[18:19]
	v_fma_f64 v[18:19], -v[14:15], v[38:39], v[18:19]
	ds_read_b128 v[104:107], v94 offset:976
	ds_read_b128 v[36:39], v94 offset:1632
	ds_read2_b64 v[28:31], v94 offset0:232 offset1:247
	s_waitcnt lgkmcnt(4)
	v_fma_f64 v[18:19], -v[8:9], v[68:69], v[18:19]
	ds_read2_b64 v[48:51], v94 offset0:189 offset1:190
	ds_read2_b64 v[108:111], v94 offset0:37 offset1:38
	v_fma_f64 v[18:19], -v[10:11], v[54:55], v[18:19]
	v_fma_f64 v[18:19], -v[4:5], v[32:33], v[18:19]
	s_waitcnt lgkmcnt(3)
	v_fma_f64 v[18:19], -v[6:7], v[36:37], v[18:19]
	s_waitcnt lgkmcnt(2)
	v_mul_f64 v[32:33], v[28:29], v[18:19]
	v_fma_f64 v[18:19], -v[0:1], v[46:47], v[34:35]
	s_waitcnt lgkmcnt(0)
	v_fma_f64 v[18:19], -v[2:3], v[108:109], v[18:19]
	v_fma_f64 v[18:19], -v[12:13], v[98:99], v[18:19]
	;; [unrolled: 1-line block ×4, first 2 shown]
	ds_read2_b64 v[112:115], v94 offset0:39 offset1:40
	v_fma_f64 v[18:19], -v[10:11], v[56:57], v[18:19]
	ds_read2_b64 v[44:47], v94 offset0:177 offset1:178
	ds_read2_b64 v[54:57], v94 offset0:233 offset1:234
	;; [unrolled: 1-line block ×4, first 2 shown]
	s_add_i32 s7, s6, 0x918
	v_mov_b32_e32 v28, s7
	s_waitcnt lgkmcnt(3)
	v_fma_f64 v[18:19], -v[4:5], v[44:45], v[18:19]
	v_fma_f64 v[18:19], -v[6:7], v[38:39], v[18:19]
	s_waitcnt lgkmcnt(2)
	v_fma_f64 v[18:19], -v[32:33], v[54:55], v[18:19]
	s_waitcnt lgkmcnt(1)
	v_mul_f64 v[34:35], v[68:69], v[18:19]
	v_fma_f64 v[18:19], -v[0:1], v[72:73], v[40:41]
	ds_read_b128 v[36:39], v94 offset:1744
	v_fma_f64 v[18:19], -v[2:3], v[110:111], v[18:19]
	ds_read_b128 v[108:111], v94 offset:1200
	v_fma_f64 v[18:19], -v[12:13], v[100:101], v[18:19]
	v_fma_f64 v[18:19], -v[14:15], v[62:63], v[18:19]
	ds_read_b128 v[116:119], v94 offset:1216
	ds_read_b128 v[60:63], v94 offset:1648
	v_fma_f64 v[18:19], -v[8:9], v[104:105], v[18:19]
	s_waitcnt lgkmcnt(2)
	v_fma_f64 v[18:19], -v[10:11], v[108:109], v[18:19]
	v_fma_f64 v[18:19], -v[4:5], v[46:47], v[18:19]
	ds_read_b128 v[44:47], v94 offset:2096
	ds_read_b128 v[120:123], v94 offset:1664
	s_waitcnt lgkmcnt(2)
	v_fma_f64 v[18:19], -v[6:7], v[60:61], v[18:19]
	v_fma_f64 v[18:19], -v[32:33], v[56:57], v[18:19]
	ds_read2_b64 v[54:57], v94 offset0:95 offset1:96
	s_waitcnt lgkmcnt(2)
	v_fma_f64 v[18:19], -v[34:35], v[44:45], v[18:19]
	v_mul_f64 v[40:41], v[70:71], v[18:19]
	ds_read2_b64 v[68:71], v94 offset0:97 offset1:98
	v_fma_f64 v[18:19], -v[0:1], v[74:75], v[42:43]
	v_fma_f64 v[18:19], -v[2:3], v[112:113], v[18:19]
	;; [unrolled: 1-line block ×3, first 2 shown]
	s_waitcnt lgkmcnt(1)
	v_fma_f64 v[18:19], -v[14:15], v[54:55], v[18:19]
	ds_read2_b64 v[72:75], v94 offset0:235 offset1:236
	ds_read2_b64 v[100:103], v94 offset0:237 offset1:238
	v_fma_f64 v[18:19], -v[8:9], v[106:107], v[18:19]
	v_fma_f64 v[18:19], -v[10:11], v[110:111], v[18:19]
	;; [unrolled: 1-line block ×4, first 2 shown]
	s_waitcnt lgkmcnt(1)
	v_fma_f64 v[18:19], -v[32:33], v[72:73], v[18:19]
	s_add_i32 s7, s6, 0x928
	ds_read_b128 v[124:127], v94 offset:2112
	v_fma_f64 v[18:19], -v[34:35], v[46:47], v[18:19]
	ds_read2_b64 v[44:47], v95 offset0:47 offset1:63
	ds_read2_b64 v[60:63], v28 offset1:1
	v_mov_b32_e32 v28, s7
	ds_read2_b64 v[104:107], v28 offset1:1
	ds_read_b128 v[108:111], v94 offset:96
	ds_read_b128 v[128:131], v94 offset:112
	;; [unrolled: 1-line block ×3, first 2 shown]
	s_add_i32 s7, s6, 0xae8
	s_waitcnt lgkmcnt(4)
	v_fma_f64 v[18:19], -v[40:41], v[60:61], v[18:19]
	v_mul_f64 v[42:43], v[46:47], v[18:19]
	s_waitcnt lgkmcnt(2)
	v_fma_f64 v[18:19], -v[0:1], v[108:109], v[52:53]
	v_fma_f64 v[18:19], -v[2:3], v[114:115], v[18:19]
	ds_read_b128 v[112:115], v94 offset:992
	ds_read_b128 v[136:139], v94 offset:560
	s_waitcnt lgkmcnt(2)
	v_fma_f64 v[18:19], -v[12:13], v[132:133], v[18:19]
	v_fma_f64 v[18:19], -v[14:15], v[56:57], v[18:19]
	ds_read_b128 v[140:143], v94 offset:1008
	s_waitcnt lgkmcnt(2)
	v_fma_f64 v[18:19], -v[8:9], v[112:113], v[18:19]
	v_fma_f64 v[18:19], -v[10:11], v[116:117], v[18:19]
	;; [unrolled: 1-line block ×6, first 2 shown]
	ds_read_b128 v[72:75], v94 offset:2560
	ds_read2_b64 v[52:55], v95 offset0:92 offset1:103
	v_fma_f64 v[18:19], -v[40:41], v[62:63], v[18:19]
	ds_read_b128 v[60:63], v94 offset:2192
	ds_read2_b64 v[96:99], v94 offset0:41 offset1:42
	v_mov_b32_e32 v28, s7
	s_waitcnt lgkmcnt(3)
	v_fma_f64 v[18:19], -v[42:43], v[72:73], v[18:19]
	s_waitcnt lgkmcnt(2)
	v_mul_f64 v[56:57], v[52:53], v[18:19]
	v_fma_f64 v[18:19], -v[0:1], v[110:111], v[58:59]
	s_waitcnt lgkmcnt(0)
	v_fma_f64 v[18:19], -v[2:3], v[96:97], v[18:19]
	ds_read2_b64 v[108:111], v94 offset0:43 offset1:44
	v_fma_f64 v[18:19], -v[12:13], v[134:135], v[18:19]
	ds_read2_b64 v[132:135], v94 offset0:181 offset1:182
	v_fma_f64 v[18:19], -v[14:15], v[68:69], v[18:19]
	v_fma_f64 v[18:19], -v[8:9], v[114:115], v[18:19]
	;; [unrolled: 1-line block ×3, first 2 shown]
	ds_read2_b64 v[112:115], v94 offset0:183 offset1:184
	s_waitcnt lgkmcnt(1)
	v_fma_f64 v[18:19], -v[4:5], v[132:133], v[18:19]
	v_fma_f64 v[18:19], -v[6:7], v[122:123], v[18:19]
	;; [unrolled: 1-line block ×3, first 2 shown]
	ds_read2_b64 v[116:119], v28 offset1:1
	ds_read2_b64 v[120:123], v95 offset0:121 offset1:150
	v_fma_f64 v[18:19], -v[34:35], v[126:127], v[18:19]
	v_fma_f64 v[18:19], -v[40:41], v[104:105], v[18:19]
	v_fma_f64 v[18:19], -v[42:43], v[74:75], v[18:19]
	s_waitcnt lgkmcnt(1)
	v_fma_f64 v[18:19], -v[56:57], v[116:117], v[18:19]
	s_waitcnt lgkmcnt(0)
	v_mul_f64 v[58:59], v[120:121], v[18:19]
	v_fma_f64 v[18:19], -v[0:1], v[128:129], v[64:65]
	ds_read_b128 v[72:75], v94 offset:1232
	v_fma_f64 v[18:19], -v[2:3], v[98:99], v[18:19]
	v_fma_f64 v[18:19], -v[12:13], v[136:137], v[18:19]
	;; [unrolled: 1-line block ×3, first 2 shown]
	ds_read_b128 v[96:99], v94 offset:1248
	ds_read_b128 v[124:127], v94 offset:1680
	v_fma_f64 v[18:19], -v[8:9], v[140:141], v[18:19]
	s_waitcnt lgkmcnt(2)
	v_fma_f64 v[18:19], -v[10:11], v[72:73], v[18:19]
	v_fma_f64 v[18:19], -v[4:5], v[134:135], v[18:19]
	ds_read_b128 v[132:135], v94 offset:1696
	ds_read_b128 v[70:73], v94 offset:2128
	s_waitcnt lgkmcnt(2)
	v_fma_f64 v[18:19], -v[6:7], v[124:125], v[18:19]
	v_fma_f64 v[18:19], -v[32:33], v[102:103], v[18:19]
	ds_read_b128 v[100:103], v94 offset:2144
	ds_read_b128 v[144:147], v94 offset:2576
	s_add_i32 s7, s6, 0x938
	s_waitcnt lgkmcnt(2)
	v_fma_f64 v[18:19], -v[34:35], v[70:71], v[18:19]
	v_fma_f64 v[18:19], -v[40:41], v[106:107], v[18:19]
	ds_read_b128 v[104:107], v94 offset:3024
	ds_read_b128 v[152:155], v94 offset:2592
	s_waitcnt lgkmcnt(2)
	v_fma_f64 v[18:19], -v[42:43], v[144:145], v[18:19]
	v_fma_f64 v[18:19], -v[56:57], v[118:119], v[18:19]
	ds_read2_b64 v[116:119], v94 offset0:99 offset1:100
	s_waitcnt lgkmcnt(2)
	v_fma_f64 v[18:19], -v[58:59], v[104:105], v[18:19]
	v_mul_f64 v[64:65], v[122:123], v[18:19]
	ds_read2_b64 v[120:123], v94 offset0:101 offset1:102
	v_fma_f64 v[18:19], -v[0:1], v[130:131], v[66:67]
	v_fma_f64 v[18:19], -v[2:3], v[108:109], v[18:19]
	;; [unrolled: 1-line block ×3, first 2 shown]
	ds_read_b128 v[68:71], v94 offset:2640
	ds_read2_b64 v[128:131], v94 offset0:239 offset1:240
	s_waitcnt lgkmcnt(3)
	v_fma_f64 v[18:19], -v[14:15], v[116:117], v[18:19]
	v_fma_f64 v[18:19], -v[8:9], v[142:143], v[18:19]
	v_mov_b32_e32 v28, s7
	v_fma_f64 v[18:19], -v[10:11], v[74:75], v[18:19]
	ds_read2_b64 v[136:139], v28 offset1:1
	v_fma_f64 v[18:19], -v[4:5], v[112:113], v[18:19]
	s_add_i32 s7, s6, 0xaf8
	v_fma_f64 v[18:19], -v[6:7], v[126:127], v[18:19]
	v_mov_b32_e32 v28, s7
	s_waitcnt lgkmcnt(1)
	v_fma_f64 v[18:19], -v[32:33], v[128:129], v[18:19]
	ds_read2_b64 v[124:127], v28 offset1:1
	v_fma_f64 v[18:19], -v[34:35], v[72:73], v[18:19]
	s_add_i32 s7, s6, 0xcb8
	s_waitcnt lgkmcnt(1)
	v_fma_f64 v[18:19], -v[40:41], v[136:137], v[18:19]
	v_mov_b32_e32 v28, s7
	v_fma_f64 v[18:19], -v[42:43], v[146:147], v[18:19]
	ds_read2_b64 v[140:143], v28 offset1:1
	ds_read2_b64 v[72:75], v95 offset0:159 offset1:179
	ds_read_b128 v[144:147], v94 offset:128
	s_waitcnt lgkmcnt(3)
	v_fma_f64 v[18:19], -v[56:57], v[124:125], v[18:19]
	v_fma_f64 v[18:19], -v[58:59], v[106:107], v[18:19]
	ds_read_b128 v[104:107], v94 offset:576
	s_waitcnt lgkmcnt(3)
	v_fma_f64 v[18:19], -v[64:65], v[140:141], v[18:19]
	s_waitcnt lgkmcnt(2)
	v_mul_f64 v[66:67], v[74:75], v[18:19]
	s_waitcnt lgkmcnt(1)
	v_fma_f64 v[18:19], -v[0:1], v[144:145], v[92:93]
	v_fma_f64 v[18:19], -v[2:3], v[110:111], v[18:19]
	ds_read_b128 v[108:111], v94 offset:1024
	ds_read2_b64 v[156:159], v94 offset0:241 offset1:242
	s_waitcnt lgkmcnt(2)
	v_fma_f64 v[18:19], -v[12:13], v[104:105], v[18:19]
	v_fma_f64 v[18:19], -v[14:15], v[118:119], v[18:19]
	ds_read_b128 v[116:119], v94 offset:144
	s_waitcnt lgkmcnt(2)
	v_fma_f64 v[18:19], -v[8:9], v[108:109], v[18:19]
	v_fma_f64 v[18:19], -v[10:11], v[96:97], v[18:19]
	;; [unrolled: 1-line block ×9, first 2 shown]
	ds_read2_b64 v[124:127], v94 offset0:45 offset1:46
	v_fma_f64 v[28:29], -v[0:1], v[146:147], v[78:79]
	ds_read_b128 v[128:131], v94 offset:3040
	s_add_i32 s7, s6, 0x948
	v_mov_b32_e32 v46, s7
	s_waitcnt lgkmcnt(1)
	v_fma_f64 v[28:29], -v[2:3], v[124:125], v[28:29]
	v_fma_f64 v[28:29], -v[12:13], v[106:107], v[28:29]
	ds_read2_b64 v[104:107], v94 offset0:185 offset1:186
	v_fma_f64 v[28:29], -v[14:15], v[120:121], v[28:29]
	v_fma_f64 v[28:29], -v[8:9], v[110:111], v[28:29]
	;; [unrolled: 1-line block ×3, first 2 shown]
	ds_read2_b64 v[96:99], v46 offset1:1
	s_waitcnt lgkmcnt(1)
	v_fma_f64 v[28:29], -v[4:5], v[104:105], v[28:29]
	v_fma_f64 v[28:29], -v[6:7], v[134:135], v[28:29]
	s_add_i32 s7, s6, 0xb08
	v_fma_f64 v[28:29], -v[32:33], v[156:157], v[28:29]
	v_mov_b32_e32 v46, s7
	ds_read_b128 v[112:115], v94 offset:592
	v_fma_f64 v[28:29], -v[34:35], v[102:103], v[28:29]
	ds_read2_b64 v[100:103], v46 offset1:1
	s_add_i32 s7, s6, 0xcc8
	v_mov_b32_e32 v46, s7
	v_fma_f64 v[18:19], -v[58:59], v[128:129], v[18:19]
	ds_read2_b64 v[132:135], v46 offset1:1
	ds_read_b128 v[136:139], v94 offset:1040
	v_fma_f64 v[18:19], -v[64:65], v[142:143], v[18:19]
	ds_read_b128 v[140:143], v94 offset:3056
	ds_read_b128 v[144:147], v94 offset:3488
	s_waitcnt lgkmcnt(6)
	v_fma_f64 v[28:29], -v[40:41], v[96:97], v[28:29]
	v_fma_f64 v[46:47], -v[0:1], v[116:117], v[76:77]
	;; [unrolled: 1-line block ×4, first 2 shown]
	ds_read_b128 v[124:127], v94 offset:1264
	ds_read2_b64 v[152:155], v94 offset0:47 offset1:48
	s_waitcnt lgkmcnt(6)
	v_fma_f64 v[28:29], -v[56:57], v[100:101], v[28:29]
	v_fma_f64 v[46:47], -v[12:13], v[112:113], v[46:47]
	;; [unrolled: 1-line block ×3, first 2 shown]
	ds_read2_b64 v[128:131], v94 offset0:187 offset1:188
	v_fma_f64 v[46:47], -v[14:15], v[122:123], v[46:47]
	ds_read_b128 v[120:123], v94 offset:1712
	s_waitcnt lgkmcnt(7)
	v_fma_f64 v[28:29], -v[64:65], v[132:133], v[28:29]
	s_waitcnt lgkmcnt(4)
	v_fma_f64 v[18:19], -v[66:67], v[144:145], v[18:19]
	v_fma_f64 v[28:29], -v[66:67], v[146:147], v[28:29]
	;; [unrolled: 1-line block ×3, first 2 shown]
	ds_read_b128 v[144:147], v94 offset:2160
	s_waitcnt lgkmcnt(4)
	v_fma_f64 v[46:47], -v[10:11], v[124:125], v[46:47]
	v_fma_f64 v[46:47], -v[4:5], v[106:107], v[46:47]
	ds_read_b128 v[104:107], v94 offset:2608
	s_waitcnt lgkmcnt(2)
	v_fma_f64 v[46:47], -v[6:7], v[120:121], v[46:47]
	v_fma_f64 v[46:47], -v[32:33], v[158:159], v[46:47]
	s_waitcnt lgkmcnt(1)
	v_fma_f64 v[46:47], -v[34:35], v[144:145], v[46:47]
	v_fma_f64 v[46:47], -v[40:41], v[98:99], v[46:47]
	ds_read2_b64 v[74:77], v95 offset0:208 offset1:215
	s_add_i32 s7, s6, 0xe88
	ds_read_b128 v[108:111], v94 offset:3504
	s_waitcnt lgkmcnt(2)
	v_fma_f64 v[46:47], -v[42:43], v[104:105], v[46:47]
	v_mov_b32_e32 v52, s7
	v_fma_f64 v[46:47], -v[56:57], v[102:103], v[46:47]
	ds_read2_b64 v[96:99], v52 offset1:1
	ds_read_b128 v[100:103], v94 offset:1280
	v_fma_f64 v[46:47], -v[58:59], v[140:141], v[46:47]
	v_fma_f64 v[46:47], -v[64:65], v[134:135], v[46:47]
	s_waitcnt lgkmcnt(3)
	v_mul_f64 v[78:79], v[74:75], v[18:19]
	s_waitcnt lgkmcnt(1)
	v_fma_f64 v[18:19], -v[78:79], v[96:97], v[28:29]
	v_fma_f64 v[28:29], -v[66:67], v[108:109], v[46:47]
	v_add_u32_e32 v46, 0xc00, v94
	ds_read2_b64 v[132:135], v46 offset0:109 offset1:138
	v_fma_f64 v[28:29], -v[78:79], v[98:99], v[28:29]
	v_fma_f64 v[46:47], -v[0:1], v[118:119], v[80:81]
	ds_read2_b64 v[96:99], v94 offset0:103 offset1:104
	ds_read_b128 v[116:119], v94 offset:1728
	s_add_i32 s7, s6, 0x958
	s_waitcnt lgkmcnt(2)
	v_mul_f64 v[80:81], v[132:133], v[18:19]
	v_fma_f64 v[18:19], -v[2:3], v[152:153], v[46:47]
	v_fma_f64 v[18:19], -v[12:13], v[114:115], v[18:19]
	s_waitcnt lgkmcnt(1)
	v_fma_f64 v[18:19], -v[14:15], v[96:97], v[18:19]
	ds_read2_b64 v[112:115], v94 offset0:243 offset1:244
	v_fma_f64 v[18:19], -v[8:9], v[138:139], v[18:19]
	ds_read_b128 v[136:139], v94 offset:3952
	v_mov_b32_e32 v46, s7
	v_fma_f64 v[18:19], -v[10:11], v[126:127], v[18:19]
	ds_read2_b64 v[124:127], v46 offset1:1
	s_add_i32 s7, s6, 0xb18
	v_fma_f64 v[18:19], -v[4:5], v[128:129], v[18:19]
	v_mov_b32_e32 v46, s7
	v_fma_f64 v[18:19], -v[6:7], v[122:123], v[18:19]
	ds_read2_b64 v[120:123], v46 offset1:1
	s_waitcnt lgkmcnt(3)
	v_fma_f64 v[18:19], -v[32:33], v[112:113], v[18:19]
	v_fma_f64 v[18:19], -v[34:35], v[146:147], v[18:19]
	s_add_i32 s7, s6, 0xcd8
	s_waitcnt lgkmcnt(1)
	v_fma_f64 v[18:19], -v[40:41], v[124:125], v[18:19]
	v_mov_b32_e32 v46, s7
	v_fma_f64 v[18:19], -v[42:43], v[106:107], v[18:19]
	ds_read2_b64 v[104:107], v46 offset1:1
	s_add_i32 s7, s6, 0xe98
	s_waitcnt lgkmcnt(1)
	v_fma_f64 v[18:19], -v[56:57], v[120:121], v[18:19]
	v_mov_b32_e32 v46, s7
	v_fma_f64 v[18:19], -v[58:59], v[142:143], v[18:19]
	ds_read2_b64 v[140:143], v46 offset1:1
	s_waitcnt lgkmcnt(1)
	v_fma_f64 v[18:19], -v[64:65], v[104:105], v[18:19]
	v_fma_f64 v[18:19], -v[66:67], v[110:111], v[18:19]
	ds_read_b128 v[108:111], v94 offset:160
	v_fma_f64 v[28:29], -v[80:81], v[136:137], v[28:29]
	s_waitcnt lgkmcnt(1)
	v_fma_f64 v[18:19], -v[78:79], v[140:141], v[18:19]
	v_fma_f64 v[18:19], -v[80:81], v[138:139], v[18:19]
	ds_read_b128 v[136:139], v94 offset:608
	s_waitcnt lgkmcnt(1)
	v_fma_f64 v[46:47], -v[0:1], v[108:109], v[90:91]
	ds_read_b128 v[90:93], v94 offset:1056
	ds_read_b128 v[144:147], v94 offset:2176
	v_fma_f64 v[46:47], -v[2:3], v[154:155], v[46:47]
	s_add_i32 s7, s6, 0x1058
	s_waitcnt lgkmcnt(2)
	v_fma_f64 v[46:47], -v[12:13], v[136:137], v[46:47]
	v_fma_f64 v[46:47], -v[14:15], v[98:99], v[46:47]
	s_waitcnt lgkmcnt(1)
	v_fma_f64 v[46:47], -v[8:9], v[90:91], v[46:47]
	v_fma_f64 v[46:47], -v[10:11], v[100:101], v[46:47]
	ds_read_b128 v[96:99], v94 offset:2624
	v_fma_f64 v[46:47], -v[4:5], v[130:131], v[46:47]
	v_fma_f64 v[46:47], -v[6:7], v[116:117], v[46:47]
	;; [unrolled: 1-line block ×3, first 2 shown]
	ds_read_b128 v[112:115], v94 offset:3072
	s_waitcnt lgkmcnt(2)
	v_fma_f64 v[46:47], -v[34:35], v[144:145], v[46:47]
	v_fma_f64 v[46:47], -v[40:41], v[126:127], v[46:47]
	s_waitcnt lgkmcnt(1)
	v_fma_f64 v[46:47], -v[42:43], v[96:97], v[46:47]
	ds_read_b128 v[124:127], v94 offset:3968
	v_fma_f64 v[46:47], -v[56:57], v[122:123], v[46:47]
	ds_read_b128 v[120:123], v94 offset:3520
	s_waitcnt lgkmcnt(2)
	v_fma_f64 v[46:47], -v[58:59], v[112:113], v[46:47]
	v_mov_b32_e32 v52, s7
	v_fma_f64 v[46:47], -v[64:65], v[106:107], v[46:47]
	ds_read2_b64 v[104:107], v52 offset1:1
	s_waitcnt lgkmcnt(1)
	v_fma_f64 v[46:47], -v[66:67], v[120:121], v[46:47]
	v_fma_f64 v[46:47], -v[78:79], v[142:143], v[46:47]
	ds_read2_b64 v[128:131], v94 offset0:105 offset1:106
	ds_read2_b64 v[140:143], v94 offset0:245 offset1:246
	v_mul_f64 v[108:109], v[134:135], v[28:29]
	v_fma_f64 v[28:29], -v[80:81], v[124:125], v[46:47]
	v_add_u32_e32 v52, 0x1000, v94
	s_waitcnt lgkmcnt(2)
	v_fma_f64 v[18:19], -v[108:109], v[104:105], v[18:19]
	v_fma_f64 v[28:29], -v[108:109], v[106:107], v[28:29]
	;; [unrolled: 1-line block ×3, first 2 shown]
	ds_read2_b64 v[88:91], v52 offset0:15 offset1:39
	ds_read_b128 v[104:107], v94 offset:176
	v_fma_f64 v[24:25], -v[2:3], v[24:25], v[46:47]
	v_fma_f64 v[24:25], -v[12:13], v[138:139], v[24:25]
	s_add_i32 s7, s6, 0x968
	s_waitcnt lgkmcnt(1)
	v_mul_f64 v[110:111], v[90:91], v[18:19]
	v_fma_f64 v[18:19], -v[14:15], v[128:129], v[24:25]
	v_fma_f64 v[18:19], -v[8:9], v[92:93], v[18:19]
	v_fma_f64 v[18:19], -v[10:11], v[102:103], v[18:19]
	v_mov_b32_e32 v24, s7
	v_fma_f64 v[18:19], -v[4:5], v[48:49], v[18:19]
	ds_read2_b64 v[46:49], v24 offset1:1
	s_add_i32 s7, s6, 0xb28
	v_mov_b32_e32 v24, s7
	v_fma_f64 v[18:19], -v[6:7], v[118:119], v[18:19]
	ds_read2_b64 v[100:103], v24 offset1:1
	s_add_i32 s7, s6, 0xce8
	v_fma_f64 v[18:19], -v[32:33], v[140:141], v[18:19]
	v_mov_b32_e32 v24, s7
	v_fma_f64 v[18:19], -v[34:35], v[146:147], v[18:19]
	ds_read2_b64 v[116:119], v24 offset1:1
	s_waitcnt lgkmcnt(2)
	v_fma_f64 v[18:19], -v[40:41], v[46:47], v[18:19]
	v_fma_f64 v[18:19], -v[42:43], v[98:99], v[18:19]
	s_waitcnt lgkmcnt(1)
	v_fma_f64 v[18:19], -v[56:57], v[100:101], v[18:19]
	s_add_i32 s7, s6, 0xea8
	v_fma_f64 v[18:19], -v[58:59], v[114:115], v[18:19]
	v_mov_b32_e32 v24, s7
	s_add_i32 s7, s6, 0x1068
	ds_read_b128 v[132:135], v94 offset:624
	ds_read_b128 v[136:139], v94 offset:1072
	;; [unrolled: 1-line block ×3, first 2 shown]
	s_waitcnt lgkmcnt(3)
	v_fma_f64 v[18:19], -v[64:65], v[116:117], v[18:19]
	ds_read2_b64 v[96:99], v24 offset1:1
	ds_read_b128 v[112:115], v94 offset:4416
	v_mov_b32_e32 v24, s7
	v_fma_f64 v[18:19], -v[66:67], v[122:123], v[18:19]
	ds_read2_b64 v[120:123], v24 offset1:1
	s_waitcnt lgkmcnt(2)
	v_fma_f64 v[18:19], -v[78:79], v[96:97], v[18:19]
	v_fma_f64 v[18:19], -v[80:81], v[126:127], v[18:19]
	s_addk_i32 s6, 0x1228
	s_waitcnt lgkmcnt(1)
	v_fma_f64 v[28:29], -v[110:111], v[112:113], v[28:29]
	s_waitcnt lgkmcnt(0)
	v_fma_f64 v[18:19], -v[108:109], v[120:121], v[18:19]
	v_fma_f64 v[46:47], -v[110:111], v[114:115], v[18:19]
	;; [unrolled: 1-line block ×3, first 2 shown]
	ds_read2_b64 v[112:115], v52 offset0:68 offset1:71
	v_mov_b32_e32 v24, s6
	v_fma_f64 v[18:19], -v[2:3], v[26:27], v[18:19]
	ds_read2_b64 v[24:27], v24 offset1:1
	v_fma_f64 v[18:19], -v[12:13], v[132:133], v[18:19]
	v_fma_f64 v[18:19], -v[14:15], v[130:131], v[18:19]
	ds_read2_b64 v[128:131], v52 offset0:97 offset1:126
	v_fma_f64 v[18:19], -v[8:9], v[136:137], v[18:19]
	v_fma_f64 v[18:19], -v[10:11], v[20:21], v[18:19]
	;; [unrolled: 1-line block ×3, first 2 shown]
	s_waitcnt lgkmcnt(2)
	v_mul_f64 v[50:51], v[112:113], v[28:29]
	s_waitcnt lgkmcnt(1)
	v_fma_f64 v[24:25], -v[50:51], v[24:25], v[46:47]
	s_waitcnt lgkmcnt(0)
	v_mul_f64 v[52:53], v[128:129], v[24:25]
	v_fma_f64 v[24:25], -v[6:7], v[36:37], v[74:75]
	v_fma_f64 v[24:25], -v[32:33], v[142:143], v[24:25]
	;; [unrolled: 1-line block ×4, first 2 shown]
	ds_read_b128 v[124:127], v94 offset:3536
	ds_read_b128 v[18:21], v94 offset:3984
	global_store_dwordx4 v[82:83], v[0:3], off
	global_store_dwordx4 v[82:83], v[12:15], off offset:16
	global_store_dwordx4 v[82:83], v[8:11], off offset:32
	;; [unrolled: 1-line block ×10, first 2 shown]
	v_fma_f64 v[24:25], -v[42:43], v[68:69], v[24:25]
	v_fma_f64 v[24:25], -v[56:57], v[102:103], v[24:25]
	ds_read2_b64 v[100:103], v94 offset0:51 offset1:107
	v_fma_f64 v[0:1], -v[0:1], v[106:107], v[84:85]
	v_fma_f64 v[24:25], -v[58:59], v[90:91], v[24:25]
	;; [unrolled: 1-line block ×3, first 2 shown]
	ds_read_b128 v[46:49], v94 offset:4432
	s_waitcnt lgkmcnt(1)
	v_fma_f64 v[0:1], -v[2:3], v[100:101], v[0:1]
	v_fma_f64 v[0:1], -v[12:13], v[134:135], v[0:1]
	;; [unrolled: 1-line block ×16, first 2 shown]
	ds_read_b128 v[96:99], v94 offset:4880
	v_fma_f64 v[0:1], -v[66:67], v[126:127], v[0:1]
	v_fma_f64 v[18:19], -v[80:81], v[18:19], v[24:25]
	;; [unrolled: 1-line block ×3, first 2 shown]
	s_mul_i32 s7, s9, 0xe8
	v_fma_f64 v[18:19], -v[108:109], v[122:123], v[18:19]
	v_fma_f64 v[0:1], -v[80:81], v[20:21], v[0:1]
	ds_read_b64 v[2:3], v94 offset:5112
	v_mov_b32_e32 v4, s7
	s_waitcnt lgkmcnt(2)
	v_fma_f64 v[18:19], -v[110:111], v[46:47], v[18:19]
	v_fma_f64 v[0:1], -v[108:109], v[88:89], v[0:1]
	ds_read_b64 v[4:5], v4
	v_fma_f64 v[18:19], -v[50:51], v[26:27], v[18:19]
	v_fma_f64 v[0:1], -v[110:111], v[48:49], v[0:1]
	s_waitcnt lgkmcnt(2)
	v_fma_f64 v[18:19], -v[52:53], v[96:97], v[18:19]
	v_fma_f64 v[0:1], -v[50:51], v[114:115], v[0:1]
	v_mul_f64 v[18:19], v[130:131], v[18:19]
	v_fma_f64 v[0:1], -v[52:53], v[98:99], v[0:1]
	s_waitcnt lgkmcnt(1)
	v_fma_f64 v[0:1], -v[18:19], v[2:3], v[0:1]
	s_add_i32 s8, s8, 24
	s_waitcnt lgkmcnt(0)
	v_mul_f64 v[20:21], v[4:5], v[0:1]
	global_store_dwordx4 v[82:83], v[18:21], off offset:176
.LBB100_43:
	s_cmp_ge_i32 s8, s16
	s_cbranch_scc1 .LBB100_54
; %bb.44:
	s_add_i32 s6, s8, -1
	s_lshl_b32 s7, s8, 3
	s_add_u32 s4, s10, s4
	s_addc_u32 s5, s11, s5
	s_add_u32 s2, s4, s2
	s_addc_u32 s3, s5, s3
	v_mov_b32_e32 v0, s3
	v_add_co_u32_e32 v8, vcc, s2, v150
	v_addc_co_u32_e32 v9, vcc, v0, v151, vcc
	v_add_co_u32_e32 v0, vcc, 56, v8
	v_addc_co_u32_e32 v1, vcc, 0, v9, vcc
	s_mov_b32 s3, 0
	s_mov_b32 s5, s8
	;; [unrolled: 1-line block ×3, first 2 shown]
	s_branch .LBB100_46
.LBB100_45:                             ;   in Loop: Header=BB100_46 Depth=1
	s_mul_i32 s2, s8, 0xe8
	v_mov_b32_e32 v6, s2
	ds_read_b64 v[6:7], v6
	s_add_i32 s8, s8, 1
	s_add_i32 s4, s4, 1
	;; [unrolled: 1-line block ×3, first 2 shown]
	v_add_u16_e64 v10, s5, 1
	s_waitcnt lgkmcnt(0)
	v_mul_f64 v[4:5], v[6:7], v[4:5]
	s_cmp_ge_i32 s8, s16
	v_readfirstlane_b32 s5, v10
	global_store_dwordx2 v[2:3], v[4:5], off
	s_cbranch_scc1 .LBB100_54
.LBB100_46:                             ; =>This Loop Header: Depth=1
                                        ;     Child Loop BB100_49 Depth 2
                                        ;     Child Loop BB100_53 Depth 2
	s_ashr_i32 s9, s8, 31
	s_lshl_b64 s[10:11], s[8:9], 3
	v_mov_b32_e32 v3, s11
	v_add_co_u32_e32 v2, vcc, s10, v148
	v_addc_co_u32_e32 v3, vcc, v149, v3, vcc
	global_load_dwordx2 v[4:5], v[2:3], off
	s_cmp_eq_u32 s8, 0
	s_waitcnt vmcnt(0)
	v_mul_f64 v[4:5], v[4:5], s[0:1]
	s_cbranch_scc1 .LBB100_45
; %bb.47:                               ;   in Loop: Header=BB100_46 Depth=1
	s_add_i32 s2, s6, s4
	s_cmp_lt_u32 s2, 7
	s_cbranch_scc1 .LBB100_51
; %bb.48:                               ;   in Loop: Header=BB100_46 Depth=1
	s_and_b32 s2, s8, -8
	s_mov_b32 s9, 0
	v_pk_mov_b32 v[6:7], v[0:1], v[0:1] op_sel:[0,1]
	s_mov_b32 s10, s7
.LBB100_49:                             ;   Parent Loop BB100_46 Depth=1
                                        ; =>  This Inner Loop Header: Depth=2
	global_load_dwordx4 v[10:13], v[6:7], off offset:-56
	global_load_dwordx4 v[14:17], v[6:7], off offset:-40
	;; [unrolled: 1-line block ×4, first 2 shown]
	v_mov_b32_e32 v38, s10
	ds_read2_b64 v[26:29], v38 offset1:28
	ds_read2_b64 v[30:33], v38 offset0:56 offset1:84
	ds_read2_b64 v[34:37], v38 offset0:112 offset1:140
	;; [unrolled: 1-line block ×3, first 2 shown]
	s_add_i32 s9, s9, 8
	s_addk_i32 s10, 0x700
	v_add_co_u32_e32 v6, vcc, 64, v6
	v_addc_co_u32_e32 v7, vcc, 0, v7, vcc
	s_cmp_lg_u32 s2, s9
	s_waitcnt vmcnt(3) lgkmcnt(3)
	v_fma_f64 v[4:5], -v[10:11], v[26:27], v[4:5]
	v_fma_f64 v[4:5], -v[12:13], v[28:29], v[4:5]
	s_waitcnt vmcnt(2) lgkmcnt(2)
	v_fma_f64 v[4:5], -v[14:15], v[30:31], v[4:5]
	v_fma_f64 v[4:5], -v[16:17], v[32:33], v[4:5]
	;; [unrolled: 3-line block ×4, first 2 shown]
	s_cbranch_scc1 .LBB100_49
; %bb.50:                               ;   in Loop: Header=BB100_46 Depth=1
	s_and_b32 s9, s8, 7
	s_cmp_eq_u32 s9, 0
	s_cbranch_scc0 .LBB100_52
	s_branch .LBB100_45
.LBB100_51:                             ;   in Loop: Header=BB100_46 Depth=1
	s_mov_b32 s2, 0
	s_and_b32 s9, s8, 7
	s_cmp_eq_u32 s9, 0
	s_cbranch_scc1 .LBB100_45
.LBB100_52:                             ;   in Loop: Header=BB100_46 Depth=1
	s_lshl_b64 s[12:13], s[2:3], 3
	v_mov_b32_e32 v7, s13
	v_add_co_u32_e32 v6, vcc, s12, v8
	s_and_b32 s9, s5, 7
	s_mul_i32 s10, s2, 0xe0
	v_addc_co_u32_e32 v7, vcc, v9, v7, vcc
.LBB100_53:                             ;   Parent Loop BB100_46 Depth=1
                                        ; =>  This Inner Loop Header: Depth=2
	global_load_dwordx2 v[10:11], v[6:7], off
	s_add_i32 s2, s7, s10
	v_mov_b32_e32 v12, s2
	ds_read_b64 v[12:13], v12
	s_addk_i32 s10, 0xe0
	v_add_co_u32_e32 v6, vcc, 8, v6
	s_add_i32 s9, s9, -1
	v_addc_co_u32_e32 v7, vcc, 0, v7, vcc
	s_cmp_lg_u32 s9, 0
	s_waitcnt vmcnt(0) lgkmcnt(0)
	v_fma_f64 v[4:5], -v[10:11], v[12:13], v[4:5]
	s_cbranch_scc1 .LBB100_53
	s_branch .LBB100_45
.LBB100_54:
	s_endpgm
	.section	.rodata,"a",@progbits
	.p2align	6, 0x0
	.amdhsa_kernel _ZL30rocblas_trsm_small_left_deviceILi28ELi28ELb1EddPKdPdEv13rocblas_fill_18rocblas_operation_17rocblas_diagonal_iiT3_T4_lilT5_lili
		.amdhsa_group_segment_fixed_size 6272
		.amdhsa_private_segment_fixed_size 0
		.amdhsa_kernarg_size 360
		.amdhsa_user_sgpr_count 6
		.amdhsa_user_sgpr_private_segment_buffer 1
		.amdhsa_user_sgpr_dispatch_ptr 0
		.amdhsa_user_sgpr_queue_ptr 0
		.amdhsa_user_sgpr_kernarg_segment_ptr 1
		.amdhsa_user_sgpr_dispatch_id 0
		.amdhsa_user_sgpr_flat_scratch_init 0
		.amdhsa_user_sgpr_kernarg_preload_length 0
		.amdhsa_user_sgpr_kernarg_preload_offset 0
		.amdhsa_user_sgpr_private_segment_size 0
		.amdhsa_uses_dynamic_stack 0
		.amdhsa_system_sgpr_private_segment_wavefront_offset 0
		.amdhsa_system_sgpr_workgroup_id_x 1
		.amdhsa_system_sgpr_workgroup_id_y 0
		.amdhsa_system_sgpr_workgroup_id_z 1
		.amdhsa_system_sgpr_workgroup_info 0
		.amdhsa_system_vgpr_workitem_id 0
		.amdhsa_next_free_vgpr 164
		.amdhsa_next_free_sgpr 37
		.amdhsa_accum_offset 164
		.amdhsa_reserve_vcc 1
		.amdhsa_reserve_flat_scratch 0
		.amdhsa_float_round_mode_32 0
		.amdhsa_float_round_mode_16_64 0
		.amdhsa_float_denorm_mode_32 3
		.amdhsa_float_denorm_mode_16_64 3
		.amdhsa_dx10_clamp 1
		.amdhsa_ieee_mode 1
		.amdhsa_fp16_overflow 0
		.amdhsa_tg_split 0
		.amdhsa_exception_fp_ieee_invalid_op 0
		.amdhsa_exception_fp_denorm_src 0
		.amdhsa_exception_fp_ieee_div_zero 0
		.amdhsa_exception_fp_ieee_overflow 0
		.amdhsa_exception_fp_ieee_underflow 0
		.amdhsa_exception_fp_ieee_inexact 0
		.amdhsa_exception_int_div_zero 0
	.end_amdhsa_kernel
	.section	.text._ZL30rocblas_trsm_small_left_deviceILi28ELi28ELb1EddPKdPdEv13rocblas_fill_18rocblas_operation_17rocblas_diagonal_iiT3_T4_lilT5_lili,"axG",@progbits,_ZL30rocblas_trsm_small_left_deviceILi28ELi28ELb1EddPKdPdEv13rocblas_fill_18rocblas_operation_17rocblas_diagonal_iiT3_T4_lilT5_lili,comdat
.Lfunc_end100:
	.size	_ZL30rocblas_trsm_small_left_deviceILi28ELi28ELb1EddPKdPdEv13rocblas_fill_18rocblas_operation_17rocblas_diagonal_iiT3_T4_lilT5_lili, .Lfunc_end100-_ZL30rocblas_trsm_small_left_deviceILi28ELi28ELb1EddPKdPdEv13rocblas_fill_18rocblas_operation_17rocblas_diagonal_iiT3_T4_lilT5_lili
                                        ; -- End function
	.section	.AMDGPU.csdata,"",@progbits
; Kernel info:
; codeLenInByte = 29472
; NumSgprs: 41
; NumVgprs: 164
; NumAgprs: 0
; TotalNumVgprs: 164
; ScratchSize: 0
; MemoryBound: 1
; FloatMode: 240
; IeeeMode: 1
; LDSByteSize: 6272 bytes/workgroup (compile time only)
; SGPRBlocks: 5
; VGPRBlocks: 20
; NumSGPRsForWavesPerEU: 41
; NumVGPRsForWavesPerEU: 164
; AccumOffset: 164
; Occupancy: 3
; WaveLimiterHint : 1
; COMPUTE_PGM_RSRC2:SCRATCH_EN: 0
; COMPUTE_PGM_RSRC2:USER_SGPR: 6
; COMPUTE_PGM_RSRC2:TRAP_HANDLER: 0
; COMPUTE_PGM_RSRC2:TGID_X_EN: 1
; COMPUTE_PGM_RSRC2:TGID_Y_EN: 0
; COMPUTE_PGM_RSRC2:TGID_Z_EN: 1
; COMPUTE_PGM_RSRC2:TIDIG_COMP_CNT: 0
; COMPUTE_PGM_RSRC3_GFX90A:ACCUM_OFFSET: 40
; COMPUTE_PGM_RSRC3_GFX90A:TG_SPLIT: 0
	.section	.text._ZL31rocblas_trsm_small_right_deviceIddPKdPdLi28EEv13rocblas_fill_18rocblas_operation_17rocblas_diagonal_iiT0_T1_lilT2_lili,"axG",@progbits,_ZL31rocblas_trsm_small_right_deviceIddPKdPdLi28EEv13rocblas_fill_18rocblas_operation_17rocblas_diagonal_iiT0_T1_lilT2_lili,comdat
	.globl	_ZL31rocblas_trsm_small_right_deviceIddPKdPdLi28EEv13rocblas_fill_18rocblas_operation_17rocblas_diagonal_iiT0_T1_lilT2_lili ; -- Begin function _ZL31rocblas_trsm_small_right_deviceIddPKdPdLi28EEv13rocblas_fill_18rocblas_operation_17rocblas_diagonal_iiT0_T1_lilT2_lili
	.p2align	8
	.type	_ZL31rocblas_trsm_small_right_deviceIddPKdPdLi28EEv13rocblas_fill_18rocblas_operation_17rocblas_diagonal_iiT0_T1_lilT2_lili,@function
_ZL31rocblas_trsm_small_right_deviceIddPKdPdLi28EEv13rocblas_fill_18rocblas_operation_17rocblas_diagonal_iiT0_T1_lilT2_lili: ; @_ZL31rocblas_trsm_small_right_deviceIddPKdPdLi28EEv13rocblas_fill_18rocblas_operation_17rocblas_diagonal_iiT0_T1_lilT2_lili
; %bb.0:
	s_load_dwordx4 s[8:11], s[4:5], 0x0
	s_load_dword s30, s[4:5], 0x10
	s_load_dwordx4 s[12:15], s[4:5], 0x18
	s_load_dwordx2 s[20:21], s[4:5], 0x28
	s_load_dwordx4 s[0:3], s[4:5], 0x38
	s_load_dwordx2 s[16:17], s[4:5], 0x48
	s_waitcnt lgkmcnt(0)
	s_min_i32 s31, s30, 28
	s_mov_b32 s34, 0
	s_add_i32 s33, s31, -1
	v_cmp_gt_i32_e32 vcc, s31, v0
	s_and_saveexec_b64 s[18:19], vcc
	s_cbranch_execz .LBB101_9
; %bb.1:
	s_load_dword s22, s[4:5], 0x30
	s_mul_i32 s1, s7, s1
	s_mul_hi_u32 s24, s7, s0
	s_add_i32 s1, s24, s1
	s_mul_i32 s0, s7, s0
	s_waitcnt lgkmcnt(0)
	s_ashr_i32 s23, s22, 31
	s_cmp_lt_u32 s33, 3
	s_cbranch_scc1 .LBB101_4
; %bb.2:
	s_lshl_b64 s[24:25], s[0:1], 3
	s_add_u32 s26, s14, s24
	s_addc_u32 s27, s15, s25
	s_lshl_b64 s[24:25], s[20:21], 3
	s_add_u32 s24, s26, s24
	s_addc_u32 s25, s27, s25
	v_lshlrev_b32_e32 v1, 3, v0
	v_mov_b32_e32 v3, s25
	v_add_co_u32_e32 v2, vcc, s24, v1
	s_mul_hi_i32 s37, s22, 24
	s_lshl_b64 s[24:25], s[22:23], 5
	s_lshl_b64 s[26:27], s[22:23], 4
	;; [unrolled: 1-line block ×3, first 2 shown]
	v_addc_co_u32_e32 v3, vcc, 0, v3, vcc
	s_and_b32 s34, s31, -4
	s_mul_i32 s35, s22, 24
	s_mov_b32 s36, 0
	v_mov_b32_e32 v4, s29
	v_mov_b32_e32 v5, s27
	;; [unrolled: 1-line block ×4, first 2 shown]
.LBB101_3:                              ; =>This Inner Loop Header: Depth=1
	v_add_co_u32_e32 v10, vcc, s28, v2
	v_addc_co_u32_e32 v11, vcc, v3, v4, vcc
	v_add_co_u32_e32 v12, vcc, s26, v2
	v_addc_co_u32_e32 v13, vcc, v3, v5, vcc
	v_add_co_u32_e32 v14, vcc, s35, v2
	global_load_dwordx2 v[8:9], v[2:3], off
	v_addc_co_u32_e32 v15, vcc, v3, v6, vcc
	global_load_dwordx2 v[16:17], v[10:11], off
	global_load_dwordx2 v[18:19], v[12:13], off
	;; [unrolled: 1-line block ×3, first 2 shown]
	s_add_i32 s36, s36, 4
	v_add_co_u32_e32 v2, vcc, s24, v2
	v_addc_co_u32_e32 v3, vcc, v3, v7, vcc
	s_cmp_eq_u32 s34, s36
	s_waitcnt vmcnt(2)
	ds_write2_b64 v1, v[8:9], v[16:17] offset1:28
	s_waitcnt vmcnt(0)
	ds_write2_b64 v1, v[18:19], v[20:21] offset0:56 offset1:84
	v_add_u32_e32 v1, 0x380, v1
	s_cbranch_scc0 .LBB101_3
.LBB101_4:
	s_and_b32 s24, s31, 3
	s_cmp_eq_u32 s24, 0
	s_cbranch_scc1 .LBB101_7
; %bb.5:
	s_mul_i32 s25, s34, 0xe0
	v_lshl_add_u32 v1, v0, 3, s25
	s_mul_i32 s25, s23, s34
	s_mul_hi_u32 s26, s22, s34
	s_add_i32 s27, s26, s25
	s_mul_i32 s26, s22, s34
	s_lshl_b64 s[0:1], s[0:1], 3
	s_lshl_b64 s[26:27], s[26:27], 3
	s_add_u32 s25, s0, s26
	s_addc_u32 s26, s1, s27
	s_lshl_b64 s[0:1], s[20:21], 3
	s_add_u32 s0, s25, s0
	s_addc_u32 s1, s26, s1
	s_add_u32 s0, s14, s0
	v_lshlrev_b32_e32 v2, 3, v0
	s_addc_u32 s1, s15, s1
	v_mov_b32_e32 v3, s1
	v_add_co_u32_e32 v2, vcc, s0, v2
	s_lshl_b64 s[0:1], s[22:23], 3
	v_addc_co_u32_e32 v3, vcc, 0, v3, vcc
	v_mov_b32_e32 v4, s1
.LBB101_6:                              ; =>This Inner Loop Header: Depth=1
	global_load_dwordx2 v[6:7], v[2:3], off
	v_add_co_u32_e32 v2, vcc, s0, v2
	s_add_i32 s24, s24, -1
	v_addc_co_u32_e32 v3, vcc, v3, v4, vcc
	s_cmp_lg_u32 s24, 0
	s_waitcnt vmcnt(0)
	ds_write_b64 v1, v[6:7]
	v_add_u32_e32 v1, 0xe0, v1
	s_cbranch_scc1 .LBB101_6
.LBB101_7:
	s_cmpk_eq_i32 s10, 0x84
	s_cbranch_scc0 .LBB101_9
; %bb.8:
	v_mul_u32_u24_e32 v1, 29, v0
	v_lshlrev_b32_e32 v1, 3, v1
	v_mov_b32_e32 v2, 0
	v_mov_b32_e32 v3, 0x3ff00000
	ds_write_b64 v1, v[2:3]
.LBB101_9:
	s_or_b64 exec, exec, s[18:19]
	s_load_dword s1, s[4:5], 0x68
	s_load_dwordx2 s[14:15], s[4:5], 0x58
	s_load_dword s0, s[4:5], 0x50
	s_mul_i32 s23, s6, 0xe0
	s_mul_hi_i32 s22, s6, 0xe0
	s_mov_b32 s26, 0
	s_waitcnt lgkmcnt(0)
	s_mul_i32 s5, s7, s15
	s_mul_hi_u32 s10, s7, s14
	s_mul_i32 s4, s7, s14
	s_add_i32 s5, s10, s5
	s_lshl_b64 s[14:15], s[4:5], 3
	s_add_u32 s7, s2, s14
	s_addc_u32 s10, s3, s15
	s_lshl_b64 s[4:5], s[16:17], 3
	s_add_u32 s7, s7, s4
	s_mul_i32 s16, s6, 0xffffffe4
	s_addc_u32 s10, s10, s5
	s_add_i32 s1, s1, -1
	s_add_i32 s16, s16, s11
	s_cmp_ge_u32 s6, s1
	s_cselect_b32 s1, s16, 28
	s_add_u32 s24, s7, s23
	s_addc_u32 s25, s10, s22
	s_cmp_gt_i32 s30, 0
	v_cmp_gt_i32_e32 vcc, s1, v0
	s_cselect_b64 s[6:7], -1, 0
	s_and_b64 s[6:7], vcc, s[6:7]
	s_and_saveexec_b64 s[10:11], s[6:7]
	s_cbranch_execz .LBB101_16
; %bb.10:
	s_ashr_i32 s1, s0, 31
	s_cmp_lt_u32 s30, 4
	s_cbranch_scc1 .LBB101_13
; %bb.11:
	v_lshlrev_b32_e32 v1, 3, v0
	v_mov_b32_e32 v3, s25
	v_add_co_u32_e32 v2, vcc, s24, v1
	s_mul_hi_i32 s29, s0, 24
	s_lshl_b64 s[16:17], s[0:1], 5
	s_lshl_b64 s[18:19], s[0:1], 4
	;; [unrolled: 1-line block ×3, first 2 shown]
	v_mov_b32_e32 v1, 0x1880
	v_addc_co_u32_e32 v3, vcc, 0, v3, vcc
	s_and_b32 s26, s30, 0x7ffffffc
	s_mul_i32 s27, s0, 24
	v_lshl_add_u32 v1, v0, 3, v1
	s_mov_b32 s28, 0
	v_mov_b32_e32 v4, s21
	v_mov_b32_e32 v5, s19
	;; [unrolled: 1-line block ×4, first 2 shown]
.LBB101_12:                             ; =>This Inner Loop Header: Depth=1
	v_add_co_u32_e32 v10, vcc, s20, v2
	v_addc_co_u32_e32 v11, vcc, v3, v4, vcc
	v_add_co_u32_e32 v12, vcc, s18, v2
	v_addc_co_u32_e32 v13, vcc, v3, v5, vcc
	global_load_dwordx2 v[8:9], v[2:3], off
	v_add_co_u32_e32 v14, vcc, s27, v2
	v_addc_co_u32_e32 v15, vcc, v3, v6, vcc
	global_load_dwordx2 v[16:17], v[10:11], off
	global_load_dwordx2 v[18:19], v[12:13], off
	;; [unrolled: 1-line block ×3, first 2 shown]
	s_add_i32 s28, s28, 4
	v_add_co_u32_e32 v2, vcc, s16, v2
	v_addc_co_u32_e32 v3, vcc, v3, v7, vcc
	s_cmp_lg_u32 s26, s28
	s_waitcnt vmcnt(3)
	v_mul_f64 v[8:9], v[8:9], s[12:13]
	s_waitcnt vmcnt(2)
	v_mul_f64 v[10:11], v[16:17], s[12:13]
	;; [unrolled: 2-line block ×4, first 2 shown]
	ds_write2_b64 v1, v[8:9], v[10:11] offset1:28
	ds_write2_b64 v1, v[12:13], v[14:15] offset0:56 offset1:84
	v_add_u32_e32 v1, 0x380, v1
	s_cbranch_scc1 .LBB101_12
.LBB101_13:
	s_and_b32 s18, s30, 3
	s_cmp_eq_u32 s18, 0
	s_cbranch_scc1 .LBB101_16
; %bb.14:
	s_mul_i32 s16, s26, 0xe0
	v_lshl_add_u32 v1, v0, 3, s16
	s_mul_hi_i32 s17, s0, s26
	s_mul_i32 s16, s0, s26
	s_lshl_b64 s[16:17], s[16:17], 3
	s_add_u32 s16, s14, s16
	s_addc_u32 s17, s15, s17
	s_add_u32 s16, s16, s23
	s_addc_u32 s17, s17, s22
	;; [unrolled: 2-line block ×3, first 2 shown]
	s_add_u32 s16, s2, s16
	v_lshlrev_b32_e32 v2, 3, v0
	s_addc_u32 s17, s3, s17
	v_mov_b32_e32 v3, s17
	v_add_co_u32_e32 v2, vcc, s16, v2
	s_lshl_b64 s[16:17], s[0:1], 3
	v_add_u32_e32 v1, 0x1880, v1
	v_addc_co_u32_e32 v3, vcc, 0, v3, vcc
	v_mov_b32_e32 v4, s17
.LBB101_15:                             ; =>This Inner Loop Header: Depth=1
	global_load_dwordx2 v[6:7], v[2:3], off
	v_add_co_u32_e32 v2, vcc, s16, v2
	s_add_i32 s18, s18, -1
	v_addc_co_u32_e32 v3, vcc, v3, v4, vcc
	s_cmp_lg_u32 s18, 0
	s_waitcnt vmcnt(0)
	v_mul_f64 v[6:7], v[6:7], s[12:13]
	ds_write_b64 v1, v[6:7]
	v_add_u32_e32 v1, 0xe0, v1
	s_cbranch_scc1 .LBB101_15
.LBB101_16:
	s_or_b64 exec, exec, s[10:11]
	s_cmpk_eq_i32 s9, 0x6f
	s_cselect_b64 s[12:13], -1, 0
	s_cmpk_eq_i32 s8, 0x79
	s_cselect_b64 s[16:17], -1, 0
	s_cmpk_lg_i32 s8, 0x79
	s_cselect_b64 s[10:11], -1, 0
	s_and_b64 s[16:17], s[16:17], s[12:13]
	s_andn2_b64 vcc, exec, s[16:17]
	s_mov_b64 s[16:17], -1
	s_waitcnt lgkmcnt(0)
	; wave barrier
	s_waitcnt lgkmcnt(0)
	s_cbranch_vccz .LBB101_80
; %bb.17:
	s_cmpk_lg_i32 s8, 0x7a
	s_cselect_b64 s[8:9], -1, 0
	s_xor_b64 s[12:13], s[12:13], -1
	s_or_b64 s[12:13], s[8:9], s[12:13]
	s_cmp_gt_i32 s30, 3
	s_cselect_b64 s[8:9], -1, 0
	s_and_b64 vcc, exec, s[12:13]
	s_cbranch_vccz .LBB101_59
; %bb.18:
	s_andn2_b64 vcc, exec, s[10:11]
	s_mov_b64 s[10:11], -1
	s_cbranch_vccnz .LBB101_38
; %bb.19:
	s_andn2_b64 vcc, exec, s[8:9]
	s_mov_b32 s11, 0
	s_cbranch_vccnz .LBB101_26
; %bb.20:
	v_mov_b32_e32 v1, 0x1880
	v_lshl_add_u32 v1, v0, 3, v1
	s_mov_b32 s1, 0
	s_mov_b32 s10, 0
.LBB101_21:                             ; =>This Loop Header: Depth=1
                                        ;     Child Loop BB101_23 Depth 2
	s_mul_i32 s12, s10, 28
	v_add_lshl_u32 v10, s12, v0, 3
	s_add_i32 s11, s12, 28
	s_add_i32 s12, s12, 56
	v_add_lshl_u32 v12, s12, v0, 3
	v_add_u32_e32 v2, 0x1800, v12
	v_add_lshl_u32 v11, s11, v0, 3
	ds_read_b64 v[8:9], v10 offset:6272
	ds_read_b64 v[6:7], v11 offset:6272
	ds_read2_b64 v[2:5], v2 offset0:16 offset1:44
	s_cmp_eq_u32 s10, 0
	s_cbranch_scc1 .LBB101_24
; %bb.22:                               ;   in Loop: Header=BB101_21 Depth=1
	s_mov_b32 s12, 0
	v_mov_b32_e32 v13, v1
	s_mov_b32 s13, s1
.LBB101_23:                             ;   Parent Loop BB101_21 Depth=1
                                        ; =>  This Inner Loop Header: Depth=2
	ds_read2_b64 v[14:17], v13 offset1:28
	v_mov_b32_e32 v50, s13
	ds_read2_b64 v[18:21], v13 offset0:56 offset1:84
	ds_read_b128 v[22:25], v50
	ds_read_b128 v[26:29], v50 offset:16
	ds_read_b128 v[30:33], v50 offset:224
	;; [unrolled: 1-line block ×7, first 2 shown]
	s_add_i32 s12, s12, 4
	s_waitcnt lgkmcnt(7)
	v_fma_f64 v[8:9], -v[14:15], v[22:23], v[8:9]
	v_fma_f64 v[6:7], -v[14:15], v[24:25], v[6:7]
	s_waitcnt lgkmcnt(6)
	v_fma_f64 v[2:3], -v[14:15], v[26:27], v[2:3]
	v_fma_f64 v[4:5], -v[14:15], v[28:29], v[4:5]
	;; [unrolled: 3-line block ×4, first 2 shown]
	s_addk_i32 s13, 0x380
	s_waitcnt lgkmcnt(3)
	v_fma_f64 v[8:9], -v[18:19], v[38:39], v[8:9]
	v_fma_f64 v[6:7], -v[18:19], v[40:41], v[6:7]
	s_waitcnt lgkmcnt(2)
	v_fma_f64 v[2:3], -v[18:19], v[42:43], v[2:3]
	v_fma_f64 v[4:5], -v[18:19], v[44:45], v[4:5]
	v_add_u32_e32 v13, 0x380, v13
	s_cmp_ge_u32 s12, s10
	s_waitcnt lgkmcnt(1)
	v_fma_f64 v[8:9], -v[20:21], v[46:47], v[8:9]
	v_fma_f64 v[6:7], -v[20:21], v[48:49], v[6:7]
	s_waitcnt lgkmcnt(0)
	v_fma_f64 v[2:3], -v[20:21], v[50:51], v[2:3]
	v_fma_f64 v[4:5], -v[20:21], v[52:53], v[4:5]
	s_cbranch_scc0 .LBB101_23
.LBB101_24:                             ;   in Loop: Header=BB101_21 Depth=1
	s_mul_i32 s12, s10, 0xe8
	v_add_u32_e32 v13, 0x1880, v10
	v_add_u32_e32 v10, 0x1880, v12
	v_mov_b32_e32 v12, s12
	ds_read_b128 v[14:17], v12
	ds_read_b128 v[18:21], v12 offset:16
	ds_read2_b64 v[22:25], v12 offset0:29 offset1:30
	ds_read_b128 v[26:29], v12 offset:464
	s_add_i32 s11, s11, s10
	s_lshl_b32 s11, s11, 3
	s_waitcnt lgkmcnt(3)
	v_div_scale_f64 v[30:31], s[12:13], v[14:15], v[14:15], v[8:9]
	v_rcp_f64_e32 v[32:33], v[30:31]
	v_div_scale_f64 v[34:35], vcc, v[8:9], v[14:15], v[8:9]
	v_add_u32_e32 v11, 0x1880, v11
	v_fma_f64 v[36:37], -v[30:31], v[32:33], 1.0
	v_fmac_f64_e32 v[32:33], v[32:33], v[36:37]
	v_fma_f64 v[36:37], -v[30:31], v[32:33], 1.0
	v_fmac_f64_e32 v[32:33], v[32:33], v[36:37]
	v_mul_f64 v[36:37], v[34:35], v[32:33]
	v_fma_f64 v[30:31], -v[30:31], v[36:37], v[34:35]
	v_div_fmas_f64 v[30:31], v[30:31], v[32:33], v[36:37]
	v_div_fixup_f64 v[8:9], v[30:31], v[14:15], v[8:9]
	v_fma_f64 v[6:7], -v[8:9], v[16:17], v[6:7]
	s_waitcnt lgkmcnt(1)
	v_div_scale_f64 v[14:15], s[12:13], v[22:23], v[22:23], v[6:7]
	v_rcp_f64_e32 v[16:17], v[14:15]
	v_div_scale_f64 v[30:31], vcc, v[6:7], v[22:23], v[6:7]
	v_fma_f64 v[2:3], -v[8:9], v[18:19], v[2:3]
	v_fma_f64 v[32:33], -v[14:15], v[16:17], 1.0
	v_fmac_f64_e32 v[16:17], v[16:17], v[32:33]
	v_fma_f64 v[32:33], -v[14:15], v[16:17], 1.0
	v_fmac_f64_e32 v[16:17], v[16:17], v[32:33]
	v_mul_f64 v[32:33], v[30:31], v[16:17]
	v_fma_f64 v[14:15], -v[14:15], v[32:33], v[30:31]
	v_div_fmas_f64 v[14:15], v[14:15], v[16:17], v[32:33]
	v_div_fixup_f64 v[6:7], v[14:15], v[22:23], v[6:7]
	v_fma_f64 v[2:3], -v[6:7], v[24:25], v[2:3]
	s_waitcnt lgkmcnt(0)
	v_div_scale_f64 v[14:15], s[12:13], v[26:27], v[26:27], v[2:3]
	v_rcp_f64_e32 v[16:17], v[14:15]
	v_fma_f64 v[4:5], -v[8:9], v[20:21], v[4:5]
	s_add_i32 s1, s1, 32
	v_fma_f64 v[18:19], -v[14:15], v[16:17], 1.0
	v_fmac_f64_e32 v[16:17], v[16:17], v[18:19]
	v_fma_f64 v[18:19], -v[14:15], v[16:17], 1.0
	v_fmac_f64_e32 v[16:17], v[16:17], v[18:19]
	v_div_scale_f64 v[18:19], vcc, v[2:3], v[26:27], v[2:3]
	v_mul_f64 v[22:23], v[18:19], v[16:17]
	v_fma_f64 v[14:15], -v[14:15], v[22:23], v[18:19]
	v_mov_b32_e32 v18, s11
	ds_read_b64 v[18:19], v18 offset:24
	v_div_fmas_f64 v[14:15], v[14:15], v[16:17], v[22:23]
	v_div_fixup_f64 v[2:3], v[14:15], v[26:27], v[2:3]
	ds_read_b64 v[14:15], v12 offset:696
	ds_write_b64 v13, v[8:9]
	ds_write_b64 v11, v[6:7]
	s_waitcnt lgkmcnt(3)
	v_fma_f64 v[4:5], -v[6:7], v[18:19], v[4:5]
	v_fma_f64 v[4:5], -v[2:3], v[28:29], v[4:5]
	s_add_i32 s11, s10, 4
	s_waitcnt lgkmcnt(2)
	v_div_scale_f64 v[16:17], s[12:13], v[14:15], v[14:15], v[4:5]
	v_rcp_f64_e32 v[18:19], v[16:17]
	s_add_i32 s10, s10, 7
	s_cmp_ge_i32 s10, s31
	v_fma_f64 v[6:7], -v[16:17], v[18:19], 1.0
	v_fmac_f64_e32 v[18:19], v[18:19], v[6:7]
	v_fma_f64 v[6:7], -v[16:17], v[18:19], 1.0
	v_fmac_f64_e32 v[18:19], v[18:19], v[6:7]
	v_div_scale_f64 v[6:7], vcc, v[4:5], v[14:15], v[4:5]
	v_mul_f64 v[8:9], v[6:7], v[18:19]
	v_fma_f64 v[6:7], -v[16:17], v[8:9], v[6:7]
	s_nop 1
	v_div_fmas_f64 v[6:7], v[6:7], v[18:19], v[8:9]
	v_div_fixup_f64 v[4:5], v[6:7], v[14:15], v[4:5]
	ds_write2_b64 v10, v[2:3], v[4:5] offset1:28
	s_cbranch_scc1 .LBB101_26
; %bb.25:                               ;   in Loop: Header=BB101_21 Depth=1
	s_mov_b32 s10, s11
	s_branch .LBB101_21
.LBB101_26:
	s_cmp_ge_i32 s11, s31
	s_cbranch_scc1 .LBB101_37
; %bb.27:
	v_mov_b32_e32 v1, 0x1880
	s_add_i32 s1, s11, -1
	s_lshl_b32 s10, s11, 3
	v_lshl_add_u32 v1, v0, 3, v1
	s_mov_b32 s12, 0
	s_mov_b32 s13, s11
	s_branch .LBB101_29
.LBB101_28:                             ;   in Loop: Header=BB101_29 Depth=1
	s_mul_i32 s16, s11, 0xe8
	v_mov_b32_e32 v5, s16
	ds_read_b64 v[6:7], v5
	v_add_u32_e32 v4, 0x1880, v4
	s_add_i32 s11, s11, 1
	s_add_i32 s12, s12, 1
	;; [unrolled: 1-line block ×3, first 2 shown]
	s_waitcnt lgkmcnt(0)
	v_div_scale_f64 v[8:9], s[16:17], v[6:7], v[6:7], v[2:3]
	v_rcp_f64_e32 v[10:11], v[8:9]
	v_div_scale_f64 v[12:13], vcc, v[2:3], v[6:7], v[2:3]
	s_cmp_ge_i32 s11, s31
	v_fma_f64 v[14:15], -v[8:9], v[10:11], 1.0
	v_fmac_f64_e32 v[10:11], v[10:11], v[14:15]
	v_fma_f64 v[14:15], -v[8:9], v[10:11], 1.0
	v_fmac_f64_e32 v[10:11], v[10:11], v[14:15]
	v_mul_f64 v[14:15], v[12:13], v[10:11]
	v_fma_f64 v[8:9], -v[8:9], v[14:15], v[12:13]
	v_div_fmas_f64 v[8:9], v[8:9], v[10:11], v[14:15]
	v_div_fixup_f64 v[2:3], v[8:9], v[6:7], v[2:3]
	ds_write_b64 v4, v[2:3]
	v_add_u16_e64 v2, s13, 1
	v_readfirstlane_b32 s13, v2
	s_cbranch_scc1 .LBB101_37
.LBB101_29:                             ; =>This Loop Header: Depth=1
                                        ;     Child Loop BB101_32 Depth 2
                                        ;     Child Loop BB101_36 Depth 2
	s_mul_i32 s16, s11, 28
	v_add_lshl_u32 v4, s16, v0, 3
	ds_read_b64 v[2:3], v4 offset:6272
	s_cmp_eq_u32 s11, 0
	s_cbranch_scc1 .LBB101_28
; %bb.30:                               ;   in Loop: Header=BB101_29 Depth=1
	s_add_i32 s16, s1, s12
	s_cmp_lt_u32 s16, 7
	s_cbranch_scc1 .LBB101_34
; %bb.31:                               ;   in Loop: Header=BB101_29 Depth=1
	s_and_b32 s16, s11, -8
	s_mov_b32 s17, 0
	v_mov_b32_e32 v5, v1
	s_mov_b32 s18, s10
.LBB101_32:                             ;   Parent Loop BB101_29 Depth=1
                                        ; =>  This Inner Loop Header: Depth=2
	ds_read2_b64 v[6:9], v5 offset1:28
	v_mov_b32_e32 v34, s18
	ds_read2_b64 v[10:13], v5 offset0:56 offset1:84
	ds_read2_b64 v[14:17], v5 offset0:112 offset1:140
	;; [unrolled: 1-line block ×3, first 2 shown]
	ds_read2_b64 v[22:25], v34 offset1:28
	ds_read2_b64 v[26:29], v34 offset0:56 offset1:84
	ds_read2_b64 v[30:33], v34 offset0:112 offset1:140
	;; [unrolled: 1-line block ×3, first 2 shown]
	s_add_i32 s17, s17, 8
	s_waitcnt lgkmcnt(3)
	v_fma_f64 v[2:3], -v[6:7], v[22:23], v[2:3]
	v_fma_f64 v[2:3], -v[8:9], v[24:25], v[2:3]
	s_waitcnt lgkmcnt(2)
	v_fma_f64 v[2:3], -v[10:11], v[26:27], v[2:3]
	v_fma_f64 v[2:3], -v[12:13], v[28:29], v[2:3]
	;; [unrolled: 3-line block ×3, first 2 shown]
	s_addk_i32 s18, 0x700
	s_waitcnt lgkmcnt(0)
	v_fma_f64 v[2:3], -v[18:19], v[34:35], v[2:3]
	v_add_u32_e32 v5, 0x700, v5
	s_cmp_eq_u32 s16, s17
	v_fma_f64 v[2:3], -v[20:21], v[36:37], v[2:3]
	s_cbranch_scc0 .LBB101_32
; %bb.33:                               ;   in Loop: Header=BB101_29 Depth=1
	s_and_b32 s17, s11, 7
	s_cmp_eq_u32 s17, 0
	s_cbranch_scc0 .LBB101_35
	s_branch .LBB101_28
.LBB101_34:                             ;   in Loop: Header=BB101_29 Depth=1
	s_mov_b32 s16, 0
	s_and_b32 s17, s11, 7
	s_cmp_eq_u32 s17, 0
	s_cbranch_scc1 .LBB101_28
.LBB101_35:                             ;   in Loop: Header=BB101_29 Depth=1
	s_and_b32 s17, s13, 7
	s_mulk_i32 s16, 0xe0
.LBB101_36:                             ;   Parent Loop BB101_29 Depth=1
                                        ; =>  This Inner Loop Header: Depth=2
	v_add_u32_e32 v5, s16, v1
	s_add_i32 s18, s10, s16
	ds_read_b64 v[6:7], v5
	v_mov_b32_e32 v5, s18
	ds_read_b64 v[8:9], v5
	s_addk_i32 s16, 0xe0
	s_add_i32 s17, s17, -1
	s_cmp_lg_u32 s17, 0
	s_waitcnt lgkmcnt(0)
	v_fma_f64 v[2:3], -v[6:7], v[8:9], v[2:3]
	s_cbranch_scc1 .LBB101_36
	s_branch .LBB101_28
.LBB101_37:
	s_mov_b64 s[10:11], 0
.LBB101_38:
	s_and_b64 vcc, exec, s[10:11]
	s_cbranch_vccz .LBB101_58
; %bb.39:
	s_andn2_b64 vcc, exec, s[8:9]
	s_mov_b32 s11, s33
	s_cbranch_vccnz .LBB101_45
; %bb.40:
	s_mul_i32 s1, s31, 0xe0
	v_lshl_add_u32 v1, v0, 3, s1
	s_mul_i32 s1, s31, 0xe8
	v_add_u32_e32 v1, 0x1500, v1
	s_addk_i32 s1, 0xfc60
	s_mov_b32 s10, s33
.LBB101_41:                             ; =>This Loop Header: Depth=1
                                        ;     Child Loop BB101_42 Depth 2
	s_mul_i32 s13, s10, 28
	s_sub_i32 s11, s13, 56
	v_add_lshl_u32 v12, s11, v0, 3
	v_add_lshl_u32 v10, s13, v0, 3
	s_sub_i32 s12, s13, 28
	v_add_u32_e32 v2, 0x1400, v12
	v_add_lshl_u32 v11, s12, v0, 3
	ds_read_b64 v[8:9], v10 offset:6272
	ds_read_b64 v[6:7], v11 offset:6272
	ds_read2_b64 v[2:5], v2 offset0:116 offset1:144
	s_cmp_le_i32 s33, s10
	s_mov_b32 s16, s1
	v_mov_b32_e32 v13, v1
	s_mov_b32 s17, s33
	s_cbranch_scc1 .LBB101_43
.LBB101_42:                             ;   Parent Loop BB101_41 Depth=1
                                        ; =>  This Inner Loop Header: Depth=2
	ds_read2_b64 v[14:17], v13 offset0:56 offset1:84
	v_mov_b32_e32 v50, s16
	ds_read2_b64 v[18:21], v13 offset1:28
	ds_read2_b64 v[22:25], v50 offset0:86 offset1:87
	ds_read2_b64 v[26:29], v50 offset0:84 offset1:85
	;; [unrolled: 1-line block ×7, first 2 shown]
	ds_read2_b64 v[50:53], v50 offset1:1
	s_add_i32 s17, s17, -4
	s_waitcnt lgkmcnt(7)
	v_fma_f64 v[8:9], -v[16:17], v[24:25], v[8:9]
	v_fma_f64 v[6:7], -v[16:17], v[22:23], v[6:7]
	s_waitcnt lgkmcnt(6)
	v_fma_f64 v[4:5], -v[16:17], v[28:29], v[4:5]
	v_fma_f64 v[2:3], -v[16:17], v[26:27], v[2:3]
	;; [unrolled: 3-line block ×4, first 2 shown]
	s_addk_i32 s16, 0xfc80
	s_waitcnt lgkmcnt(3)
	v_fma_f64 v[8:9], -v[20:21], v[40:41], v[8:9]
	v_fma_f64 v[6:7], -v[20:21], v[38:39], v[6:7]
	s_waitcnt lgkmcnt(2)
	v_fma_f64 v[4:5], -v[20:21], v[44:45], v[4:5]
	v_fma_f64 v[2:3], -v[20:21], v[42:43], v[2:3]
	v_add_u32_e32 v13, 0xfffffc80, v13
	s_cmp_le_i32 s17, s10
	s_waitcnt lgkmcnt(1)
	v_fma_f64 v[8:9], -v[18:19], v[48:49], v[8:9]
	v_fma_f64 v[6:7], -v[18:19], v[46:47], v[6:7]
	s_waitcnt lgkmcnt(0)
	v_fma_f64 v[4:5], -v[18:19], v[52:53], v[4:5]
	v_fma_f64 v[2:3], -v[18:19], v[50:51], v[2:3]
	s_cbranch_scc0 .LBB101_42
.LBB101_43:                             ;   in Loop: Header=BB101_41 Depth=1
	s_add_i32 s16, s10, s13
	s_lshl_b32 s16, s16, 3
	s_add_i32 s16, s16, -8
	v_add_u32_e32 v13, 0x1880, v10
	v_add_u32_e32 v14, 0x1880, v12
	;; [unrolled: 1-line block ×3, first 2 shown]
	v_mov_b32_e32 v12, s16
	ds_read2_b64 v[16:19], v12 offset1:1
	s_mul_i32 s18, s10, 0xe8
	s_add_i32 s16, s18, 0xffffff18
	v_mov_b32_e32 v12, s16
	ds_read_b64 v[20:21], v12
	s_waitcnt lgkmcnt(1)
	v_div_scale_f64 v[22:23], s[16:17], v[18:19], v[18:19], v[8:9]
	v_rcp_f64_e32 v[24:25], v[22:23]
	v_div_scale_f64 v[26:27], vcc, v[8:9], v[18:19], v[8:9]
	v_add_u32_e32 v11, 0x1880, v11
	v_fma_f64 v[28:29], -v[22:23], v[24:25], 1.0
	v_fmac_f64_e32 v[24:25], v[24:25], v[28:29]
	v_fma_f64 v[28:29], -v[22:23], v[24:25], 1.0
	v_fmac_f64_e32 v[24:25], v[24:25], v[28:29]
	v_mul_f64 v[28:29], v[26:27], v[24:25]
	v_fma_f64 v[22:23], -v[22:23], v[28:29], v[26:27]
	v_div_fmas_f64 v[22:23], v[22:23], v[24:25], v[28:29]
	v_div_fixup_f64 v[22:23], v[22:23], v[18:19], v[8:9]
	v_fma_f64 v[24:25], -v[22:23], v[16:17], v[6:7]
	s_waitcnt lgkmcnt(0)
	v_div_scale_f64 v[6:7], s[16:17], v[20:21], v[20:21], v[24:25]
	v_rcp_f64_e32 v[26:27], v[6:7]
	s_add_i32 s16, s10, -3
	s_add_i32 s13, s13, s16
	s_lshl_b32 s13, s13, 3
	v_fma_f64 v[8:9], -v[6:7], v[26:27], 1.0
	v_fmac_f64_e32 v[26:27], v[26:27], v[8:9]
	v_fma_f64 v[8:9], -v[6:7], v[26:27], 1.0
	v_fmac_f64_e32 v[26:27], v[26:27], v[8:9]
	v_div_scale_f64 v[8:9], vcc, v[24:25], v[20:21], v[24:25]
	v_mul_f64 v[28:29], v[8:9], v[26:27]
	s_add_i32 s12, s12, s16
	v_fma_f64 v[30:31], -v[6:7], v[28:29], v[8:9]
	v_mov_b32_e32 v6, s13
	s_lshl_b32 s12, s12, 3
	v_mov_b32_e32 v12, s12
	ds_read2_b64 v[6:9], v6 offset1:1
	ds_read2_b64 v[16:19], v12 offset1:1
	s_add_i32 s11, s11, s16
	v_div_fmas_f64 v[26:27], v[30:31], v[26:27], v[28:29]
	s_lshl_b32 s11, s11, 3
	v_div_fixup_f64 v[24:25], v[26:27], v[20:21], v[24:25]
	s_waitcnt lgkmcnt(1)
	v_fma_f64 v[4:5], -v[22:23], v[8:9], v[4:5]
	v_mov_b32_e32 v8, s11
	s_waitcnt lgkmcnt(0)
	v_fma_f64 v[4:5], -v[24:25], v[18:19], v[4:5]
	ds_read2_b64 v[18:21], v8 offset1:1
	s_add_i32 s11, s18, 0xfffffd48
	v_mov_b32_e32 v8, s11
	ds_read_b64 v[8:9], v8
	v_fma_f64 v[2:3], -v[22:23], v[6:7], v[2:3]
	s_waitcnt lgkmcnt(1)
	v_div_scale_f64 v[26:27], s[12:13], v[20:21], v[20:21], v[4:5]
	v_rcp_f64_e32 v[28:29], v[26:27]
	v_fma_f64 v[2:3], -v[24:25], v[16:17], v[2:3]
	s_add_i32 s11, s10, -4
	s_sub_i32 s1, s1, 32
	v_fma_f64 v[30:31], -v[26:27], v[28:29], 1.0
	v_fmac_f64_e32 v[28:29], v[28:29], v[30:31]
	v_fma_f64 v[30:31], -v[26:27], v[28:29], 1.0
	v_fmac_f64_e32 v[28:29], v[28:29], v[30:31]
	v_div_scale_f64 v[30:31], vcc, v[4:5], v[20:21], v[4:5]
	v_mul_f64 v[32:33], v[30:31], v[28:29]
	v_fma_f64 v[26:27], -v[26:27], v[32:33], v[30:31]
	s_cmp_lt_i32 s10, 7
	s_nop 0
	v_div_fmas_f64 v[26:27], v[26:27], v[28:29], v[32:33]
	v_div_fixup_f64 v[4:5], v[26:27], v[20:21], v[4:5]
	v_fma_f64 v[2:3], -v[4:5], v[18:19], v[2:3]
	s_waitcnt lgkmcnt(0)
	v_div_scale_f64 v[6:7], s[12:13], v[8:9], v[8:9], v[2:3]
	v_rcp_f64_e32 v[16:17], v[6:7]
	ds_write_b64 v13, v[22:23]
	ds_write_b64 v11, v[24:25]
	;; [unrolled: 1-line block ×3, first 2 shown]
	v_fma_f64 v[4:5], -v[6:7], v[16:17], 1.0
	v_fmac_f64_e32 v[16:17], v[16:17], v[4:5]
	v_fma_f64 v[4:5], -v[6:7], v[16:17], 1.0
	v_fmac_f64_e32 v[16:17], v[16:17], v[4:5]
	v_div_scale_f64 v[4:5], vcc, v[2:3], v[8:9], v[2:3]
	v_mul_f64 v[12:13], v[4:5], v[16:17]
	v_fma_f64 v[4:5], -v[6:7], v[12:13], v[4:5]
	s_nop 1
	v_div_fmas_f64 v[4:5], v[4:5], v[16:17], v[12:13]
	v_div_fixup_f64 v[2:3], v[4:5], v[8:9], v[2:3]
	ds_write_b64 v10, v[2:3]
	s_cbranch_scc1 .LBB101_45
; %bb.44:                               ;   in Loop: Header=BB101_41 Depth=1
	s_mov_b32 s10, s11
	s_branch .LBB101_41
.LBB101_45:
	s_cmp_lt_i32 s11, 0
	s_cbranch_scc1 .LBB101_58
; %bb.46:
	s_bitcmp1_b32 s11, 0
	s_cselect_b64 s[12:13], -1, 0
	s_and_b64 vcc, exec, s[12:13]
	s_mov_b32 s1, s11
	s_cbranch_vccnz .LBB101_51
; %bb.47:
	s_mul_i32 s1, s11, 28
	v_add_lshl_u32 v1, s1, v0, 3
	ds_read_b64 v[2:3], v1 offset:6272
	s_cmp_le_i32 s33, s11
	s_cbranch_scc1 .LBB101_50
; %bb.48:
	s_mul_i32 s10, s31, 0xe0
	s_lshl_b32 s1, s11, 3
	s_add_i32 s1, s10, s1
	v_lshl_add_u32 v4, v0, 3, s10
	s_addk_i32 s1, 0xff20
	v_add_u32_e32 v4, 0x17a0, v4
	s_mov_b32 s10, s33
.LBB101_49:                             ; =>This Inner Loop Header: Depth=1
	v_mov_b32_e32 v5, s1
	ds_read_b64 v[6:7], v4
	ds_read_b64 v[8:9], v5
	s_add_i32 s10, s10, -1
	s_addk_i32 s1, 0xff20
	v_add_u32_e32 v4, 0xffffff20, v4
	s_cmp_gt_i32 s10, s11
	s_waitcnt lgkmcnt(0)
	v_fma_f64 v[2:3], -v[6:7], v[8:9], v[2:3]
	s_cbranch_scc1 .LBB101_49
.LBB101_50:
	s_mul_i32 s1, s11, 0xe8
	v_mov_b32_e32 v4, s1
	ds_read_b64 v[4:5], v4
	v_add_u32_e32 v1, 0x1880, v1
	s_add_i32 s1, s11, -1
	s_waitcnt lgkmcnt(0)
	v_div_scale_f64 v[6:7], s[12:13], v[4:5], v[4:5], v[2:3]
	v_rcp_f64_e32 v[8:9], v[6:7]
	v_div_scale_f64 v[10:11], vcc, v[2:3], v[4:5], v[2:3]
	v_fma_f64 v[12:13], -v[6:7], v[8:9], 1.0
	v_fmac_f64_e32 v[8:9], v[8:9], v[12:13]
	v_fma_f64 v[12:13], -v[6:7], v[8:9], 1.0
	v_fmac_f64_e32 v[8:9], v[8:9], v[12:13]
	v_mul_f64 v[12:13], v[10:11], v[8:9]
	v_fma_f64 v[6:7], -v[6:7], v[12:13], v[10:11]
	v_div_fmas_f64 v[6:7], v[6:7], v[8:9], v[12:13]
	v_div_fixup_f64 v[2:3], v[6:7], v[4:5], v[2:3]
	ds_write_b64 v1, v[2:3]
.LBB101_51:
	s_cmp_eq_u32 s11, 0
	s_cbranch_scc1 .LBB101_58
; %bb.52:
	s_mul_i32 s11, s31, 0xe0
	s_lshl_b32 s10, s1, 3
	s_add_i32 s12, s11, s10
	v_lshl_add_u32 v1, v0, 3, s11
	s_add_i32 s10, s12, 0xffffff20
	v_add_u32_e32 v1, 0x17a0, v1
	s_add_i32 s11, s12, 0xffffff18
	s_branch .LBB101_54
.LBB101_53:                             ;   in Loop: Header=BB101_54 Depth=1
	s_addk_i32 s12, 0xff18
	v_mov_b32_e32 v4, s12
	ds_read_b64 v[4:5], v4
	s_add_i32 s16, s1, -2
	s_add_i32 s10, s10, -16
	;; [unrolled: 1-line block ×3, first 2 shown]
	s_cmp_lt_i32 s1, 2
	s_waitcnt lgkmcnt(0)
	v_div_scale_f64 v[8:9], s[12:13], v[4:5], v[4:5], v[2:3]
	v_rcp_f64_e32 v[10:11], v[8:9]
	v_div_scale_f64 v[12:13], vcc, v[2:3], v[4:5], v[2:3]
	s_mov_b32 s1, s16
	v_fma_f64 v[14:15], -v[8:9], v[10:11], 1.0
	v_fmac_f64_e32 v[10:11], v[10:11], v[14:15]
	v_fma_f64 v[14:15], -v[8:9], v[10:11], 1.0
	v_fmac_f64_e32 v[10:11], v[10:11], v[14:15]
	v_mul_f64 v[14:15], v[12:13], v[10:11]
	v_fma_f64 v[8:9], -v[8:9], v[14:15], v[12:13]
	v_div_fmas_f64 v[8:9], v[8:9], v[10:11], v[14:15]
	v_div_fixup_f64 v[2:3], v[8:9], v[4:5], v[2:3]
	ds_write_b64 v6, v[2:3]
	s_cbranch_scc1 .LBB101_58
.LBB101_54:                             ; =>This Loop Header: Depth=1
                                        ;     Child Loop BB101_55 Depth 2
                                        ;     Child Loop BB101_57 Depth 2
	s_mul_i32 s12, s1, 28
	v_add_lshl_u32 v2, s12, v0, 3
	ds_read_b64 v[4:5], v2 offset:6272
	s_cmp_le_i32 s33, s1
	v_mov_b32_e32 v3, v1
	s_mov_b32 s12, s10
	s_mov_b32 s13, s33
	s_cbranch_scc1 .LBB101_56
.LBB101_55:                             ;   Parent Loop BB101_54 Depth=1
                                        ; =>  This Inner Loop Header: Depth=2
	v_mov_b32_e32 v8, s12
	ds_read_b64 v[6:7], v3
	ds_read_b64 v[8:9], v8
	s_add_i32 s13, s13, -1
	s_addk_i32 s12, 0xff20
	v_add_u32_e32 v3, 0xffffff20, v3
	s_cmp_le_i32 s13, s1
	s_waitcnt lgkmcnt(0)
	v_fma_f64 v[4:5], -v[6:7], v[8:9], v[4:5]
	s_cbranch_scc0 .LBB101_55
.LBB101_56:                             ;   in Loop: Header=BB101_54 Depth=1
	s_mul_i32 s12, s1, 0xe8
	v_add_u32_e32 v7, 0x1880, v2
	v_mov_b32_e32 v2, s12
	ds_read_b64 v[8:9], v2
	v_add_u32_e32 v6, 0xffffff20, v7
	ds_read_b64 v[2:3], v6
	s_cmp_lt_i32 s33, s1
	s_mov_b32 s13, s11
	s_waitcnt lgkmcnt(1)
	v_div_scale_f64 v[10:11], s[16:17], v[8:9], v[8:9], v[4:5]
	v_rcp_f64_e32 v[12:13], v[10:11]
	v_div_scale_f64 v[14:15], vcc, v[4:5], v[8:9], v[4:5]
	s_mov_b32 s16, s31
	v_fma_f64 v[16:17], -v[10:11], v[12:13], 1.0
	v_fmac_f64_e32 v[12:13], v[12:13], v[16:17]
	v_fma_f64 v[16:17], -v[10:11], v[12:13], 1.0
	v_fmac_f64_e32 v[12:13], v[12:13], v[16:17]
	v_mul_f64 v[16:17], v[14:15], v[12:13]
	v_fma_f64 v[10:11], -v[10:11], v[16:17], v[14:15]
	v_div_fmas_f64 v[10:11], v[10:11], v[12:13], v[16:17]
	v_div_fixup_f64 v[4:5], v[10:11], v[8:9], v[4:5]
	ds_write_b64 v7, v[4:5]
	v_mov_b32_e32 v4, v1
	s_cbranch_scc1 .LBB101_53
.LBB101_57:                             ;   Parent Loop BB101_54 Depth=1
                                        ; =>  This Inner Loop Header: Depth=2
	v_mov_b32_e32 v5, s13
	ds_read_b64 v[8:9], v4
	ds_read_b64 v[10:11], v5
	s_add_i32 s16, s16, -1
	s_addk_i32 s13, 0xff20
	v_add_u32_e32 v4, 0xffffff20, v4
	s_cmp_gt_i32 s16, s1
	s_waitcnt lgkmcnt(0)
	v_fma_f64 v[2:3], -v[8:9], v[10:11], v[2:3]
	s_cbranch_scc1 .LBB101_57
	s_branch .LBB101_53
.LBB101_58:
	s_mov_b64 s[16:17], 0
.LBB101_59:
	s_andn2_b64 vcc, exec, s[16:17]
	s_cbranch_vccnz .LBB101_79
; %bb.60:
	s_andn2_b64 vcc, exec, s[8:9]
	s_mov_b32 s9, s33
	s_cbranch_vccnz .LBB101_66
; %bb.61:
	s_mul_i32 s8, s31, 0xe0
	s_mul_i32 s1, s31, 0xe8
	v_lshl_add_u32 v1, v0, 3, s8
	s_addk_i32 s1, 0xfc60
	v_add_u32_e32 v1, 0x1500, v1
	s_mov_b32 s8, s33
.LBB101_62:                             ; =>This Loop Header: Depth=1
                                        ;     Child Loop BB101_63 Depth 2
	s_mul_i32 s9, s8, 28
	s_sub_i32 s10, s9, 28
	v_add_lshl_u32 v10, s9, v0, 3
	v_add_lshl_u32 v11, s10, v0, 3
	s_sub_i32 s10, s9, 56
	s_addk_i32 s9, 0xffac
	v_add_lshl_u32 v12, s10, v0, 3
	v_add_lshl_u32 v13, s9, v0, 3
	ds_read_b64 v[8:9], v10 offset:6272
	ds_read_b64 v[6:7], v11 offset:6272
	;; [unrolled: 1-line block ×4, first 2 shown]
	s_cmp_le_i32 s33, s8
	v_mov_b32_e32 v14, v1
	s_mov_b32 s11, s1
	s_mov_b32 s12, s33
	s_cbranch_scc1 .LBB101_64
.LBB101_63:                             ;   Parent Loop BB101_62 Depth=1
                                        ; =>  This Inner Loop Header: Depth=2
	ds_read2_b64 v[16:19], v14 offset0:56 offset1:84
	v_mov_b32_e32 v15, s11
	ds_read2_b64 v[20:23], v14 offset1:28
	ds_read2_b64 v[24:27], v15 offset0:86 offset1:87
	ds_read2_b64 v[28:31], v15 offset0:84 offset1:85
	;; [unrolled: 1-line block ×7, first 2 shown]
	ds_read2_b64 v[52:55], v15 offset1:1
	s_add_i32 s12, s12, -4
	s_waitcnt lgkmcnt(7)
	v_fma_f64 v[8:9], -v[18:19], v[26:27], v[8:9]
	s_waitcnt lgkmcnt(5)
	v_fma_f64 v[6:7], -v[18:19], v[34:35], v[6:7]
	;; [unrolled: 2-line block ×4, first 2 shown]
	v_fma_f64 v[8:9], -v[16:17], v[24:25], v[8:9]
	v_fma_f64 v[6:7], -v[16:17], v[32:33], v[6:7]
	;; [unrolled: 1-line block ×4, first 2 shown]
	s_sub_i32 s11, s11, 32
	v_fma_f64 v[8:9], -v[22:23], v[30:31], v[8:9]
	v_fma_f64 v[6:7], -v[22:23], v[38:39], v[6:7]
	;; [unrolled: 1-line block ×3, first 2 shown]
	s_waitcnt lgkmcnt(0)
	v_fma_f64 v[2:3], -v[22:23], v[54:55], v[2:3]
	v_add_u32_e32 v14, 0xfffffc80, v14
	s_cmp_le_i32 s12, s8
	v_fma_f64 v[8:9], -v[20:21], v[28:29], v[8:9]
	v_fma_f64 v[6:7], -v[20:21], v[36:37], v[6:7]
	;; [unrolled: 1-line block ×4, first 2 shown]
	s_cbranch_scc0 .LBB101_63
.LBB101_64:                             ;   in Loop: Header=BB101_62 Depth=1
	s_mul_i32 s16, s8, 0xe8
	v_add_u32_e32 v14, 0x1880, v10
	v_add_u32_e32 v10, 0x1880, v13
	v_mov_b32_e32 v13, s16
	ds_read_b64 v[20:21], v13
	s_add_i32 s11, s16, 0xffffff18
	v_mov_b32_e32 v13, s11
	ds_read2_b64 v[16:19], v13 offset1:1
	s_add_i32 s10, s10, s8
	s_waitcnt lgkmcnt(1)
	v_div_scale_f64 v[22:23], s[12:13], v[20:21], v[20:21], v[8:9]
	v_rcp_f64_e32 v[24:25], v[22:23]
	v_div_scale_f64 v[26:27], vcc, v[8:9], v[20:21], v[8:9]
	s_lshl_b32 s10, s10, 3
	v_fma_f64 v[28:29], -v[22:23], v[24:25], 1.0
	v_fmac_f64_e32 v[24:25], v[24:25], v[28:29]
	v_fma_f64 v[28:29], -v[22:23], v[24:25], 1.0
	v_fmac_f64_e32 v[24:25], v[24:25], v[28:29]
	v_mul_f64 v[28:29], v[26:27], v[24:25]
	v_fma_f64 v[22:23], -v[22:23], v[28:29], v[26:27]
	v_div_fmas_f64 v[22:23], v[22:23], v[24:25], v[28:29]
	v_div_fixup_f64 v[24:25], v[22:23], v[20:21], v[8:9]
	s_waitcnt lgkmcnt(0)
	v_fma_f64 v[18:19], -v[24:25], v[18:19], v[6:7]
	v_div_scale_f64 v[6:7], s[12:13], v[16:17], v[16:17], v[18:19]
	v_rcp_f64_e32 v[20:21], v[6:7]
	v_div_scale_f64 v[8:9], vcc, v[18:19], v[16:17], v[18:19]
	s_add_i32 s9, s8, s9
	v_fma_f64 v[22:23], -v[6:7], v[20:21], 1.0
	v_fmac_f64_e32 v[20:21], v[20:21], v[22:23]
	v_fma_f64 v[22:23], -v[6:7], v[20:21], 1.0
	v_fmac_f64_e32 v[20:21], v[20:21], v[22:23]
	v_mul_f64 v[22:23], v[8:9], v[20:21]
	v_fma_f64 v[26:27], -v[6:7], v[22:23], v[8:9]
	v_mov_b32_e32 v6, s10
	s_add_i32 s10, s16, 0xfffffe30
	v_mov_b32_e32 v7, s10
	ds_read_b64 v[28:29], v6
	ds_read2_b64 v[6:9], v7 offset1:1
	v_div_fmas_f64 v[20:21], v[26:27], v[20:21], v[22:23]
	v_div_fixup_f64 v[26:27], v[20:21], v[16:17], v[18:19]
	s_lshl_b32 s9, s9, 3
	s_waitcnt lgkmcnt(1)
	v_fma_f64 v[4:5], -v[24:25], v[28:29], v[4:5]
	s_waitcnt lgkmcnt(0)
	v_fma_f64 v[4:5], -v[26:27], v[8:9], v[4:5]
	v_div_scale_f64 v[8:9], s[10:11], v[6:7], v[6:7], v[4:5]
	v_rcp_f64_e32 v[28:29], v[8:9]
	s_add_i32 s9, s9, -8
	v_mov_b32_e32 v13, s9
	s_add_i32 s9, s16, 0xfffffd48
	v_fma_f64 v[16:17], -v[8:9], v[28:29], 1.0
	v_fmac_f64_e32 v[28:29], v[28:29], v[16:17]
	v_fma_f64 v[16:17], -v[8:9], v[28:29], 1.0
	v_fmac_f64_e32 v[28:29], v[28:29], v[16:17]
	v_div_scale_f64 v[16:17], vcc, v[4:5], v[6:7], v[4:5]
	v_mul_f64 v[30:31], v[16:17], v[28:29]
	v_fma_f64 v[8:9], -v[8:9], v[30:31], v[16:17]
	v_mov_b32_e32 v15, s9
	ds_read2_b64 v[16:19], v13 offset1:1
	ds_read2_b64 v[20:23], v15 offset1:1
	v_div_fmas_f64 v[8:9], v[8:9], v[28:29], v[30:31]
	v_div_fixup_f64 v[4:5], v[8:9], v[6:7], v[4:5]
	v_add_u32_e32 v11, 0x1880, v11
	s_waitcnt lgkmcnt(1)
	v_fma_f64 v[2:3], -v[24:25], v[18:19], v[2:3]
	v_fma_f64 v[2:3], -v[26:27], v[16:17], v[2:3]
	s_waitcnt lgkmcnt(0)
	v_fma_f64 v[2:3], -v[4:5], v[22:23], v[2:3]
	v_div_scale_f64 v[6:7], s[10:11], v[20:21], v[20:21], v[2:3]
	v_rcp_f64_e32 v[8:9], v[6:7]
	v_add_u32_e32 v12, 0x1880, v12
	ds_write_b64 v14, v[24:25]
	ds_write_b64 v11, v[26:27]
	;; [unrolled: 1-line block ×3, first 2 shown]
	s_add_i32 s9, s8, -4
	v_fma_f64 v[4:5], -v[6:7], v[8:9], 1.0
	v_fmac_f64_e32 v[8:9], v[8:9], v[4:5]
	v_fma_f64 v[4:5], -v[6:7], v[8:9], 1.0
	v_fmac_f64_e32 v[8:9], v[8:9], v[4:5]
	v_div_scale_f64 v[4:5], vcc, v[2:3], v[20:21], v[2:3]
	v_mul_f64 v[12:13], v[4:5], v[8:9]
	v_fma_f64 v[4:5], -v[6:7], v[12:13], v[4:5]
	s_addk_i32 s1, 0xfc80
	s_nop 0
	v_div_fmas_f64 v[4:5], v[4:5], v[8:9], v[12:13]
	v_div_fixup_f64 v[2:3], v[4:5], v[20:21], v[2:3]
	s_cmp_lt_i32 s8, 7
	ds_write_b64 v10, v[2:3]
	s_cbranch_scc1 .LBB101_66
; %bb.65:                               ;   in Loop: Header=BB101_62 Depth=1
	s_mov_b32 s8, s9
	s_branch .LBB101_62
.LBB101_66:
	s_cmp_lt_i32 s9, 0
	s_cbranch_scc1 .LBB101_79
; %bb.67:
	s_bitcmp1_b32 s9, 0
	s_cselect_b64 s[10:11], -1, 0
	s_and_b64 vcc, exec, s[10:11]
	s_mov_b32 s1, s9
	s_cbranch_vccnz .LBB101_72
; %bb.68:
	s_mul_i32 s1, s9, 28
	v_add_lshl_u32 v1, s1, v0, 3
	ds_read_b64 v[2:3], v1 offset:6272
	s_cmp_le_i32 s33, s9
	s_cbranch_scc1 .LBB101_71
; %bb.69:
	s_mul_i32 s1, s9, 0xe0
	s_lshl_b32 s8, s31, 3
	s_add_i32 s1, s1, s8
	s_mul_i32 s8, s31, 0xe0
	v_lshl_add_u32 v4, v0, 3, s8
	s_add_i32 s1, s1, -8
	v_add_u32_e32 v4, 0x17a0, v4
	s_mov_b32 s8, s33
.LBB101_70:                             ; =>This Inner Loop Header: Depth=1
	v_mov_b32_e32 v5, s1
	ds_read_b64 v[6:7], v4
	ds_read_b64 v[8:9], v5
	s_add_i32 s8, s8, -1
	s_add_i32 s1, s1, -8
	v_add_u32_e32 v4, 0xffffff20, v4
	s_cmp_gt_i32 s8, s9
	s_waitcnt lgkmcnt(0)
	v_fma_f64 v[2:3], -v[6:7], v[8:9], v[2:3]
	s_cbranch_scc1 .LBB101_70
.LBB101_71:
	s_mul_i32 s1, s9, 0xe8
	v_mov_b32_e32 v4, s1
	ds_read_b64 v[4:5], v4
	v_add_u32_e32 v1, 0x1880, v1
	s_add_i32 s1, s9, -1
	s_waitcnt lgkmcnt(0)
	v_div_scale_f64 v[6:7], s[10:11], v[4:5], v[4:5], v[2:3]
	v_rcp_f64_e32 v[8:9], v[6:7]
	v_div_scale_f64 v[10:11], vcc, v[2:3], v[4:5], v[2:3]
	v_fma_f64 v[12:13], -v[6:7], v[8:9], 1.0
	v_fmac_f64_e32 v[8:9], v[8:9], v[12:13]
	v_fma_f64 v[12:13], -v[6:7], v[8:9], 1.0
	v_fmac_f64_e32 v[8:9], v[8:9], v[12:13]
	v_mul_f64 v[12:13], v[10:11], v[8:9]
	v_fma_f64 v[6:7], -v[6:7], v[12:13], v[10:11]
	v_div_fmas_f64 v[6:7], v[6:7], v[8:9], v[12:13]
	v_div_fixup_f64 v[2:3], v[6:7], v[4:5], v[2:3]
	ds_write_b64 v1, v[2:3]
.LBB101_72:
	s_cmp_eq_u32 s9, 0
	s_cbranch_scc1 .LBB101_79
; %bb.73:
	s_mul_i32 s8, s1, 0xe0
	s_lshl_b32 s9, s31, 3
	s_mul_i32 s10, s31, 0xe0
	s_add_i32 s9, s8, s9
	v_lshl_add_u32 v1, v0, 3, s10
	s_add_i32 s8, s9, -8
	v_add_u32_e32 v1, 0x17a0, v1
	s_addk_i32 s9, 0xff18
	s_branch .LBB101_75
.LBB101_74:                             ;   in Loop: Header=BB101_75 Depth=1
	s_addk_i32 s10, 0xff18
	v_mov_b32_e32 v5, s10
	v_add_u32_e32 v4, 0x1880, v6
	ds_read_b64 v[6:7], v5
	s_add_i32 s12, s1, -2
	s_addk_i32 s8, 0xfe40
	s_addk_i32 s9, 0xfe40
	s_cmp_lt_i32 s1, 2
	s_waitcnt lgkmcnt(0)
	v_div_scale_f64 v[8:9], s[10:11], v[6:7], v[6:7], v[2:3]
	v_rcp_f64_e32 v[10:11], v[8:9]
	v_div_scale_f64 v[12:13], vcc, v[2:3], v[6:7], v[2:3]
	s_mov_b32 s1, s12
	v_fma_f64 v[14:15], -v[8:9], v[10:11], 1.0
	v_fmac_f64_e32 v[10:11], v[10:11], v[14:15]
	v_fma_f64 v[14:15], -v[8:9], v[10:11], 1.0
	v_fmac_f64_e32 v[10:11], v[10:11], v[14:15]
	v_mul_f64 v[14:15], v[12:13], v[10:11]
	v_fma_f64 v[8:9], -v[8:9], v[14:15], v[12:13]
	v_div_fmas_f64 v[8:9], v[8:9], v[10:11], v[14:15]
	v_div_fixup_f64 v[2:3], v[8:9], v[6:7], v[2:3]
	ds_write_b64 v4, v[2:3]
	s_cbranch_scc1 .LBB101_79
.LBB101_75:                             ; =>This Loop Header: Depth=1
                                        ;     Child Loop BB101_76 Depth 2
                                        ;     Child Loop BB101_78 Depth 2
	s_mul_i32 s11, s1, 28
	v_add_lshl_u32 v2, s11, v0, 3
	ds_read_b64 v[4:5], v2 offset:6272
	s_cmp_le_i32 s33, s1
	v_mov_b32_e32 v3, v1
	s_mov_b32 s10, s8
	s_mov_b32 s12, s33
	s_cbranch_scc1 .LBB101_77
.LBB101_76:                             ;   Parent Loop BB101_75 Depth=1
                                        ; =>  This Inner Loop Header: Depth=2
	v_mov_b32_e32 v8, s10
	ds_read_b64 v[6:7], v3
	ds_read_b64 v[8:9], v8
	s_add_i32 s12, s12, -1
	s_add_i32 s10, s10, -8
	v_add_u32_e32 v3, 0xffffff20, v3
	s_cmp_le_i32 s12, s1
	s_waitcnt lgkmcnt(0)
	v_fma_f64 v[4:5], -v[6:7], v[8:9], v[4:5]
	s_cbranch_scc0 .LBB101_76
.LBB101_77:                             ;   in Loop: Header=BB101_75 Depth=1
	s_mul_i32 s10, s1, 0xe8
	v_add_u32_e32 v7, 0x1880, v2
	v_mov_b32_e32 v2, s10
	ds_read_b64 v[8:9], v2
	s_sub_i32 s11, s11, 28
	v_add_lshl_u32 v6, s11, v0, 3
	ds_read_b64 v[2:3], v6 offset:6272
	s_cmp_lt_i32 s33, s1
	s_waitcnt lgkmcnt(1)
	v_div_scale_f64 v[10:11], s[12:13], v[8:9], v[8:9], v[4:5]
	v_rcp_f64_e32 v[12:13], v[10:11]
	v_div_scale_f64 v[14:15], vcc, v[4:5], v[8:9], v[4:5]
	s_mov_b32 s11, s9
	v_fma_f64 v[16:17], -v[10:11], v[12:13], 1.0
	v_fmac_f64_e32 v[12:13], v[12:13], v[16:17]
	v_fma_f64 v[16:17], -v[10:11], v[12:13], 1.0
	v_fmac_f64_e32 v[12:13], v[12:13], v[16:17]
	v_mul_f64 v[16:17], v[14:15], v[12:13]
	v_fma_f64 v[10:11], -v[10:11], v[16:17], v[14:15]
	v_div_fmas_f64 v[10:11], v[10:11], v[12:13], v[16:17]
	v_div_fixup_f64 v[4:5], v[10:11], v[8:9], v[4:5]
	ds_write_b64 v7, v[4:5]
	v_mov_b32_e32 v4, v1
	s_mov_b32 s12, s31
	s_cbranch_scc1 .LBB101_74
.LBB101_78:                             ;   Parent Loop BB101_75 Depth=1
                                        ; =>  This Inner Loop Header: Depth=2
	v_mov_b32_e32 v5, s11
	ds_read_b64 v[8:9], v4
	ds_read_b64 v[10:11], v5
	s_add_i32 s12, s12, -1
	s_add_i32 s11, s11, -8
	v_add_u32_e32 v4, 0xffffff20, v4
	s_cmp_gt_i32 s12, s1
	s_waitcnt lgkmcnt(0)
	v_fma_f64 v[2:3], -v[8:9], v[10:11], v[2:3]
	s_cbranch_scc1 .LBB101_78
	s_branch .LBB101_74
.LBB101_79:
	s_mov_b64 s[16:17], 0
.LBB101_80:
	s_andn2_b64 vcc, exec, s[16:17]
	s_cbranch_vccnz .LBB101_99
; %bb.81:
	s_cmp_lt_i32 s30, 4
	s_mov_b32 s9, 0
	s_cbranch_scc1 .LBB101_88
; %bb.82:
	v_mov_b32_e32 v1, 0x1880
	v_lshl_add_u32 v1, v0, 3, v1
	s_mov_b32 s1, 0
	s_mov_b32 s8, 0
.LBB101_83:                             ; =>This Loop Header: Depth=1
                                        ;     Child Loop BB101_85 Depth 2
	s_mul_i32 s9, s8, 28
	v_add_lshl_u32 v10, s9, v0, 3
	s_add_i32 s11, s9, 28
	s_add_i32 s10, s9, 56
	s_addk_i32 s9, 0x54
	v_add_lshl_u32 v11, s11, v0, 3
	v_add_lshl_u32 v12, s10, v0, 3
	;; [unrolled: 1-line block ×3, first 2 shown]
	ds_read_b64 v[8:9], v10 offset:6272
	ds_read_b64 v[6:7], v11 offset:6272
	;; [unrolled: 1-line block ×4, first 2 shown]
	s_cmp_eq_u32 s8, 0
	s_cbranch_scc1 .LBB101_86
; %bb.84:                               ;   in Loop: Header=BB101_83 Depth=1
	s_mov_b32 s12, 0
	v_mov_b32_e32 v14, v1
	s_mov_b32 s13, s1
.LBB101_85:                             ;   Parent Loop BB101_83 Depth=1
                                        ; =>  This Inner Loop Header: Depth=2
	ds_read2_b64 v[16:19], v14 offset1:28
	v_mov_b32_e32 v15, s13
	ds_read2_b64 v[20:23], v14 offset0:56 offset1:84
	ds_read_b128 v[24:27], v15
	ds_read_b128 v[28:31], v15 offset:16
	ds_read_b128 v[32:35], v15 offset:224
	;; [unrolled: 1-line block ×7, first 2 shown]
	s_add_i32 s12, s12, 4
	s_waitcnt lgkmcnt(7)
	v_fma_f64 v[8:9], -v[16:17], v[24:25], v[8:9]
	s_waitcnt lgkmcnt(5)
	v_fma_f64 v[6:7], -v[16:17], v[32:33], v[6:7]
	;; [unrolled: 2-line block ×4, first 2 shown]
	v_fma_f64 v[8:9], -v[18:19], v[26:27], v[8:9]
	v_fma_f64 v[6:7], -v[18:19], v[34:35], v[6:7]
	;; [unrolled: 1-line block ×4, first 2 shown]
	s_add_i32 s13, s13, 32
	v_fma_f64 v[8:9], -v[20:21], v[28:29], v[8:9]
	v_fma_f64 v[6:7], -v[20:21], v[36:37], v[6:7]
	;; [unrolled: 1-line block ×3, first 2 shown]
	s_waitcnt lgkmcnt(0)
	v_fma_f64 v[2:3], -v[20:21], v[52:53], v[2:3]
	v_add_u32_e32 v14, 0x380, v14
	s_cmp_ge_u32 s12, s8
	v_fma_f64 v[8:9], -v[22:23], v[30:31], v[8:9]
	v_fma_f64 v[6:7], -v[22:23], v[38:39], v[6:7]
	;; [unrolled: 1-line block ×4, first 2 shown]
	s_cbranch_scc0 .LBB101_85
.LBB101_86:                             ;   in Loop: Header=BB101_83 Depth=1
	s_mul_i32 s12, s8, 0xe8
	v_add_u32_e32 v14, 0x1880, v10
	v_add_u32_e32 v10, 0x1880, v13
	v_mov_b32_e32 v13, s12
	ds_read2_b64 v[16:19], v13 offset1:58
	s_add_i32 s11, s11, s8
	s_lshl_b32 s11, s11, 3
	v_mov_b32_e32 v13, s11
	s_add_i32 s10, s10, s8
	s_waitcnt lgkmcnt(0)
	v_div_scale_f64 v[20:21], s[12:13], v[16:17], v[16:17], v[8:9]
	v_rcp_f64_e32 v[22:23], v[20:21]
	v_div_scale_f64 v[24:25], vcc, v[8:9], v[16:17], v[8:9]
	s_lshl_b32 s10, s10, 3
	v_fma_f64 v[26:27], -v[20:21], v[22:23], 1.0
	v_fmac_f64_e32 v[22:23], v[22:23], v[26:27]
	v_fma_f64 v[26:27], -v[20:21], v[22:23], 1.0
	v_fmac_f64_e32 v[22:23], v[22:23], v[26:27]
	v_mul_f64 v[26:27], v[24:25], v[22:23]
	v_fma_f64 v[20:21], -v[20:21], v[26:27], v[24:25]
	v_div_fmas_f64 v[20:21], v[20:21], v[22:23], v[26:27]
	v_div_fixup_f64 v[8:9], v[20:21], v[16:17], v[8:9]
	ds_read_b128 v[20:23], v13
	v_mov_b32_e32 v13, s10
	ds_read_b128 v[24:27], v13
	s_add_i32 s9, s9, s8
	s_lshl_b32 s9, s9, 3
	s_waitcnt lgkmcnt(1)
	v_fma_f64 v[6:7], -v[8:9], v[20:21], v[6:7]
	v_div_scale_f64 v[16:17], s[10:11], v[22:23], v[22:23], v[6:7]
	v_rcp_f64_e32 v[20:21], v[16:17]
	s_waitcnt lgkmcnt(0)
	v_fma_f64 v[4:5], -v[8:9], v[24:25], v[4:5]
	v_mov_b32_e32 v13, s9
	v_add_u32_e32 v11, 0x1880, v11
	v_fma_f64 v[28:29], -v[16:17], v[20:21], 1.0
	v_fmac_f64_e32 v[20:21], v[20:21], v[28:29]
	v_fma_f64 v[28:29], -v[16:17], v[20:21], 1.0
	v_fmac_f64_e32 v[20:21], v[20:21], v[28:29]
	v_div_scale_f64 v[28:29], vcc, v[6:7], v[22:23], v[6:7]
	v_mul_f64 v[30:31], v[28:29], v[20:21]
	v_fma_f64 v[16:17], -v[16:17], v[30:31], v[28:29]
	v_add_u32_e32 v12, 0x1880, v12
	s_nop 0
	v_div_fmas_f64 v[16:17], v[16:17], v[20:21], v[30:31]
	v_div_fixup_f64 v[16:17], v[16:17], v[22:23], v[6:7]
	v_fma_f64 v[24:25], -v[16:17], v[26:27], v[4:5]
	v_div_scale_f64 v[4:5], s[10:11], v[18:19], v[18:19], v[24:25]
	v_rcp_f64_e32 v[26:27], v[4:5]
	s_add_i32 s9, s8, 4
	s_add_i32 s8, s8, 7
	s_addk_i32 s1, 0x380
	v_fma_f64 v[6:7], -v[4:5], v[26:27], 1.0
	v_fmac_f64_e32 v[26:27], v[26:27], v[6:7]
	v_fma_f64 v[6:7], -v[4:5], v[26:27], 1.0
	v_fmac_f64_e32 v[26:27], v[26:27], v[6:7]
	v_div_scale_f64 v[6:7], vcc, v[24:25], v[18:19], v[24:25]
	v_mul_f64 v[28:29], v[6:7], v[26:27]
	v_fma_f64 v[30:31], -v[4:5], v[28:29], v[6:7]
	ds_read_b128 v[4:7], v13
	ds_read_b128 v[20:23], v13 offset:16
	v_div_fmas_f64 v[26:27], v[30:31], v[26:27], v[28:29]
	v_div_fixup_f64 v[18:19], v[26:27], v[18:19], v[24:25]
	ds_write_b64 v14, v[8:9]
	ds_write_b64 v11, v[16:17]
	;; [unrolled: 1-line block ×3, first 2 shown]
	s_waitcnt lgkmcnt(4)
	v_fma_f64 v[2:3], -v[8:9], v[4:5], v[2:3]
	v_fma_f64 v[2:3], -v[16:17], v[6:7], v[2:3]
	s_waitcnt lgkmcnt(3)
	v_fma_f64 v[2:3], -v[18:19], v[20:21], v[2:3]
	v_div_scale_f64 v[4:5], s[10:11], v[22:23], v[22:23], v[2:3]
	v_rcp_f64_e32 v[6:7], v[4:5]
	s_cmp_ge_i32 s8, s31
	v_fma_f64 v[8:9], -v[4:5], v[6:7], 1.0
	v_fmac_f64_e32 v[6:7], v[6:7], v[8:9]
	v_fma_f64 v[8:9], -v[4:5], v[6:7], 1.0
	v_fmac_f64_e32 v[6:7], v[6:7], v[8:9]
	v_div_scale_f64 v[8:9], vcc, v[2:3], v[22:23], v[2:3]
	v_mul_f64 v[12:13], v[8:9], v[6:7]
	v_fma_f64 v[4:5], -v[4:5], v[12:13], v[8:9]
	s_nop 1
	v_div_fmas_f64 v[4:5], v[4:5], v[6:7], v[12:13]
	v_div_fixup_f64 v[2:3], v[4:5], v[22:23], v[2:3]
	ds_write_b64 v10, v[2:3]
	s_cbranch_scc1 .LBB101_88
; %bb.87:                               ;   in Loop: Header=BB101_83 Depth=1
	s_mov_b32 s8, s9
	s_branch .LBB101_83
.LBB101_88:
	s_cmp_ge_i32 s9, s31
	s_cbranch_scc1 .LBB101_99
; %bb.89:
	v_mov_b32_e32 v1, 0x1880
	s_add_i32 s1, s9, -1
	s_mul_i32 s8, s9, 0xe0
	v_lshl_add_u32 v1, v0, 3, v1
	s_mov_b32 s10, 0
	s_mov_b32 s11, s9
	s_branch .LBB101_91
.LBB101_90:                             ;   in Loop: Header=BB101_91 Depth=1
	s_mul_i32 s12, s9, 0xe8
	v_mov_b32_e32 v5, s12
	ds_read_b64 v[6:7], v5
	v_add_u32_e32 v4, 0x1880, v4
	s_add_i32 s9, s9, 1
	s_add_i32 s10, s10, 1
	s_addk_i32 s8, 0xe0
	s_waitcnt lgkmcnt(0)
	v_div_scale_f64 v[8:9], s[12:13], v[6:7], v[6:7], v[2:3]
	v_rcp_f64_e32 v[10:11], v[8:9]
	v_div_scale_f64 v[12:13], vcc, v[2:3], v[6:7], v[2:3]
	s_cmp_ge_i32 s9, s31
	v_fma_f64 v[14:15], -v[8:9], v[10:11], 1.0
	v_fmac_f64_e32 v[10:11], v[10:11], v[14:15]
	v_fma_f64 v[14:15], -v[8:9], v[10:11], 1.0
	v_fmac_f64_e32 v[10:11], v[10:11], v[14:15]
	v_mul_f64 v[14:15], v[12:13], v[10:11]
	v_fma_f64 v[8:9], -v[8:9], v[14:15], v[12:13]
	v_div_fmas_f64 v[8:9], v[8:9], v[10:11], v[14:15]
	v_div_fixup_f64 v[2:3], v[8:9], v[6:7], v[2:3]
	ds_write_b64 v4, v[2:3]
	v_add_u16_e64 v2, s11, 1
	v_readfirstlane_b32 s11, v2
	s_cbranch_scc1 .LBB101_99
.LBB101_91:                             ; =>This Loop Header: Depth=1
                                        ;     Child Loop BB101_94 Depth 2
                                        ;     Child Loop BB101_98 Depth 2
	s_mul_i32 s12, s9, 28
	v_add_lshl_u32 v4, s12, v0, 3
	ds_read_b64 v[2:3], v4 offset:6272
	s_cmp_eq_u32 s9, 0
	s_cbranch_scc1 .LBB101_90
; %bb.92:                               ;   in Loop: Header=BB101_91 Depth=1
	s_add_i32 s12, s1, s10
	s_cmp_lt_u32 s12, 7
	s_cbranch_scc1 .LBB101_96
; %bb.93:                               ;   in Loop: Header=BB101_91 Depth=1
	s_and_b32 s12, s9, -8
	s_mov_b32 s13, 0
	v_mov_b32_e32 v5, v1
	s_mov_b32 s16, s8
.LBB101_94:                             ;   Parent Loop BB101_91 Depth=1
                                        ; =>  This Inner Loop Header: Depth=2
	ds_read2_b64 v[6:9], v5 offset1:28
	v_mov_b32_e32 v34, s16
	ds_read2_b64 v[10:13], v5 offset0:56 offset1:84
	ds_read2_b64 v[14:17], v5 offset0:112 offset1:140
	;; [unrolled: 1-line block ×3, first 2 shown]
	ds_read_b128 v[22:25], v34
	ds_read_b128 v[26:29], v34 offset:16
	ds_read_b128 v[30:33], v34 offset:32
	;; [unrolled: 1-line block ×3, first 2 shown]
	s_add_i32 s13, s13, 8
	s_waitcnt lgkmcnt(3)
	v_fma_f64 v[2:3], -v[6:7], v[22:23], v[2:3]
	v_fma_f64 v[2:3], -v[8:9], v[24:25], v[2:3]
	s_waitcnt lgkmcnt(2)
	v_fma_f64 v[2:3], -v[10:11], v[26:27], v[2:3]
	v_fma_f64 v[2:3], -v[12:13], v[28:29], v[2:3]
	;; [unrolled: 3-line block ×3, first 2 shown]
	s_add_i32 s16, s16, 64
	s_waitcnt lgkmcnt(0)
	v_fma_f64 v[2:3], -v[18:19], v[34:35], v[2:3]
	v_add_u32_e32 v5, 0x700, v5
	s_cmp_eq_u32 s12, s13
	v_fma_f64 v[2:3], -v[20:21], v[36:37], v[2:3]
	s_cbranch_scc0 .LBB101_94
; %bb.95:                               ;   in Loop: Header=BB101_91 Depth=1
	s_and_b32 s13, s9, 7
	s_cmp_eq_u32 s13, 0
	s_cbranch_scc0 .LBB101_97
	s_branch .LBB101_90
.LBB101_96:                             ;   in Loop: Header=BB101_91 Depth=1
	s_mov_b32 s12, 0
	s_and_b32 s13, s9, 7
	s_cmp_eq_u32 s13, 0
	s_cbranch_scc1 .LBB101_90
.LBB101_97:                             ;   in Loop: Header=BB101_91 Depth=1
	s_lshl_b32 s16, s12, 3
	s_mulk_i32 s12, 0xe0
	s_and_b32 s13, s11, 7
	v_add_u32_e32 v5, s12, v1
.LBB101_98:                             ;   Parent Loop BB101_91 Depth=1
                                        ; =>  This Inner Loop Header: Depth=2
	s_add_i32 s12, s8, s16
	v_mov_b32_e32 v8, s12
	ds_read_b64 v[6:7], v5
	ds_read_b64 v[8:9], v8
	s_add_i32 s16, s16, 8
	s_add_i32 s13, s13, -1
	v_add_u32_e32 v5, 0xe0, v5
	s_cmp_lg_u32 s13, 0
	s_waitcnt lgkmcnt(0)
	v_fma_f64 v[2:3], -v[6:7], v[8:9], v[2:3]
	s_cbranch_scc1 .LBB101_98
	s_branch .LBB101_90
.LBB101_99:
	s_and_saveexec_b64 s[8:9], s[6:7]
	s_cbranch_execz .LBB101_106
; %bb.100:
	s_ashr_i32 s1, s0, 31
	s_mov_b32 s12, 0
	s_cmp_lt_u32 s30, 4
	v_lshlrev_b32_e32 v1, 3, v0
	s_cbranch_scc1 .LBB101_103
; %bb.101:
	v_mov_b32_e32 v3, s25
	v_add_co_u32_e32 v2, vcc, s24, v1
	s_mul_hi_i32 s17, s0, 24
	s_lshl_b64 s[6:7], s[0:1], 5
	s_lshl_b64 s[8:9], s[0:1], 4
	;; [unrolled: 1-line block ×3, first 2 shown]
	v_mov_b32_e32 v4, 0x1880
	v_addc_co_u32_e32 v3, vcc, 0, v3, vcc
	s_and_b32 s12, s30, 0x7ffffffc
	s_mul_i32 s13, s0, 24
	v_lshl_add_u32 v4, v0, 3, v4
	s_mov_b32 s16, 0
	v_mov_b32_e32 v5, s11
	v_mov_b32_e32 v6, s9
	;; [unrolled: 1-line block ×4, first 2 shown]
.LBB101_102:                            ; =>This Inner Loop Header: Depth=1
	v_add_co_u32_e32 v18, vcc, s10, v2
	ds_read2_b64 v[10:13], v4 offset1:28
	v_addc_co_u32_e32 v19, vcc, v3, v5, vcc
	v_add_co_u32_e32 v20, vcc, s8, v2
	ds_read2_b64 v[14:17], v4 offset0:56 offset1:84
	v_addc_co_u32_e32 v21, vcc, v3, v6, vcc
	v_add_co_u32_e32 v22, vcc, s13, v2
	v_addc_co_u32_e32 v23, vcc, v3, v7, vcc
	s_add_i32 s16, s16, 4
	s_waitcnt lgkmcnt(1)
	global_store_dwordx2 v[2:3], v[10:11], off
	global_store_dwordx2 v[18:19], v[12:13], off
	s_waitcnt lgkmcnt(0)
	global_store_dwordx2 v[20:21], v[14:15], off
	global_store_dwordx2 v[22:23], v[16:17], off
	v_add_co_u32_e32 v2, vcc, s6, v2
	v_add_u32_e32 v4, 0x380, v4
	s_cmp_lg_u32 s12, s16
	v_addc_co_u32_e32 v3, vcc, v3, v8, vcc
	s_cbranch_scc1 .LBB101_102
.LBB101_103:
	s_and_b32 s6, s30, 3
	s_cmp_eq_u32 s6, 0
	s_cbranch_scc1 .LBB101_106
; %bb.104:
	s_mul_hi_i32 s9, s0, s12
	s_mul_i32 s8, s0, s12
	s_lshl_b64 s[8:9], s[8:9], 3
	s_add_u32 s7, s14, s8
	s_addc_u32 s8, s15, s9
	s_add_u32 s7, s7, s23
	s_addc_u32 s8, s8, s22
	;; [unrolled: 2-line block ×4, first 2 shown]
	v_add_co_u32_e32 v2, vcc, s2, v1
	s_mul_i32 s2, s12, 0xe0
	v_mov_b32_e32 v3, s3
	s_lshl_b64 s[0:1], s[0:1], 3
	v_lshl_add_u32 v0, v0, 3, s2
	v_addc_co_u32_e32 v3, vcc, 0, v3, vcc
	v_add_u32_e32 v0, 0x1880, v0
	v_mov_b32_e32 v1, s1
.LBB101_105:                            ; =>This Inner Loop Header: Depth=1
	ds_read_b64 v[4:5], v0
	s_add_i32 s6, s6, -1
	v_add_u32_e32 v0, 0xe0, v0
	s_cmp_lg_u32 s6, 0
	s_waitcnt lgkmcnt(0)
	global_store_dwordx2 v[2:3], v[4:5], off
	v_add_co_u32_e32 v2, vcc, s0, v2
	v_addc_co_u32_e32 v3, vcc, v3, v1, vcc
	s_cbranch_scc1 .LBB101_105
.LBB101_106:
	s_endpgm
	.section	.rodata,"a",@progbits
	.p2align	6, 0x0
	.amdhsa_kernel _ZL31rocblas_trsm_small_right_deviceIddPKdPdLi28EEv13rocblas_fill_18rocblas_operation_17rocblas_diagonal_iiT0_T1_lilT2_lili
		.amdhsa_group_segment_fixed_size 12544
		.amdhsa_private_segment_fixed_size 0
		.amdhsa_kernarg_size 360
		.amdhsa_user_sgpr_count 6
		.amdhsa_user_sgpr_private_segment_buffer 1
		.amdhsa_user_sgpr_dispatch_ptr 0
		.amdhsa_user_sgpr_queue_ptr 0
		.amdhsa_user_sgpr_kernarg_segment_ptr 1
		.amdhsa_user_sgpr_dispatch_id 0
		.amdhsa_user_sgpr_flat_scratch_init 0
		.amdhsa_user_sgpr_kernarg_preload_length 0
		.amdhsa_user_sgpr_kernarg_preload_offset 0
		.amdhsa_user_sgpr_private_segment_size 0
		.amdhsa_uses_dynamic_stack 0
		.amdhsa_system_sgpr_private_segment_wavefront_offset 0
		.amdhsa_system_sgpr_workgroup_id_x 1
		.amdhsa_system_sgpr_workgroup_id_y 0
		.amdhsa_system_sgpr_workgroup_id_z 1
		.amdhsa_system_sgpr_workgroup_info 0
		.amdhsa_system_vgpr_workitem_id 0
		.amdhsa_next_free_vgpr 56
		.amdhsa_next_free_sgpr 38
		.amdhsa_accum_offset 56
		.amdhsa_reserve_vcc 1
		.amdhsa_reserve_flat_scratch 0
		.amdhsa_float_round_mode_32 0
		.amdhsa_float_round_mode_16_64 0
		.amdhsa_float_denorm_mode_32 3
		.amdhsa_float_denorm_mode_16_64 3
		.amdhsa_dx10_clamp 1
		.amdhsa_ieee_mode 1
		.amdhsa_fp16_overflow 0
		.amdhsa_tg_split 0
		.amdhsa_exception_fp_ieee_invalid_op 0
		.amdhsa_exception_fp_denorm_src 0
		.amdhsa_exception_fp_ieee_div_zero 0
		.amdhsa_exception_fp_ieee_overflow 0
		.amdhsa_exception_fp_ieee_underflow 0
		.amdhsa_exception_fp_ieee_inexact 0
		.amdhsa_exception_int_div_zero 0
	.end_amdhsa_kernel
	.section	.text._ZL31rocblas_trsm_small_right_deviceIddPKdPdLi28EEv13rocblas_fill_18rocblas_operation_17rocblas_diagonal_iiT0_T1_lilT2_lili,"axG",@progbits,_ZL31rocblas_trsm_small_right_deviceIddPKdPdLi28EEv13rocblas_fill_18rocblas_operation_17rocblas_diagonal_iiT0_T1_lilT2_lili,comdat
.Lfunc_end101:
	.size	_ZL31rocblas_trsm_small_right_deviceIddPKdPdLi28EEv13rocblas_fill_18rocblas_operation_17rocblas_diagonal_iiT0_T1_lilT2_lili, .Lfunc_end101-_ZL31rocblas_trsm_small_right_deviceIddPKdPdLi28EEv13rocblas_fill_18rocblas_operation_17rocblas_diagonal_iiT0_T1_lilT2_lili
                                        ; -- End function
	.section	.AMDGPU.csdata,"",@progbits
; Kernel info:
; codeLenInByte = 8036
; NumSgprs: 42
; NumVgprs: 56
; NumAgprs: 0
; TotalNumVgprs: 56
; ScratchSize: 0
; MemoryBound: 0
; FloatMode: 240
; IeeeMode: 1
; LDSByteSize: 12544 bytes/workgroup (compile time only)
; SGPRBlocks: 5
; VGPRBlocks: 6
; NumSGPRsForWavesPerEU: 42
; NumVGPRsForWavesPerEU: 56
; AccumOffset: 56
; Occupancy: 2
; WaveLimiterHint : 0
; COMPUTE_PGM_RSRC2:SCRATCH_EN: 0
; COMPUTE_PGM_RSRC2:USER_SGPR: 6
; COMPUTE_PGM_RSRC2:TRAP_HANDLER: 0
; COMPUTE_PGM_RSRC2:TGID_X_EN: 1
; COMPUTE_PGM_RSRC2:TGID_Y_EN: 0
; COMPUTE_PGM_RSRC2:TGID_Z_EN: 1
; COMPUTE_PGM_RSRC2:TIDIG_COMP_CNT: 0
; COMPUTE_PGM_RSRC3_GFX90A:ACCUM_OFFSET: 13
; COMPUTE_PGM_RSRC3_GFX90A:TG_SPLIT: 0
	.section	.text._ZL38rocblas_trsm_small_left_device_sharedBILi32ELi32ELb0EddPKdPdEv13rocblas_fill_18rocblas_operation_17rocblas_diagonal_iiT3_T4_lilT5_lili,"axG",@progbits,_ZL38rocblas_trsm_small_left_device_sharedBILi32ELi32ELb0EddPKdPdEv13rocblas_fill_18rocblas_operation_17rocblas_diagonal_iiT3_T4_lilT5_lili,comdat
	.globl	_ZL38rocblas_trsm_small_left_device_sharedBILi32ELi32ELb0EddPKdPdEv13rocblas_fill_18rocblas_operation_17rocblas_diagonal_iiT3_T4_lilT5_lili ; -- Begin function _ZL38rocblas_trsm_small_left_device_sharedBILi32ELi32ELb0EddPKdPdEv13rocblas_fill_18rocblas_operation_17rocblas_diagonal_iiT3_T4_lilT5_lili
	.p2align	8
	.type	_ZL38rocblas_trsm_small_left_device_sharedBILi32ELi32ELb0EddPKdPdEv13rocblas_fill_18rocblas_operation_17rocblas_diagonal_iiT3_T4_lilT5_lili,@function
_ZL38rocblas_trsm_small_left_device_sharedBILi32ELi32ELb0EddPKdPdEv13rocblas_fill_18rocblas_operation_17rocblas_diagonal_iiT3_T4_lilT5_lili: ; @_ZL38rocblas_trsm_small_left_device_sharedBILi32ELi32ELb0EddPKdPdEv13rocblas_fill_18rocblas_operation_17rocblas_diagonal_iiT3_T4_lilT5_lili
; %bb.0:
	s_load_dwordx4 s[8:11], s[4:5], 0x4
	s_load_dwordx4 s[12:15], s[4:5], 0x18
	s_load_dwordx2 s[20:21], s[4:5], 0x28
	s_load_dwordx4 s[0:3], s[4:5], 0x38
	s_load_dwordx2 s[16:17], s[4:5], 0x48
	s_waitcnt lgkmcnt(0)
	s_min_i32 s30, s10, 32
	s_mov_b32 s33, 0
	s_add_i32 s31, s30, -1
	v_cmp_gt_i32_e32 vcc, s30, v0
	s_and_saveexec_b64 s[18:19], vcc
	s_cbranch_execz .LBB102_10
; %bb.1:
	s_load_dword s22, s[4:5], 0x30
	s_mul_i32 s1, s7, s1
	s_mul_hi_u32 s24, s7, s0
	s_add_i32 s1, s24, s1
	s_mul_i32 s0, s7, s0
	s_waitcnt lgkmcnt(0)
	s_ashr_i32 s23, s22, 31
	s_cmp_lt_u32 s31, 3
	s_cbranch_scc1 .LBB102_4
; %bb.2:
	s_lshl_b64 s[24:25], s[0:1], 3
	s_add_u32 s26, s14, s24
	s_addc_u32 s27, s15, s25
	s_lshl_b64 s[24:25], s[20:21], 3
	s_add_u32 s24, s26, s24
	s_addc_u32 s25, s27, s25
	v_lshlrev_b32_e32 v1, 3, v0
	v_mov_b32_e32 v3, s25
	v_add_co_u32_e32 v2, vcc, s24, v1
	s_mul_hi_i32 s36, s22, 24
	s_lshl_b64 s[24:25], s[22:23], 5
	s_lshl_b64 s[26:27], s[22:23], 4
	;; [unrolled: 1-line block ×3, first 2 shown]
	v_addc_co_u32_e32 v3, vcc, 0, v3, vcc
	s_and_b32 s33, s30, -4
	s_mul_i32 s34, s22, 24
	s_mov_b32 s35, 0
	v_mov_b32_e32 v4, s29
	v_mov_b32_e32 v5, s27
	;; [unrolled: 1-line block ×4, first 2 shown]
.LBB102_3:                              ; =>This Inner Loop Header: Depth=1
	v_add_co_u32_e32 v10, vcc, s28, v2
	v_addc_co_u32_e32 v11, vcc, v3, v4, vcc
	v_add_co_u32_e32 v12, vcc, s26, v2
	v_addc_co_u32_e32 v13, vcc, v3, v5, vcc
	v_add_co_u32_e32 v14, vcc, s34, v2
	global_load_dwordx2 v[8:9], v[2:3], off
	v_addc_co_u32_e32 v15, vcc, v3, v6, vcc
	global_load_dwordx2 v[16:17], v[10:11], off
	global_load_dwordx2 v[18:19], v[12:13], off
	;; [unrolled: 1-line block ×3, first 2 shown]
	s_add_i32 s35, s35, 4
	v_add_co_u32_e32 v2, vcc, s24, v2
	v_addc_co_u32_e32 v3, vcc, v3, v7, vcc
	s_cmp_eq_u32 s33, s35
	s_waitcnt vmcnt(2)
	ds_write2_b64 v1, v[8:9], v[16:17] offset1:32
	s_waitcnt vmcnt(0)
	ds_write2_b64 v1, v[18:19], v[20:21] offset0:64 offset1:96
	v_add_u32_e32 v1, 0x400, v1
	s_cbranch_scc0 .LBB102_3
.LBB102_4:
	s_and_b32 s24, s30, 3
	s_cmp_eq_u32 s24, 0
	s_cbranch_scc1 .LBB102_7
; %bb.5:
	s_mul_i32 s25, s23, s33
	s_mul_hi_u32 s26, s22, s33
	s_add_i32 s27, s26, s25
	s_mul_i32 s26, s22, s33
	s_lshl_b64 s[0:1], s[0:1], 3
	s_lshl_b64 s[26:27], s[26:27], 3
	s_add_u32 s25, s0, s26
	s_addc_u32 s26, s1, s27
	s_lshl_b64 s[0:1], s[20:21], 3
	s_add_u32 s0, s25, s0
	s_addc_u32 s1, s26, s1
	s_add_u32 s0, s14, s0
	v_lshlrev_b32_e32 v2, 3, v0
	s_addc_u32 s1, s15, s1
	v_lshl_or_b32 v1, s33, 8, v2
	v_mov_b32_e32 v3, s1
	v_add_co_u32_e32 v2, vcc, s0, v2
	s_lshl_b64 s[0:1], s[22:23], 3
	v_addc_co_u32_e32 v3, vcc, 0, v3, vcc
	v_mov_b32_e32 v4, s1
.LBB102_6:                              ; =>This Inner Loop Header: Depth=1
	global_load_dwordx2 v[6:7], v[2:3], off
	v_add_co_u32_e32 v2, vcc, s0, v2
	s_add_i32 s24, s24, -1
	v_addc_co_u32_e32 v3, vcc, v3, v4, vcc
	s_cmp_lg_u32 s24, 0
	s_waitcnt vmcnt(0)
	ds_write_b64 v1, v[6:7]
	v_add_u32_e32 v1, 0x100, v1
	s_cbranch_scc1 .LBB102_6
.LBB102_7:
	v_mul_u32_u24_e32 v1, 33, v0
	v_mov_b32_e32 v2, 0
	s_cmpk_lg_i32 s9, 0x84
	v_lshlrev_b32_e32 v1, 3, v1
	v_mov_b32_e32 v3, 0x3ff00000
	s_cbranch_scc0 .LBB102_9
; %bb.8:
	ds_read_b64 v[2:3], v1
	s_waitcnt lgkmcnt(0)
	v_div_scale_f64 v[4:5], s[0:1], v[2:3], v[2:3], 1.0
	v_rcp_f64_e32 v[6:7], v[4:5]
	v_div_scale_f64 v[8:9], vcc, 1.0, v[2:3], 1.0
	v_fma_f64 v[10:11], -v[4:5], v[6:7], 1.0
	v_fmac_f64_e32 v[6:7], v[6:7], v[10:11]
	v_fma_f64 v[10:11], -v[4:5], v[6:7], 1.0
	v_fmac_f64_e32 v[6:7], v[6:7], v[10:11]
	v_mul_f64 v[10:11], v[8:9], v[6:7]
	v_fma_f64 v[4:5], -v[4:5], v[10:11], v[8:9]
	v_div_fmas_f64 v[4:5], v[4:5], v[6:7], v[10:11]
	v_div_fixup_f64 v[2:3], v[4:5], v[2:3], 1.0
.LBB102_9:
	ds_write_b64 v1, v[2:3]
.LBB102_10:
	s_or_b64 exec, exec, s[18:19]
	s_load_dword s9, s[4:5], 0x68
	s_load_dword s22, s[4:5], 0x50
	s_load_dwordx2 s[0:1], s[4:5], 0x58
	s_mov_b32 s18, 0
	s_waitcnt lgkmcnt(0)
	s_ashr_i32 s23, s22, 31
	s_mul_i32 s1, s7, s1
	s_mul_hi_u32 s4, s7, s0
	s_mul_i32 s0, s7, s0
	s_add_i32 s1, s4, s1
	s_lshl_b64 s[0:1], s[0:1], 3
	s_add_u32 s7, s2, s0
	s_addc_u32 s14, s3, s1
	s_lshl_b64 s[4:5], s[16:17], 3
	s_add_u32 s16, s7, s4
	s_addc_u32 s17, s14, s5
	s_lshl_b32 s14, s6, 5
	s_add_i32 s9, s9, -1
	s_sub_i32 s7, s11, s14
	s_cmp_ge_u32 s6, s9
	s_cselect_b32 s9, s7, 32
	s_mul_hi_i32 s7, s22, s14
	s_mul_i32 s6, s22, s14
	s_ashr_i32 s15, s14, 31
	s_lshl_b64 s[6:7], s[6:7], 3
	s_add_u32 s11, s16, s6
	s_addc_u32 s24, s17, s7
	s_cmp_gt_i32 s10, 0
	v_cmp_gt_i32_e32 vcc, s9, v0
	s_cselect_b64 s[6:7], -1, 0
	s_and_b64 s[6:7], vcc, s[6:7]
	s_and_saveexec_b64 s[16:17], s[6:7]
	s_cbranch_execz .LBB102_17
; %bb.11:
	s_cmp_lt_i32 s10, 8
	s_cbranch_scc1 .LBB102_14
; %bb.12:
	v_mad_i64_i32 v[2:3], s[18:19], s22, v0, 0
	v_lshlrev_b64 v[2:3], 3, v[2:3]
	v_mov_b32_e32 v4, s24
	v_add_co_u32_e32 v1, vcc, s11, v2
	v_addc_co_u32_e32 v2, vcc, v4, v3, vcc
	v_mov_b32_e32 v3, 0x2000
	s_lshl_b32 s9, s30, 3
	v_lshl_or_b32 v3, v0, 3, v3
	s_and_b32 s9, s9, 0x1c0
	s_mov_b32 s18, 0
	s_mov_b64 s[20:21], 0
.LBB102_13:                             ; =>This Inner Loop Header: Depth=1
	v_mov_b32_e32 v4, s21
	v_add_co_u32_e32 v20, vcc, s20, v1
	v_addc_co_u32_e32 v21, vcc, v2, v4, vcc
	global_load_dwordx4 v[4:7], v[20:21], off
	global_load_dwordx4 v[8:11], v[20:21], off offset:16
	global_load_dwordx4 v[12:15], v[20:21], off offset:32
	;; [unrolled: 1-line block ×3, first 2 shown]
	s_add_i32 s18, s18, 8
	s_add_u32 s20, s20, 64
	s_addc_u32 s21, s21, 0
	s_cmp_lg_u32 s9, s20
	s_waitcnt vmcnt(3)
	v_mul_f64 v[4:5], v[4:5], s[12:13]
	v_mul_f64 v[6:7], v[6:7], s[12:13]
	s_waitcnt vmcnt(2)
	v_mul_f64 v[8:9], v[8:9], s[12:13]
	v_mul_f64 v[10:11], v[10:11], s[12:13]
	;; [unrolled: 3-line block ×4, first 2 shown]
	ds_write2_b64 v3, v[4:5], v[6:7] offset1:32
	ds_write2_b64 v3, v[8:9], v[10:11] offset0:64 offset1:96
	ds_write2_b64 v3, v[12:13], v[14:15] offset0:128 offset1:160
	;; [unrolled: 1-line block ×3, first 2 shown]
	v_add_u32_e32 v3, 0x800, v3
	s_cbranch_scc1 .LBB102_13
.LBB102_14:
	s_and_b32 s9, s30, 7
	s_cmp_eq_u32 s9, 0
	s_mov_b32 s19, 0
	s_cbranch_scc1 .LBB102_17
; %bb.15:
	v_lshlrev_b32_e32 v2, 3, v0
	v_lshl_or_b32 v1, s18, 8, v2
	s_lshl_b64 s[20:21], s[14:15], 3
	s_lshl_b64 s[18:19], s[18:19], 3
	s_add_u32 s18, s2, s18
	s_addc_u32 s19, s3, s19
	s_add_u32 s18, s18, s4
	s_addc_u32 s19, s19, s5
	s_add_u32 s18, s18, s0
	v_mov_b32_e32 v3, s21
	v_add_co_u32_e32 v4, vcc, s20, v2
	s_addc_u32 s19, s19, s1
	v_addc_co_u32_e32 v5, vcc, 0, v3, vcc
	v_pk_mov_b32 v[2:3], s[18:19], s[18:19] op_sel:[0,1]
	v_mad_u64_u32 v[2:3], s[18:19], v4, s22, v[2:3]
	v_mul_lo_u32 v4, v4, s23
	v_mul_lo_u32 v5, v5, s22
	v_add_u32_e32 v1, 0x2000, v1
	v_add3_u32 v3, v5, v3, v4
.LBB102_16:                             ; =>This Inner Loop Header: Depth=1
	global_load_dwordx2 v[4:5], v[2:3], off
	v_add_co_u32_e32 v2, vcc, 8, v2
	s_add_i32 s9, s9, -1
	v_addc_co_u32_e32 v3, vcc, 0, v3, vcc
	s_cmp_lg_u32 s9, 0
	s_waitcnt vmcnt(0)
	v_mul_f64 v[4:5], v[4:5], s[12:13]
	ds_write_b64 v1, v[4:5]
	v_add_u32_e32 v1, 0x100, v1
	s_cbranch_scc1 .LBB102_16
.LBB102_17:
	s_or_b64 exec, exec, s[16:17]
	s_cmpk_eq_i32 s8, 0x6f
	s_mov_b64 s[8:9], -1
	s_waitcnt lgkmcnt(0)
	; wave barrier
	s_waitcnt lgkmcnt(0)
	s_cbranch_scc1 .LBB102_38
; %bb.18:
	s_cmp_gt_i32 s10, 31
	s_cselect_b64 s[8:9], -1, 0
	s_mov_b32 s12, 0
	s_and_b64 vcc, exec, s[8:9]
	s_cbranch_vccz .LBB102_20
; %bb.19:
	v_lshlrev_b32_e32 v1, 3, v0
	v_add_u32_e32 v67, 0x2000, v1
	v_add_u32_e32 v66, 0x2800, v1
	;; [unrolled: 1-line block ×4, first 2 shown]
	v_mov_b32_e32 v70, 0
	ds_read2_b64 v[50:53], v67 offset1:32
	ds_read2_b64 v[54:57], v67 offset0:64 offset1:96
	ds_read2_b64 v[58:61], v67 offset0:128 offset1:160
	ds_read2_b64 v[62:65], v67 offset0:192 offset1:224
	ds_read2_b64 v[46:49], v66 offset1:32
	ds_read2_b64 v[42:45], v66 offset0:64 offset1:96
	ds_read2_b64 v[38:41], v66 offset0:128 offset1:160
	ds_read2_b64 v[34:37], v66 offset0:192 offset1:224
	ds_read2_b64 v[30:33], v71 offset1:32
	ds_read2_b64 v[26:29], v71 offset0:64 offset1:96
	ds_read2_b64 v[22:25], v71 offset0:128 offset1:160
	ds_read2_b64 v[18:21], v71 offset0:192 offset1:224
	ds_read2_b64 v[14:17], v1 offset1:32
	ds_read2_b64 v[72:75], v70 offset1:66
	ds_read2_b64 v[10:13], v1 offset0:64 offset1:96
	ds_read_b128 v[76:79], v70 offset:256
	ds_read2_b64 v[6:9], v1 offset0:128 offset1:160
	ds_read2_b64 v[2:5], v1 offset0:192 offset1:224
	ds_read_b128 v[80:83], v70 offset:512
	s_waitcnt lgkmcnt(5)
	v_mul_f64 v[50:51], v[72:73], v[50:51]
	s_waitcnt lgkmcnt(3)
	v_fma_f64 v[52:53], -v[50:51], v[76:77], v[52:53]
	v_mul_f64 v[52:53], v[78:79], v[52:53]
	ds_read_b128 v[76:79], v70 offset:768
	s_waitcnt lgkmcnt(1)
	v_fma_f64 v[54:55], -v[50:51], v[80:81], v[54:55]
	v_fma_f64 v[54:55], -v[52:53], v[82:83], v[54:55]
	ds_read_b128 v[80:83], v70 offset:784
	v_mul_f64 v[54:55], v[74:75], v[54:55]
	ds_read_b128 v[72:75], v70 offset:1024
	s_waitcnt lgkmcnt(2)
	v_fma_f64 v[56:57], -v[50:51], v[76:77], v[56:57]
	v_fma_f64 v[56:57], -v[52:53], v[78:79], v[56:57]
	ds_read_b128 v[76:79], v70 offset:1040
	s_waitcnt lgkmcnt(2)
	v_fma_f64 v[56:57], -v[54:55], v[80:81], v[56:57]
	v_mul_f64 v[56:57], v[82:83], v[56:57]
	ds_write2_b64 v67, v[50:51], v[52:53] offset1:32
	ds_write2_b64 v67, v[54:55], v[56:57] offset0:64 offset1:96
	s_waitcnt lgkmcnt(3)
	v_fma_f64 v[58:59], -v[50:51], v[72:73], v[58:59]
	v_fma_f64 v[58:59], -v[52:53], v[74:75], v[58:59]
	ds_read2_b64 v[72:75], v70 offset0:132 offset1:198
	ds_read_b128 v[80:83], v70 offset:1280
	s_waitcnt lgkmcnt(4)
	v_fma_f64 v[58:59], -v[54:55], v[76:77], v[58:59]
	v_fma_f64 v[58:59], -v[56:57], v[78:79], v[58:59]
	ds_read_b128 v[76:79], v70 offset:1296
	ds_read_b128 v[84:87], v70 offset:1312
	s_waitcnt lgkmcnt(2)
	v_fma_f64 v[60:61], -v[50:51], v[80:81], v[60:61]
	v_fma_f64 v[60:61], -v[52:53], v[82:83], v[60:61]
	v_mul_f64 v[58:59], v[72:73], v[58:59]
	s_waitcnt lgkmcnt(1)
	v_fma_f64 v[60:61], -v[54:55], v[76:77], v[60:61]
	v_fma_f64 v[60:61], -v[56:57], v[78:79], v[60:61]
	ds_read_b128 v[76:79], v70 offset:1536
	ds_read_b128 v[80:83], v70 offset:1552
	s_waitcnt lgkmcnt(2)
	v_fma_f64 v[60:61], -v[58:59], v[84:85], v[60:61]
	v_mul_f64 v[60:61], v[86:87], v[60:61]
	ds_read_b128 v[84:87], v70 offset:1568
	s_waitcnt lgkmcnt(2)
	v_fma_f64 v[62:63], -v[50:51], v[76:77], v[62:63]
	v_fma_f64 v[62:63], -v[52:53], v[78:79], v[62:63]
	ds_read_b128 v[76:79], v70 offset:1792
	s_waitcnt lgkmcnt(2)
	v_fma_f64 v[62:63], -v[54:55], v[80:81], v[62:63]
	v_fma_f64 v[62:63], -v[56:57], v[82:83], v[62:63]
	s_waitcnt lgkmcnt(1)
	v_fma_f64 v[62:63], -v[58:59], v[84:85], v[62:63]
	ds_read_b128 v[80:83], v70 offset:1808
	v_fma_f64 v[62:63], -v[60:61], v[86:87], v[62:63]
	v_mul_f64 v[62:63], v[74:75], v[62:63]
	ds_read_b128 v[72:75], v70 offset:1824
	s_waitcnt lgkmcnt(2)
	v_fma_f64 v[64:65], -v[50:51], v[76:77], v[64:65]
	v_fma_f64 v[64:65], -v[52:53], v[78:79], v[64:65]
	ds_read_b128 v[76:79], v70 offset:1840
	s_waitcnt lgkmcnt(2)
	v_fma_f64 v[64:65], -v[54:55], v[80:81], v[64:65]
	v_fma_f64 v[64:65], -v[56:57], v[82:83], v[64:65]
	s_waitcnt lgkmcnt(1)
	v_fma_f64 v[64:65], -v[58:59], v[72:73], v[64:65]
	v_fma_f64 v[64:65], -v[60:61], v[74:75], v[64:65]
	ds_read_b128 v[72:75], v70 offset:2048
	s_waitcnt lgkmcnt(1)
	v_fma_f64 v[64:65], -v[62:63], v[76:77], v[64:65]
	v_mul_f64 v[64:65], v[78:79], v[64:65]
	ds_read_b128 v[76:79], v70 offset:2064
	ds_read_b128 v[80:83], v70 offset:2080
	s_waitcnt lgkmcnt(2)
	v_fma_f64 v[46:47], -v[50:51], v[72:73], v[46:47]
	v_fma_f64 v[46:47], -v[52:53], v[74:75], v[46:47]
	ds_read_b128 v[72:75], v70 offset:2096
	s_waitcnt lgkmcnt(2)
	v_fma_f64 v[46:47], -v[54:55], v[76:77], v[46:47]
	v_fma_f64 v[46:47], -v[56:57], v[78:79], v[46:47]
	s_movk_i32 s12, 0x800
	ds_write2_b64 v67, v[58:59], v[60:61] offset0:128 offset1:160
	ds_write2_b64 v67, v[62:63], v[64:65] offset0:192 offset1:224
	s_waitcnt lgkmcnt(3)
	v_fma_f64 v[46:47], -v[58:59], v[80:81], v[46:47]
	v_add_u32_e64 v67, s12, 0
	v_fma_f64 v[46:47], -v[60:61], v[82:83], v[46:47]
	ds_read2_b64 v[76:79], v67 offset0:8 offset1:74
	ds_read_b128 v[80:83], v70 offset:2304
	s_waitcnt lgkmcnt(4)
	v_fma_f64 v[46:47], -v[62:63], v[72:73], v[46:47]
	v_fma_f64 v[46:47], -v[64:65], v[74:75], v[46:47]
	ds_read_b128 v[72:75], v70 offset:2320
	ds_read_b128 v[84:87], v70 offset:2336
	s_waitcnt lgkmcnt(2)
	v_fma_f64 v[48:49], -v[50:51], v[80:81], v[48:49]
	v_fma_f64 v[48:49], -v[52:53], v[82:83], v[48:49]
	ds_read_b128 v[80:83], v70 offset:2352
	s_waitcnt lgkmcnt(2)
	v_fma_f64 v[48:49], -v[54:55], v[72:73], v[48:49]
	v_fma_f64 v[48:49], -v[56:57], v[74:75], v[48:49]
	;; [unrolled: 4-line block ×3, first 2 shown]
	s_waitcnt lgkmcnt(1)
	v_fma_f64 v[48:49], -v[62:63], v[80:81], v[48:49]
	v_mul_f64 v[46:47], v[76:77], v[46:47]
	v_fma_f64 v[48:49], -v[64:65], v[82:83], v[48:49]
	ds_read_b128 v[80:83], v70 offset:2560
	s_waitcnt lgkmcnt(1)
	v_fma_f64 v[48:49], -v[46:47], v[72:73], v[48:49]
	v_mul_f64 v[48:49], v[74:75], v[48:49]
	ds_read_b128 v[72:75], v70 offset:2576
	ds_read_b128 v[84:87], v70 offset:2592
	s_waitcnt lgkmcnt(2)
	v_fma_f64 v[42:43], -v[50:51], v[80:81], v[42:43]
	v_fma_f64 v[42:43], -v[52:53], v[82:83], v[42:43]
	ds_read_b128 v[80:83], v70 offset:2608
	s_waitcnt lgkmcnt(2)
	v_fma_f64 v[42:43], -v[54:55], v[72:73], v[42:43]
	v_fma_f64 v[42:43], -v[56:57], v[74:75], v[42:43]
	;; [unrolled: 4-line block ×3, first 2 shown]
	s_waitcnt lgkmcnt(1)
	v_fma_f64 v[42:43], -v[62:63], v[80:81], v[42:43]
	v_fma_f64 v[42:43], -v[64:65], v[82:83], v[42:43]
	ds_read_b128 v[80:83], v70 offset:2816
	s_waitcnt lgkmcnt(1)
	v_fma_f64 v[42:43], -v[46:47], v[72:73], v[42:43]
	v_fma_f64 v[42:43], -v[48:49], v[74:75], v[42:43]
	ds_read_b128 v[72:75], v70 offset:2832
	v_mul_f64 v[42:43], v[78:79], v[42:43]
	ds_read_b128 v[76:79], v70 offset:2848
	s_waitcnt lgkmcnt(2)
	v_fma_f64 v[44:45], -v[50:51], v[80:81], v[44:45]
	v_fma_f64 v[44:45], -v[52:53], v[82:83], v[44:45]
	ds_read_b128 v[80:83], v70 offset:2864
	s_waitcnt lgkmcnt(2)
	v_fma_f64 v[44:45], -v[54:55], v[72:73], v[44:45]
	v_fma_f64 v[44:45], -v[56:57], v[74:75], v[44:45]
	;; [unrolled: 4-line block ×4, first 2 shown]
	s_waitcnt lgkmcnt(1)
	v_fma_f64 v[44:45], -v[46:47], v[72:73], v[44:45]
	v_fma_f64 v[44:45], -v[48:49], v[74:75], v[44:45]
	ds_read_b128 v[72:75], v70 offset:3072
	s_waitcnt lgkmcnt(1)
	v_fma_f64 v[44:45], -v[42:43], v[76:77], v[44:45]
	v_mul_f64 v[44:45], v[78:79], v[44:45]
	ds_read_b128 v[76:79], v70 offset:3088
	ds_read_b128 v[80:83], v70 offset:3104
	s_waitcnt lgkmcnt(2)
	v_fma_f64 v[38:39], -v[50:51], v[72:73], v[38:39]
	v_fma_f64 v[38:39], -v[52:53], v[74:75], v[38:39]
	ds_read_b128 v[72:75], v70 offset:3120
	s_waitcnt lgkmcnt(2)
	v_fma_f64 v[38:39], -v[54:55], v[76:77], v[38:39]
	v_fma_f64 v[38:39], -v[56:57], v[78:79], v[38:39]
	ds_read_b128 v[76:79], v70 offset:3136
	s_waitcnt lgkmcnt(2)
	v_fma_f64 v[38:39], -v[58:59], v[80:81], v[38:39]
	v_fma_f64 v[38:39], -v[60:61], v[82:83], v[38:39]
	s_waitcnt lgkmcnt(1)
	v_fma_f64 v[38:39], -v[62:63], v[72:73], v[38:39]
	ds_read_b128 v[80:83], v70 offset:3152
	v_fma_f64 v[38:39], -v[64:65], v[74:75], v[38:39]
	s_waitcnt lgkmcnt(1)
	v_fma_f64 v[38:39], -v[46:47], v[76:77], v[38:39]
	v_fma_f64 v[38:39], -v[48:49], v[78:79], v[38:39]
	ds_read_b128 v[76:79], v70 offset:3328
	ds_write2_b64 v66, v[46:47], v[48:49] offset1:32
	ds_write2_b64 v66, v[42:43], v[44:45] offset0:64 offset1:96
	s_waitcnt lgkmcnt(3)
	v_fma_f64 v[38:39], -v[42:43], v[80:81], v[38:39]
	ds_read2_b64 v[72:75], v67 offset0:140 offset1:206
	v_fma_f64 v[38:39], -v[44:45], v[82:83], v[38:39]
	ds_read_b128 v[80:83], v70 offset:3344
	ds_read_b128 v[84:87], v70 offset:3360
	;; [unrolled: 1-line block ×3, first 2 shown]
	s_waitcnt lgkmcnt(6)
	v_fma_f64 v[40:41], -v[50:51], v[76:77], v[40:41]
	v_fma_f64 v[40:41], -v[52:53], v[78:79], v[40:41]
	s_waitcnt lgkmcnt(2)
	v_fma_f64 v[40:41], -v[54:55], v[80:81], v[40:41]
	v_fma_f64 v[40:41], -v[56:57], v[82:83], v[40:41]
	ds_read_b128 v[76:79], v70 offset:3392
	ds_read_b128 v[80:83], v70 offset:3408
	s_waitcnt lgkmcnt(3)
	v_fma_f64 v[40:41], -v[58:59], v[84:85], v[40:41]
	v_fma_f64 v[40:41], -v[60:61], v[86:87], v[40:41]
	s_waitcnt lgkmcnt(2)
	v_fma_f64 v[40:41], -v[62:63], v[88:89], v[40:41]
	v_fma_f64 v[40:41], -v[64:65], v[90:91], v[40:41]
	ds_read_b128 v[84:87], v70 offset:3424
	s_waitcnt lgkmcnt(2)
	v_fma_f64 v[40:41], -v[46:47], v[76:77], v[40:41]
	v_fma_f64 v[40:41], -v[48:49], v[78:79], v[40:41]
	ds_read_b128 v[76:79], v70 offset:3584
	s_waitcnt lgkmcnt(2)
	v_fma_f64 v[40:41], -v[42:43], v[80:81], v[40:41]
	v_mul_f64 v[38:39], v[72:73], v[38:39]
	v_fma_f64 v[40:41], -v[44:45], v[82:83], v[40:41]
	ds_read_b128 v[80:83], v70 offset:3600
	s_waitcnt lgkmcnt(2)
	v_fma_f64 v[40:41], -v[38:39], v[84:85], v[40:41]
	v_mul_f64 v[40:41], v[86:87], v[40:41]
	ds_read_b128 v[84:87], v70 offset:3616
	s_waitcnt lgkmcnt(2)
	v_fma_f64 v[34:35], -v[50:51], v[76:77], v[34:35]
	v_fma_f64 v[34:35], -v[52:53], v[78:79], v[34:35]
	ds_read_b128 v[76:79], v70 offset:3632
	s_waitcnt lgkmcnt(2)
	v_fma_f64 v[34:35], -v[54:55], v[80:81], v[34:35]
	v_fma_f64 v[34:35], -v[56:57], v[82:83], v[34:35]
	;; [unrolled: 4-line block ×5, first 2 shown]
	s_waitcnt lgkmcnt(1)
	v_fma_f64 v[34:35], -v[42:43], v[84:85], v[34:35]
	v_fma_f64 v[34:35], -v[44:45], v[86:87], v[34:35]
	s_waitcnt lgkmcnt(0)
	v_fma_f64 v[34:35], -v[38:39], v[76:77], v[34:35]
	v_fma_f64 v[34:35], -v[40:41], v[78:79], v[34:35]
	ds_read_b128 v[76:79], v70 offset:3840
	ds_write2_b64 v66, v[38:39], v[40:41] offset0:128 offset1:160
	v_mul_f64 v[34:35], v[74:75], v[34:35]
	ds_read_b128 v[72:75], v70 offset:3856
	ds_read_b128 v[80:83], v70 offset:3872
	;; [unrolled: 1-line block ×3, first 2 shown]
	s_movk_i32 s12, 0x1000
	s_waitcnt lgkmcnt(4)
	v_fma_f64 v[36:37], -v[50:51], v[76:77], v[36:37]
	v_fma_f64 v[36:37], -v[52:53], v[78:79], v[36:37]
	s_waitcnt lgkmcnt(2)
	v_fma_f64 v[36:37], -v[54:55], v[72:73], v[36:37]
	v_fma_f64 v[36:37], -v[56:57], v[74:75], v[36:37]
	ds_read_b128 v[72:75], v70 offset:3904
	ds_read_b128 v[76:79], v70 offset:3920
	s_waitcnt lgkmcnt(3)
	v_fma_f64 v[36:37], -v[58:59], v[80:81], v[36:37]
	v_fma_f64 v[36:37], -v[60:61], v[82:83], v[36:37]
	s_waitcnt lgkmcnt(2)
	v_fma_f64 v[36:37], -v[62:63], v[84:85], v[36:37]
	v_fma_f64 v[36:37], -v[64:65], v[86:87], v[36:37]
	ds_read_b128 v[80:83], v70 offset:3936
	s_waitcnt lgkmcnt(2)
	v_fma_f64 v[36:37], -v[46:47], v[72:73], v[36:37]
	v_fma_f64 v[36:37], -v[48:49], v[74:75], v[36:37]
	ds_read_b128 v[72:75], v70 offset:3952
	s_waitcnt lgkmcnt(2)
	v_fma_f64 v[36:37], -v[42:43], v[76:77], v[36:37]
	v_fma_f64 v[36:37], -v[44:45], v[78:79], v[36:37]
	s_waitcnt lgkmcnt(1)
	v_fma_f64 v[36:37], -v[38:39], v[80:81], v[36:37]
	v_fma_f64 v[36:37], -v[40:41], v[82:83], v[36:37]
	ds_read_b128 v[76:79], v70 offset:4096
	s_waitcnt lgkmcnt(1)
	v_fma_f64 v[36:37], -v[34:35], v[72:73], v[36:37]
	v_mul_f64 v[36:37], v[74:75], v[36:37]
	ds_read_b128 v[72:75], v70 offset:4112
	ds_write2_b64 v66, v[34:35], v[36:37] offset0:192 offset1:224
	ds_read_b128 v[66:69], v70 offset:4128
	s_waitcnt lgkmcnt(3)
	v_fma_f64 v[30:31], -v[50:51], v[76:77], v[30:31]
	v_fma_f64 v[30:31], -v[52:53], v[78:79], v[30:31]
	ds_read_b128 v[76:79], v70 offset:4144
	s_waitcnt lgkmcnt(3)
	v_fma_f64 v[30:31], -v[54:55], v[72:73], v[30:31]
	v_fma_f64 v[30:31], -v[56:57], v[74:75], v[30:31]
	;; [unrolled: 4-line block ×4, first 2 shown]
	s_waitcnt lgkmcnt(1)
	v_fma_f64 v[30:31], -v[46:47], v[72:73], v[30:31]
	ds_read_b128 v[76:79], v70 offset:4192
	v_fma_f64 v[30:31], -v[48:49], v[74:75], v[30:31]
	s_waitcnt lgkmcnt(1)
	v_fma_f64 v[30:31], -v[42:43], v[66:67], v[30:31]
	v_fma_f64 v[30:31], -v[44:45], v[68:69], v[30:31]
	ds_read_b128 v[66:69], v70 offset:4208
	s_waitcnt lgkmcnt(1)
	v_fma_f64 v[30:31], -v[38:39], v[76:77], v[30:31]
	v_fma_f64 v[30:31], -v[40:41], v[78:79], v[30:31]
	v_add_u32_e64 v88, s12, 0
	ds_read2_b64 v[72:75], v88 offset0:16 offset1:82
	s_waitcnt lgkmcnt(1)
	v_fma_f64 v[30:31], -v[34:35], v[66:67], v[30:31]
	v_fma_f64 v[30:31], -v[36:37], v[68:69], v[30:31]
	ds_read_b128 v[66:69], v70 offset:4352
	ds_read_b128 v[76:79], v70 offset:4368
	;; [unrolled: 1-line block ×4, first 2 shown]
	s_waitcnt lgkmcnt(4)
	v_mul_f64 v[30:31], v[72:73], v[30:31]
	s_movk_i32 s12, 0x1800
	s_waitcnt lgkmcnt(3)
	v_fma_f64 v[32:33], -v[50:51], v[66:67], v[32:33]
	v_fma_f64 v[32:33], -v[52:53], v[68:69], v[32:33]
	s_waitcnt lgkmcnt(2)
	v_fma_f64 v[32:33], -v[54:55], v[76:77], v[32:33]
	v_fma_f64 v[32:33], -v[56:57], v[78:79], v[32:33]
	ds_read_b128 v[66:69], v70 offset:4416
	ds_read_b128 v[76:79], v70 offset:4432
	s_waitcnt lgkmcnt(3)
	v_fma_f64 v[32:33], -v[58:59], v[80:81], v[32:33]
	v_fma_f64 v[32:33], -v[60:61], v[82:83], v[32:33]
	s_waitcnt lgkmcnt(2)
	v_fma_f64 v[32:33], -v[62:63], v[84:85], v[32:33]
	v_fma_f64 v[32:33], -v[64:65], v[86:87], v[32:33]
	ds_read_b128 v[80:83], v70 offset:4448
	s_waitcnt lgkmcnt(2)
	v_fma_f64 v[32:33], -v[46:47], v[66:67], v[32:33]
	v_fma_f64 v[32:33], -v[48:49], v[68:69], v[32:33]
	ds_read_b128 v[66:69], v70 offset:4464
	;; [unrolled: 4-line block ×3, first 2 shown]
	s_waitcnt lgkmcnt(2)
	v_fma_f64 v[32:33], -v[38:39], v[80:81], v[32:33]
	v_fma_f64 v[32:33], -v[40:41], v[82:83], v[32:33]
	s_waitcnt lgkmcnt(1)
	v_fma_f64 v[32:33], -v[34:35], v[66:67], v[32:33]
	v_fma_f64 v[32:33], -v[36:37], v[68:69], v[32:33]
	ds_read_b128 v[66:69], v70 offset:4608
	s_waitcnt lgkmcnt(1)
	v_fma_f64 v[32:33], -v[30:31], v[76:77], v[32:33]
	v_mul_f64 v[32:33], v[78:79], v[32:33]
	ds_read_b128 v[76:79], v70 offset:4624
	ds_read_b128 v[80:83], v70 offset:4640
	s_waitcnt lgkmcnt(2)
	v_fma_f64 v[26:27], -v[50:51], v[66:67], v[26:27]
	v_fma_f64 v[26:27], -v[52:53], v[68:69], v[26:27]
	ds_read_b128 v[66:69], v70 offset:4656
	s_waitcnt lgkmcnt(2)
	v_fma_f64 v[26:27], -v[54:55], v[76:77], v[26:27]
	v_fma_f64 v[26:27], -v[56:57], v[78:79], v[26:27]
	;; [unrolled: 4-line block ×7, first 2 shown]
	s_waitcnt lgkmcnt(1)
	v_fma_f64 v[26:27], -v[34:35], v[76:77], v[26:27]
	v_fma_f64 v[26:27], -v[36:37], v[78:79], v[26:27]
	ds_read_b128 v[76:79], v70 offset:4864
	s_waitcnt lgkmcnt(1)
	v_fma_f64 v[26:27], -v[30:31], v[80:81], v[26:27]
	ds_write2_b64 v71, v[30:31], v[32:33] offset1:32
	v_fma_f64 v[26:27], -v[32:33], v[82:83], v[26:27]
	v_mul_f64 v[66:67], v[74:75], v[26:27]
	ds_read_b128 v[72:75], v70 offset:4880
	ds_read_b128 v[80:83], v70 offset:4896
	;; [unrolled: 1-line block ×3, first 2 shown]
	s_waitcnt lgkmcnt(4)
	v_fma_f64 v[26:27], -v[50:51], v[76:77], v[28:29]
	v_fma_f64 v[26:27], -v[52:53], v[78:79], v[26:27]
	s_waitcnt lgkmcnt(2)
	v_fma_f64 v[26:27], -v[54:55], v[72:73], v[26:27]
	v_fma_f64 v[26:27], -v[56:57], v[74:75], v[26:27]
	s_waitcnt lgkmcnt(1)
	v_fma_f64 v[68:69], -v[58:59], v[80:81], v[26:27]
	ds_read_b128 v[26:29], v70 offset:4928
	ds_read_b128 v[72:75], v70 offset:4944
	v_fma_f64 v[68:69], -v[60:61], v[82:83], v[68:69]
	s_waitcnt lgkmcnt(2)
	v_fma_f64 v[68:69], -v[62:63], v[84:85], v[68:69]
	v_fma_f64 v[68:69], -v[64:65], v[86:87], v[68:69]
	s_waitcnt lgkmcnt(1)
	v_fma_f64 v[26:27], -v[46:47], v[26:27], v[68:69]
	ds_read_b128 v[76:79], v70 offset:4960
	v_fma_f64 v[26:27], -v[48:49], v[28:29], v[26:27]
	s_waitcnt lgkmcnt(1)
	v_fma_f64 v[26:27], -v[42:43], v[72:73], v[26:27]
	v_fma_f64 v[68:69], -v[44:45], v[74:75], v[26:27]
	ds_read_b128 v[26:29], v70 offset:4976
	ds_read_b128 v[72:75], v70 offset:4992
	s_waitcnt lgkmcnt(2)
	v_fma_f64 v[68:69], -v[38:39], v[76:77], v[68:69]
	v_fma_f64 v[68:69], -v[40:41], v[78:79], v[68:69]
	ds_read_b128 v[76:79], v70 offset:5008
	s_waitcnt lgkmcnt(2)
	v_fma_f64 v[26:27], -v[34:35], v[26:27], v[68:69]
	v_fma_f64 v[26:27], -v[36:37], v[28:29], v[26:27]
	s_waitcnt lgkmcnt(1)
	v_fma_f64 v[26:27], -v[30:31], v[72:73], v[26:27]
	v_fma_f64 v[26:27], -v[32:33], v[74:75], v[26:27]
	s_waitcnt lgkmcnt(0)
	v_fma_f64 v[26:27], -v[66:67], v[76:77], v[26:27]
	v_mul_f64 v[68:69], v[78:79], v[26:27]
	ds_read_b128 v[26:29], v70 offset:5120
	ds_write2_b64 v71, v[66:67], v[68:69] offset0:64 offset1:96
	ds_read_b128 v[72:75], v70 offset:5136
	ds_read_b128 v[76:79], v70 offset:5152
	;; [unrolled: 1-line block ×3, first 2 shown]
	s_waitcnt lgkmcnt(4)
	v_fma_f64 v[22:23], -v[50:51], v[26:27], v[22:23]
	v_fma_f64 v[22:23], -v[52:53], v[28:29], v[22:23]
	s_waitcnt lgkmcnt(2)
	v_fma_f64 v[22:23], -v[54:55], v[72:73], v[22:23]
	v_fma_f64 v[22:23], -v[56:57], v[74:75], v[22:23]
	ds_read_b128 v[26:29], v70 offset:5184
	ds_read_b128 v[72:75], v70 offset:5200
	s_waitcnt lgkmcnt(3)
	v_fma_f64 v[22:23], -v[58:59], v[76:77], v[22:23]
	v_fma_f64 v[22:23], -v[60:61], v[78:79], v[22:23]
	s_waitcnt lgkmcnt(2)
	v_fma_f64 v[22:23], -v[62:63], v[80:81], v[22:23]
	v_fma_f64 v[22:23], -v[64:65], v[82:83], v[22:23]
	ds_read_b128 v[76:79], v70 offset:5216
	s_waitcnt lgkmcnt(2)
	v_fma_f64 v[22:23], -v[46:47], v[26:27], v[22:23]
	v_fma_f64 v[22:23], -v[48:49], v[28:29], v[22:23]
	ds_read_b128 v[26:29], v70 offset:5232
	;; [unrolled: 4-line block ×4, first 2 shown]
	s_waitcnt lgkmcnt(2)
	v_fma_f64 v[22:23], -v[34:35], v[26:27], v[22:23]
	v_fma_f64 v[22:23], -v[36:37], v[28:29], v[22:23]
	s_waitcnt lgkmcnt(1)
	v_fma_f64 v[22:23], -v[30:31], v[72:73], v[22:23]
	v_fma_f64 v[22:23], -v[32:33], v[74:75], v[22:23]
	ds_read_b128 v[72:75], v70 offset:5376
	s_waitcnt lgkmcnt(1)
	v_fma_f64 v[22:23], -v[66:67], v[76:77], v[22:23]
	ds_read2_b64 v[26:29], v88 offset0:148 offset1:214
	v_fma_f64 v[22:23], -v[68:69], v[78:79], v[22:23]
	ds_read_b128 v[76:79], v70 offset:5392
	ds_read_b128 v[80:83], v70 offset:5408
	;; [unrolled: 1-line block ×3, first 2 shown]
	s_waitcnt lgkmcnt(4)
	v_fma_f64 v[24:25], -v[50:51], v[72:73], v[24:25]
	v_fma_f64 v[24:25], -v[52:53], v[74:75], v[24:25]
	s_waitcnt lgkmcnt(2)
	v_fma_f64 v[24:25], -v[54:55], v[76:77], v[24:25]
	v_fma_f64 v[24:25], -v[56:57], v[78:79], v[24:25]
	v_mul_f64 v[22:23], v[26:27], v[22:23]
	s_waitcnt lgkmcnt(1)
	v_fma_f64 v[72:73], -v[58:59], v[80:81], v[24:25]
	ds_read_b128 v[24:27], v70 offset:5440
	v_fma_f64 v[72:73], -v[60:61], v[82:83], v[72:73]
	s_waitcnt lgkmcnt(1)
	v_fma_f64 v[76:77], -v[62:63], v[84:85], v[72:73]
	ds_read_b128 v[72:75], v70 offset:5456
	v_fma_f64 v[76:77], -v[64:65], v[86:87], v[76:77]
	;; [unrolled: 4-line block ×7, first 2 shown]
	s_waitcnt lgkmcnt(1)
	v_fma_f64 v[72:73], -v[66:67], v[76:77], v[72:73]
	v_fma_f64 v[76:77], -v[68:69], v[78:79], v[72:73]
	ds_read_b128 v[72:75], v70 offset:5632
	s_waitcnt lgkmcnt(1)
	v_fma_f64 v[24:25], -v[22:23], v[24:25], v[76:77]
	ds_read_b128 v[76:79], v70 offset:5648
	ds_read_b128 v[80:83], v70 offset:5664
	v_mul_f64 v[24:25], v[26:27], v[24:25]
	s_waitcnt lgkmcnt(2)
	v_fma_f64 v[18:19], -v[50:51], v[72:73], v[18:19]
	v_fma_f64 v[18:19], -v[52:53], v[74:75], v[18:19]
	ds_read_b128 v[72:75], v70 offset:5680
	s_waitcnt lgkmcnt(2)
	v_fma_f64 v[18:19], -v[54:55], v[76:77], v[18:19]
	v_fma_f64 v[18:19], -v[56:57], v[78:79], v[18:19]
	ds_read_b128 v[76:79], v70 offset:5696
	;; [unrolled: 4-line block ×4, first 2 shown]
	s_waitcnt lgkmcnt(2)
	v_fma_f64 v[18:19], -v[46:47], v[76:77], v[18:19]
	v_fma_f64 v[18:19], -v[48:49], v[78:79], v[18:19]
	s_waitcnt lgkmcnt(1)
	v_fma_f64 v[18:19], -v[42:43], v[80:81], v[18:19]
	ds_read_b128 v[76:79], v70 offset:5744
	v_fma_f64 v[18:19], -v[44:45], v[82:83], v[18:19]
	s_waitcnt lgkmcnt(1)
	v_fma_f64 v[18:19], -v[38:39], v[72:73], v[18:19]
	v_fma_f64 v[18:19], -v[40:41], v[74:75], v[18:19]
	ds_read_b128 v[72:75], v70 offset:5760
	ds_read_b128 v[80:83], v70 offset:5776
	s_waitcnt lgkmcnt(2)
	v_fma_f64 v[18:19], -v[34:35], v[76:77], v[18:19]
	v_fma_f64 v[18:19], -v[36:37], v[78:79], v[18:19]
	ds_read_b128 v[76:79], v70 offset:5792
	s_waitcnt lgkmcnt(2)
	v_fma_f64 v[18:19], -v[30:31], v[72:73], v[18:19]
	v_fma_f64 v[18:19], -v[32:33], v[74:75], v[18:19]
	;; [unrolled: 4-line block ×3, first 2 shown]
	ds_write2_b64 v71, v[22:23], v[24:25] offset0:128 offset1:160
	s_waitcnt lgkmcnt(2)
	v_fma_f64 v[18:19], -v[22:23], v[76:77], v[18:19]
	v_fma_f64 v[18:19], -v[24:25], v[78:79], v[18:19]
	ds_read_b128 v[76:79], v70 offset:5904
	ds_read_b128 v[80:83], v70 offset:5920
	;; [unrolled: 1-line block ×3, first 2 shown]
	v_mul_f64 v[26:27], v[28:29], v[18:19]
	s_waitcnt lgkmcnt(4)
	v_fma_f64 v[18:19], -v[50:51], v[72:73], v[20:21]
	v_fma_f64 v[18:19], -v[52:53], v[74:75], v[18:19]
	s_waitcnt lgkmcnt(2)
	v_fma_f64 v[18:19], -v[54:55], v[76:77], v[18:19]
	v_fma_f64 v[18:19], -v[56:57], v[78:79], v[18:19]
	s_waitcnt lgkmcnt(1)
	v_fma_f64 v[28:29], -v[58:59], v[80:81], v[18:19]
	ds_read_b128 v[18:21], v70 offset:5952
	ds_read_b128 v[72:75], v70 offset:5968
	v_fma_f64 v[28:29], -v[60:61], v[82:83], v[28:29]
	s_waitcnt lgkmcnt(2)
	v_fma_f64 v[28:29], -v[62:63], v[84:85], v[28:29]
	v_fma_f64 v[28:29], -v[64:65], v[86:87], v[28:29]
	s_waitcnt lgkmcnt(1)
	v_fma_f64 v[18:19], -v[46:47], v[18:19], v[28:29]
	ds_read_b128 v[76:79], v70 offset:5984
	v_fma_f64 v[18:19], -v[48:49], v[20:21], v[18:19]
	s_waitcnt lgkmcnt(1)
	v_fma_f64 v[28:29], -v[42:43], v[72:73], v[18:19]
	ds_read_b128 v[18:21], v70 offset:6000
	;; [unrolled: 4-line block ×3, first 2 shown]
	v_fma_f64 v[28:29], -v[40:41], v[78:79], v[28:29]
	s_waitcnt lgkmcnt(1)
	v_fma_f64 v[18:19], -v[34:35], v[18:19], v[28:29]
	v_fma_f64 v[28:29], -v[36:37], v[20:21], v[18:19]
	ds_read_b128 v[18:21], v70 offset:6032
	ds_read_b128 v[76:79], v70 offset:6048
	s_waitcnt lgkmcnt(2)
	v_fma_f64 v[28:29], -v[30:31], v[72:73], v[28:29]
	v_fma_f64 v[28:29], -v[32:33], v[74:75], v[28:29]
	ds_read_b128 v[72:75], v70 offset:6064
	s_waitcnt lgkmcnt(2)
	v_fma_f64 v[18:19], -v[66:67], v[18:19], v[28:29]
	v_fma_f64 v[18:19], -v[68:69], v[20:21], v[18:19]
	s_waitcnt lgkmcnt(1)
	v_fma_f64 v[18:19], -v[22:23], v[76:77], v[18:19]
	v_fma_f64 v[18:19], -v[24:25], v[78:79], v[18:19]
	s_waitcnt lgkmcnt(0)
	v_fma_f64 v[18:19], -v[26:27], v[72:73], v[18:19]
	v_mul_f64 v[28:29], v[74:75], v[18:19]
	ds_read_b128 v[18:21], v70 offset:6144
	ds_write2_b64 v71, v[26:27], v[28:29] offset0:192 offset1:224
	ds_read_b128 v[72:75], v70 offset:6160
	ds_read_b128 v[76:79], v70 offset:6176
	;; [unrolled: 1-line block ×3, first 2 shown]
	v_add_u32_e64 v71, s12, 0
	s_mov_b32 s12, 32
	s_waitcnt lgkmcnt(4)
	v_fma_f64 v[14:15], -v[50:51], v[18:19], v[14:15]
	v_fma_f64 v[14:15], -v[52:53], v[20:21], v[14:15]
	s_waitcnt lgkmcnt(2)
	v_fma_f64 v[14:15], -v[54:55], v[72:73], v[14:15]
	v_fma_f64 v[14:15], -v[56:57], v[74:75], v[14:15]
	ds_read_b128 v[18:21], v70 offset:6208
	ds_read_b128 v[72:75], v70 offset:6224
	s_waitcnt lgkmcnt(3)
	v_fma_f64 v[14:15], -v[58:59], v[76:77], v[14:15]
	v_fma_f64 v[14:15], -v[60:61], v[78:79], v[14:15]
	s_waitcnt lgkmcnt(2)
	v_fma_f64 v[14:15], -v[62:63], v[80:81], v[14:15]
	v_fma_f64 v[14:15], -v[64:65], v[82:83], v[14:15]
	ds_read_b128 v[76:79], v70 offset:6240
	s_waitcnt lgkmcnt(2)
	v_fma_f64 v[14:15], -v[46:47], v[18:19], v[14:15]
	v_fma_f64 v[14:15], -v[48:49], v[20:21], v[14:15]
	ds_read_b128 v[18:21], v70 offset:6256
	;; [unrolled: 4-line block ×6, first 2 shown]
	s_waitcnt lgkmcnt(2)
	v_fma_f64 v[14:15], -v[66:67], v[76:77], v[14:15]
	v_fma_f64 v[14:15], -v[68:69], v[78:79], v[14:15]
	s_waitcnt lgkmcnt(1)
	v_fma_f64 v[14:15], -v[22:23], v[80:81], v[14:15]
	v_fma_f64 v[14:15], -v[24:25], v[82:83], v[14:15]
	;; [unrolled: 3-line block ×3, first 2 shown]
	ds_read_b128 v[72:75], v70 offset:6400
	ds_read2_b64 v[18:21], v71 offset0:24 offset1:90
	ds_read_b128 v[76:79], v70 offset:6416
	ds_read_b128 v[80:83], v70 offset:6432
	;; [unrolled: 1-line block ×3, first 2 shown]
	s_waitcnt lgkmcnt(4)
	v_fma_f64 v[16:17], -v[50:51], v[72:73], v[16:17]
	v_fma_f64 v[16:17], -v[52:53], v[74:75], v[16:17]
	s_waitcnt lgkmcnt(2)
	v_fma_f64 v[16:17], -v[54:55], v[76:77], v[16:17]
	v_fma_f64 v[16:17], -v[56:57], v[78:79], v[16:17]
	v_mul_f64 v[14:15], v[18:19], v[14:15]
	s_waitcnt lgkmcnt(1)
	v_fma_f64 v[72:73], -v[58:59], v[80:81], v[16:17]
	ds_read_b128 v[16:19], v70 offset:6464
	v_fma_f64 v[72:73], -v[60:61], v[82:83], v[72:73]
	s_waitcnt lgkmcnt(1)
	v_fma_f64 v[76:77], -v[62:63], v[84:85], v[72:73]
	ds_read_b128 v[72:75], v70 offset:6480
	v_fma_f64 v[76:77], -v[64:65], v[86:87], v[76:77]
	;; [unrolled: 4-line block ×9, first 2 shown]
	s_waitcnt lgkmcnt(1)
	v_fma_f64 v[16:17], -v[26:27], v[72:73], v[16:17]
	v_fma_f64 v[16:17], -v[28:29], v[74:75], v[16:17]
	ds_read_b128 v[72:75], v70 offset:6656
	s_waitcnt lgkmcnt(1)
	v_fma_f64 v[16:17], -v[14:15], v[76:77], v[16:17]
	v_mul_f64 v[16:17], v[78:79], v[16:17]
	ds_read_b128 v[76:79], v70 offset:6672
	ds_read_b128 v[80:83], v70 offset:6688
	s_waitcnt lgkmcnt(2)
	v_fma_f64 v[10:11], -v[50:51], v[72:73], v[10:11]
	v_fma_f64 v[10:11], -v[52:53], v[74:75], v[10:11]
	ds_read_b128 v[72:75], v70 offset:6704
	s_waitcnt lgkmcnt(2)
	v_fma_f64 v[10:11], -v[54:55], v[76:77], v[10:11]
	v_fma_f64 v[10:11], -v[56:57], v[78:79], v[10:11]
	;; [unrolled: 4-line block ×11, first 2 shown]
	s_waitcnt lgkmcnt(1)
	v_fma_f64 v[10:11], -v[26:27], v[80:81], v[10:11]
	v_fma_f64 v[10:11], -v[28:29], v[82:83], v[10:11]
	s_waitcnt lgkmcnt(0)
	v_fma_f64 v[10:11], -v[14:15], v[72:73], v[10:11]
	v_fma_f64 v[10:11], -v[16:17], v[74:75], v[10:11]
	ds_read_b128 v[72:75], v70 offset:6912
	ds_write2_b64 v1, v[14:15], v[16:17] offset1:32
	ds_read_b128 v[76:79], v70 offset:6928
	ds_read_b128 v[80:83], v70 offset:6944
	;; [unrolled: 1-line block ×3, first 2 shown]
	v_mul_f64 v[18:19], v[20:21], v[10:11]
	s_waitcnt lgkmcnt(4)
	v_fma_f64 v[10:11], -v[50:51], v[72:73], v[12:13]
	v_fma_f64 v[10:11], -v[52:53], v[74:75], v[10:11]
	s_waitcnt lgkmcnt(2)
	v_fma_f64 v[10:11], -v[54:55], v[76:77], v[10:11]
	v_fma_f64 v[10:11], -v[56:57], v[78:79], v[10:11]
	s_waitcnt lgkmcnt(1)
	v_fma_f64 v[20:21], -v[58:59], v[80:81], v[10:11]
	ds_read_b128 v[10:13], v70 offset:6976
	ds_read_b128 v[72:75], v70 offset:6992
	v_fma_f64 v[20:21], -v[60:61], v[82:83], v[20:21]
	s_waitcnt lgkmcnt(2)
	v_fma_f64 v[20:21], -v[62:63], v[84:85], v[20:21]
	v_fma_f64 v[20:21], -v[64:65], v[86:87], v[20:21]
	s_waitcnt lgkmcnt(1)
	v_fma_f64 v[10:11], -v[46:47], v[10:11], v[20:21]
	ds_read_b128 v[76:79], v70 offset:7008
	v_fma_f64 v[10:11], -v[48:49], v[12:13], v[10:11]
	s_waitcnt lgkmcnt(1)
	v_fma_f64 v[20:21], -v[42:43], v[72:73], v[10:11]
	ds_read_b128 v[10:13], v70 offset:7024
	v_fma_f64 v[20:21], -v[44:45], v[74:75], v[20:21]
	ds_read_b128 v[72:75], v70 offset:7040
	s_waitcnt lgkmcnt(2)
	v_fma_f64 v[20:21], -v[38:39], v[76:77], v[20:21]
	v_fma_f64 v[20:21], -v[40:41], v[78:79], v[20:21]
	ds_read_b128 v[76:79], v70 offset:7056
	s_waitcnt lgkmcnt(2)
	v_fma_f64 v[10:11], -v[34:35], v[10:11], v[20:21]
	v_fma_f64 v[10:11], -v[36:37], v[12:13], v[10:11]
	s_waitcnt lgkmcnt(1)
	v_fma_f64 v[20:21], -v[30:31], v[72:73], v[10:11]
	ds_read_b128 v[10:13], v70 offset:7072
	v_fma_f64 v[20:21], -v[32:33], v[74:75], v[20:21]
	ds_read_b128 v[72:75], v70 offset:7088
	s_waitcnt lgkmcnt(2)
	v_fma_f64 v[20:21], -v[66:67], v[76:77], v[20:21]
	v_fma_f64 v[20:21], -v[68:69], v[78:79], v[20:21]
	ds_read_b128 v[76:79], v70 offset:7104
	s_waitcnt lgkmcnt(2)
	v_fma_f64 v[10:11], -v[22:23], v[10:11], v[20:21]
	;; [unrolled: 4-line block ×3, first 2 shown]
	v_fma_f64 v[20:21], -v[28:29], v[74:75], v[20:21]
	s_waitcnt lgkmcnt(1)
	v_fma_f64 v[20:21], -v[14:15], v[76:77], v[20:21]
	v_fma_f64 v[20:21], -v[16:17], v[78:79], v[20:21]
	s_waitcnt lgkmcnt(0)
	v_fma_f64 v[10:11], -v[18:19], v[10:11], v[20:21]
	v_mul_f64 v[20:21], v[12:13], v[10:11]
	ds_read_b128 v[10:13], v70 offset:7168
	ds_write2_b64 v1, v[18:19], v[20:21] offset0:64 offset1:96
	ds_read_b128 v[72:75], v70 offset:7184
	ds_read_b128 v[76:79], v70 offset:7200
	;; [unrolled: 1-line block ×3, first 2 shown]
	s_waitcnt lgkmcnt(4)
	v_fma_f64 v[6:7], -v[50:51], v[10:11], v[6:7]
	v_fma_f64 v[6:7], -v[52:53], v[12:13], v[6:7]
	s_waitcnt lgkmcnt(2)
	v_fma_f64 v[6:7], -v[54:55], v[72:73], v[6:7]
	v_fma_f64 v[6:7], -v[56:57], v[74:75], v[6:7]
	ds_read_b128 v[10:13], v70 offset:7232
	ds_read_b128 v[72:75], v70 offset:7248
	s_waitcnt lgkmcnt(3)
	v_fma_f64 v[6:7], -v[58:59], v[76:77], v[6:7]
	v_fma_f64 v[6:7], -v[60:61], v[78:79], v[6:7]
	s_waitcnt lgkmcnt(2)
	v_fma_f64 v[6:7], -v[62:63], v[80:81], v[6:7]
	v_fma_f64 v[6:7], -v[64:65], v[82:83], v[6:7]
	ds_read_b128 v[76:79], v70 offset:7264
	s_waitcnt lgkmcnt(2)
	v_fma_f64 v[6:7], -v[46:47], v[10:11], v[6:7]
	v_fma_f64 v[6:7], -v[48:49], v[12:13], v[6:7]
	ds_read_b128 v[10:13], v70 offset:7280
	;; [unrolled: 4-line block ×7, first 2 shown]
	ds_read_b128 v[80:83], v70 offset:7376
	s_waitcnt lgkmcnt(3)
	v_fma_f64 v[6:7], -v[22:23], v[10:11], v[6:7]
	v_fma_f64 v[6:7], -v[24:25], v[12:13], v[6:7]
	s_waitcnt lgkmcnt(2)
	v_fma_f64 v[6:7], -v[26:27], v[72:73], v[6:7]
	v_fma_f64 v[6:7], -v[28:29], v[74:75], v[6:7]
	ds_read_b128 v[72:75], v70 offset:7424
	s_waitcnt lgkmcnt(2)
	v_fma_f64 v[6:7], -v[14:15], v[76:77], v[6:7]
	v_fma_f64 v[6:7], -v[16:17], v[78:79], v[6:7]
	s_waitcnt lgkmcnt(1)
	v_fma_f64 v[6:7], -v[18:19], v[80:81], v[6:7]
	ds_read2_b64 v[10:13], v71 offset0:156 offset1:222
	v_fma_f64 v[6:7], -v[20:21], v[82:83], v[6:7]
	ds_read_b128 v[76:79], v70 offset:7440
	ds_read_b128 v[80:83], v70 offset:7456
	;; [unrolled: 1-line block ×3, first 2 shown]
	s_waitcnt lgkmcnt(4)
	v_fma_f64 v[8:9], -v[50:51], v[72:73], v[8:9]
	v_fma_f64 v[8:9], -v[52:53], v[74:75], v[8:9]
	s_waitcnt lgkmcnt(2)
	v_fma_f64 v[8:9], -v[54:55], v[76:77], v[8:9]
	v_fma_f64 v[8:9], -v[56:57], v[78:79], v[8:9]
	v_mul_f64 v[6:7], v[10:11], v[6:7]
	s_waitcnt lgkmcnt(1)
	v_fma_f64 v[72:73], -v[58:59], v[80:81], v[8:9]
	ds_read_b128 v[8:11], v70 offset:7488
	v_fma_f64 v[72:73], -v[60:61], v[82:83], v[72:73]
	s_waitcnt lgkmcnt(1)
	v_fma_f64 v[76:77], -v[62:63], v[84:85], v[72:73]
	ds_read_b128 v[72:75], v70 offset:7504
	v_fma_f64 v[76:77], -v[64:65], v[86:87], v[76:77]
	;; [unrolled: 4-line block ×12, first 2 shown]
	s_waitcnt lgkmcnt(1)
	v_fma_f64 v[8:9], -v[6:7], v[72:73], v[8:9]
	v_mul_f64 v[8:9], v[74:75], v[8:9]
	ds_read_b128 v[72:75], v70 offset:7696
	ds_read_b128 v[80:83], v70 offset:7712
	s_waitcnt lgkmcnt(2)
	v_fma_f64 v[2:3], -v[50:51], v[76:77], v[2:3]
	v_fma_f64 v[2:3], -v[52:53], v[78:79], v[2:3]
	ds_read_b128 v[76:79], v70 offset:7728
	s_waitcnt lgkmcnt(2)
	v_fma_f64 v[2:3], -v[54:55], v[72:73], v[2:3]
	v_fma_f64 v[2:3], -v[56:57], v[74:75], v[2:3]
	;; [unrolled: 4-line block ×9, first 2 shown]
	s_waitcnt lgkmcnt(1)
	v_fma_f64 v[2:3], -v[66:67], v[76:77], v[2:3]
	ds_read_b128 v[80:83], v70 offset:7856
	v_fma_f64 v[2:3], -v[68:69], v[78:79], v[2:3]
	s_waitcnt lgkmcnt(1)
	v_fma_f64 v[2:3], -v[22:23], v[72:73], v[2:3]
	v_fma_f64 v[2:3], -v[24:25], v[74:75], v[2:3]
	ds_read_b128 v[72:75], v70 offset:7872
	ds_read_b128 v[76:79], v70 offset:7888
	s_waitcnt lgkmcnt(2)
	v_fma_f64 v[2:3], -v[26:27], v[80:81], v[2:3]
	v_fma_f64 v[2:3], -v[28:29], v[82:83], v[2:3]
	ds_read_b128 v[80:83], v70 offset:7904
	s_waitcnt lgkmcnt(2)
	v_fma_f64 v[2:3], -v[14:15], v[72:73], v[2:3]
	v_fma_f64 v[2:3], -v[16:17], v[74:75], v[2:3]
	s_waitcnt lgkmcnt(1)
	v_fma_f64 v[2:3], -v[18:19], v[76:77], v[2:3]
	ds_read_b128 v[72:75], v70 offset:7936
	v_fma_f64 v[2:3], -v[20:21], v[78:79], v[2:3]
	s_waitcnt lgkmcnt(1)
	v_fma_f64 v[2:3], -v[6:7], v[80:81], v[2:3]
	ds_write2_b64 v1, v[6:7], v[8:9] offset0:128 offset1:160
	v_fma_f64 v[2:3], -v[8:9], v[82:83], v[2:3]
	v_mul_f64 v[84:85], v[12:13], v[2:3]
	ds_read_b128 v[10:13], v70 offset:7952
	ds_read_b128 v[76:79], v70 offset:7968
	;; [unrolled: 1-line block ×3, first 2 shown]
	s_waitcnt lgkmcnt(4)
	v_fma_f64 v[2:3], -v[50:51], v[72:73], v[4:5]
	v_fma_f64 v[2:3], -v[52:53], v[74:75], v[2:3]
	s_waitcnt lgkmcnt(2)
	v_fma_f64 v[2:3], -v[54:55], v[10:11], v[2:3]
	v_fma_f64 v[2:3], -v[56:57], v[12:13], v[2:3]
	s_waitcnt lgkmcnt(1)
	v_fma_f64 v[10:11], -v[58:59], v[76:77], v[2:3]
	ds_read_b128 v[2:5], v70 offset:8000
	v_fma_f64 v[10:11], -v[60:61], v[78:79], v[10:11]
	s_waitcnt lgkmcnt(1)
	v_fma_f64 v[50:51], -v[62:63], v[80:81], v[10:11]
	ds_read_b128 v[10:13], v70 offset:8016
	;; [unrolled: 4-line block ×9, first 2 shown]
	v_fma_f64 v[2:3], -v[24:25], v[4:5], v[2:3]
	s_waitcnt lgkmcnt(1)
	v_fma_f64 v[2:3], -v[26:27], v[10:11], v[2:3]
	v_fma_f64 v[10:11], -v[28:29], v[12:13], v[2:3]
	ds_read_b128 v[2:5], v70 offset:8144
	s_waitcnt lgkmcnt(1)
	v_fma_f64 v[14:15], -v[14:15], v[30:31], v[10:11]
	ds_read_b128 v[10:13], v70 offset:8160
	v_fma_f64 v[22:23], -v[16:17], v[32:33], v[14:15]
	ds_read_b128 v[14:17], v70 offset:8176
	s_waitcnt lgkmcnt(2)
	v_fma_f64 v[2:3], -v[18:19], v[2:3], v[22:23]
	v_fma_f64 v[2:3], -v[20:21], v[4:5], v[2:3]
	s_waitcnt lgkmcnt(1)
	v_fma_f64 v[2:3], -v[6:7], v[10:11], v[2:3]
	v_fma_f64 v[2:3], -v[8:9], v[12:13], v[2:3]
	s_waitcnt lgkmcnt(0)
	v_fma_f64 v[2:3], -v[84:85], v[14:15], v[2:3]
	v_mul_f64 v[2:3], v[16:17], v[2:3]
	ds_write2_b64 v1, v[84:85], v[2:3] offset0:192 offset1:224
.LBB102_20:
	s_cmp_lt_i32 s12, s30
	s_cbranch_scc0 .LBB102_37
; %bb.21:
	s_or_b32 s13, s12, 27
	s_cmp_ge_u32 s13, s30
	s_cbranch_scc1 .LBB102_26
; %bb.22:
	v_lshlrev_b32_e32 v1, 3, v0
	v_lshl_or_b32 v54, s12, 8, v1
	v_add_u32_e32 v58, 0x2000, v54
	v_add_u32_e32 v1, 0x2800, v54
	ds_read2_b64 v[50:53], v58 offset1:32
	ds_read2_b64 v[46:49], v58 offset0:64 offset1:96
	ds_read2_b64 v[42:45], v58 offset0:128 offset1:160
	ds_read2_b64 v[38:41], v58 offset0:192 offset1:224
	ds_read2_b64 v[34:37], v1 offset1:32
	ds_read2_b64 v[30:33], v1 offset0:64 offset1:96
	ds_read2_b64 v[26:29], v1 offset0:128 offset1:160
	;; [unrolled: 1-line block ×3, first 2 shown]
	v_add_u32_e32 v1, 0x3000, v54
	ds_read2_b64 v[18:21], v1 offset1:32
	ds_read2_b64 v[14:17], v1 offset0:64 offset1:96
	ds_read2_b64 v[10:13], v1 offset0:128 offset1:160
	;; [unrolled: 1-line block ×3, first 2 shown]
	v_add_u32_e32 v1, 0x3800, v54
	s_lshl_b32 s13, s13, 5
	ds_read2_b64 v[2:5], v1 offset1:32
	v_or_b32_e32 v1, s13, v0
	v_lshlrev_b32_e32 v1, 3, v1
	ds_read_b64 v[56:57], v54 offset:14848
	ds_read_b64 v[54:55], v1 offset:8192
	s_andn2_b64 vcc, exec, s[8:9]
	s_cbranch_vccnz .LBB102_25
; %bb.23:
	v_mov_b32_e32 v59, 0x2000
	s_lshl_b32 s8, s12, 8
	v_lshl_or_b32 v59, v0, 3, v59
	s_mov_b32 s9, 0
.LBB102_24:                             ; =>This Inner Loop Header: Depth=1
	v_mov_b32_e32 v76, s8
	v_add_u32_e32 v88, 0x800, v76
	v_add_u32_e32 v104, 0x1000, v76
	v_add_u32_e32 v112, 0x1800, v76
	ds_read_b64 v[116:117], v59
	ds_read2_b64 v[60:63], v76 offset1:32
	ds_read2_b64 v[64:67], v76 offset0:64 offset1:96
	ds_read2_b64 v[68:71], v76 offset0:128 offset1:160
	ds_read2_b64 v[72:75], v76 offset0:192 offset1:224
	ds_read2_b64 v[76:79], v88 offset1:32
	ds_read2_b64 v[80:83], v88 offset0:64 offset1:96
	ds_read2_b64 v[84:87], v88 offset0:128 offset1:160
	ds_read2_b64 v[88:91], v88 offset0:192 offset1:224
	;; [unrolled: 4-line block ×3, first 2 shown]
	ds_read2_b64 v[108:111], v112 offset1:32
	ds_read2_b64 v[112:115], v112 offset0:64 offset1:96
	s_add_i32 s9, s9, 1
	s_add_i32 s8, s8, 8
	v_add_u32_e32 v59, 0x100, v59
	s_cmp_lt_u32 s9, s12
	s_waitcnt lgkmcnt(13)
	v_fma_f64 v[50:51], -v[116:117], v[60:61], v[50:51]
	v_fma_f64 v[52:53], -v[116:117], v[62:63], v[52:53]
	s_waitcnt lgkmcnt(12)
	v_fma_f64 v[46:47], -v[116:117], v[64:65], v[46:47]
	v_fma_f64 v[48:49], -v[116:117], v[66:67], v[48:49]
	;; [unrolled: 3-line block ×14, first 2 shown]
	s_cbranch_scc1 .LBB102_24
.LBB102_25:
	s_mul_i32 s8, s12, 0x108
	v_mov_b32_e32 v78, s8
	ds_read2_b64 v[60:63], v78 offset1:66
	s_lshl_b32 s9, s12, 5
	s_or_b32 s16, s9, 32
	s_add_i32 s17, s16, s12
	s_lshl_b32 s17, s17, 3
	s_waitcnt lgkmcnt(0)
	v_mul_f64 v[50:51], v[60:61], v[50:51]
	ds_write_b64 v58, v[50:51]
	v_mov_b32_e32 v58, s17
	s_or_b32 s17, s9, 64
	s_or_b32 s18, s17, s12
	s_lshl_b32 s18, s18, 3
	ds_read_b128 v[58:61], v58
	v_mov_b32_e32 v64, s18
	ds_read_b128 v[64:67], v64
	s_add_i32 s13, s13, s12
	s_or_b32 s8, s12, 28
	s_waitcnt lgkmcnt(1)
	v_fma_f64 v[52:53], -v[50:51], v[58:59], v[52:53]
	v_or_b32_e32 v58, s16, v0
	s_or_b32 s16, s9, 0x60
	v_mul_f64 v[52:53], v[60:61], v[52:53]
	s_waitcnt lgkmcnt(0)
	v_fma_f64 v[46:47], -v[50:51], v[64:65], v[46:47]
	s_add_i32 s18, s16, s12
	v_fma_f64 v[46:47], -v[52:53], v[66:67], v[46:47]
	s_lshl_b32 s18, s18, 3
	v_lshlrev_b32_e32 v58, 3, v58
	v_mul_f64 v[46:47], v[62:63], v[46:47]
	v_mov_b32_e32 v62, s18
	ds_write_b64 v58, v[52:53] offset:8192
	ds_read_b128 v[58:61], v62
	ds_read_b128 v[62:65], v62 offset:16
	v_or_b32_e32 v66, s17, v0
	v_lshlrev_b32_e32 v66, 3, v66
	ds_write_b64 v66, v[46:47] offset:8192
	s_waitcnt lgkmcnt(2)
	v_fma_f64 v[48:49], -v[50:51], v[58:59], v[48:49]
	v_fma_f64 v[48:49], -v[52:53], v[60:61], v[48:49]
	s_waitcnt lgkmcnt(1)
	v_fma_f64 v[48:49], -v[46:47], v[62:63], v[48:49]
	v_or_b32_e32 v62, s16, v0
	s_or_b32 s16, s9, 0x80
	s_or_b32 s17, s16, s12
	s_lshl_b32 s17, s17, 3
	v_mov_b32_e32 v63, s17
	ds_read_b128 v[58:61], v63
	v_mul_f64 v[48:49], v[64:65], v[48:49]
	v_lshlrev_b32_e32 v66, 3, v62
	ds_read_b128 v[62:65], v63 offset:16
	ds_write_b64 v66, v[48:49] offset:8192
	ds_read2_b64 v[66:69], v78 offset0:132 offset1:198
	s_waitcnt lgkmcnt(3)
	v_fma_f64 v[42:43], -v[50:51], v[58:59], v[42:43]
	v_fma_f64 v[42:43], -v[52:53], v[60:61], v[42:43]
	s_or_b32 s17, s9, 0xa0
	s_waitcnt lgkmcnt(2)
	v_fma_f64 v[42:43], -v[46:47], v[62:63], v[42:43]
	s_add_i32 s18, s17, s12
	v_fma_f64 v[42:43], -v[48:49], v[64:65], v[42:43]
	s_lshl_b32 s18, s18, 3
	s_waitcnt lgkmcnt(0)
	v_mul_f64 v[42:43], v[66:67], v[42:43]
	v_mov_b32_e32 v66, s18
	ds_read_b128 v[58:61], v66
	ds_read_b128 v[62:65], v66 offset:16
	v_or_b32_e32 v67, s16, v0
	s_or_b32 s16, s9, 0xc0
	s_or_b32 s18, s16, s12
	s_waitcnt lgkmcnt(1)
	v_fma_f64 v[44:45], -v[50:51], v[58:59], v[44:45]
	v_fma_f64 v[44:45], -v[52:53], v[60:61], v[44:45]
	ds_read_b128 v[58:61], v66 offset:32
	s_lshl_b32 s18, s18, 3
	s_waitcnt lgkmcnt(1)
	v_fma_f64 v[44:45], -v[46:47], v[62:63], v[44:45]
	v_mov_b32_e32 v66, s18
	v_fma_f64 v[44:45], -v[48:49], v[64:65], v[44:45]
	ds_read_b128 v[62:65], v66
	v_lshlrev_b32_e32 v67, 3, v67
	s_waitcnt lgkmcnt(1)
	v_fma_f64 v[44:45], -v[42:43], v[58:59], v[44:45]
	v_or_b32_e32 v58, s17, v0
	ds_write_b64 v67, v[42:43] offset:8192
	v_mul_f64 v[44:45], v[60:61], v[44:45]
	v_lshlrev_b32_e32 v67, 3, v58
	ds_read_b128 v[58:61], v66 offset:16
	ds_read_b128 v[70:73], v66 offset:32
	s_waitcnt lgkmcnt(3)
	v_fma_f64 v[38:39], -v[50:51], v[62:63], v[38:39]
	v_fma_f64 v[38:39], -v[52:53], v[64:65], v[38:39]
	ds_write_b64 v67, v[44:45] offset:8192
	s_waitcnt lgkmcnt(2)
	v_fma_f64 v[38:39], -v[46:47], v[58:59], v[38:39]
	v_or_b32_e32 v58, s16, v0
	s_or_b32 s16, s9, 0xe0
	s_add_i32 s17, s16, s12
	v_fma_f64 v[38:39], -v[48:49], v[60:61], v[38:39]
	s_lshl_b32 s17, s17, 3
	s_waitcnt lgkmcnt(1)
	v_fma_f64 v[38:39], -v[42:43], v[70:71], v[38:39]
	v_mov_b32_e32 v70, s17
	v_lshlrev_b32_e32 v62, 3, v58
	ds_read_b128 v[58:61], v70
	v_fma_f64 v[38:39], -v[44:45], v[72:73], v[38:39]
	v_mul_f64 v[38:39], v[68:69], v[38:39]
	ds_write_b64 v62, v[38:39] offset:8192
	ds_read_b128 v[62:65], v70 offset:16
	ds_read_b128 v[66:69], v70 offset:32
	ds_read_b64 v[70:71], v70 offset:48
	s_waitcnt lgkmcnt(4)
	v_fma_f64 v[40:41], -v[50:51], v[58:59], v[40:41]
	v_fma_f64 v[40:41], -v[52:53], v[60:61], v[40:41]
	v_add_u32_e32 v58, 0x400, v78
	s_waitcnt lgkmcnt(2)
	v_fma_f64 v[40:41], -v[46:47], v[62:63], v[40:41]
	ds_read2_b64 v[58:61], v58 offset0:103 offset1:136
	v_fma_f64 v[40:41], -v[48:49], v[64:65], v[40:41]
	s_waitcnt lgkmcnt(2)
	v_fma_f64 v[40:41], -v[42:43], v[66:67], v[40:41]
	v_fma_f64 v[40:41], -v[44:45], v[68:69], v[40:41]
	s_waitcnt lgkmcnt(1)
	v_fma_f64 v[40:41], -v[38:39], v[70:71], v[40:41]
	s_waitcnt lgkmcnt(0)
	v_mul_f64 v[40:41], v[58:59], v[40:41]
	v_or_b32_e32 v58, s16, v0
	s_or_b32 s16, s9, 0x100
	s_or_b32 s17, s16, s12
	s_lshl_b32 s17, s17, 3
	v_mov_b32_e32 v59, s17
	ds_read_b128 v[62:65], v59
	v_lshlrev_b32_e32 v58, 3, v58
	ds_write_b64 v58, v[40:41] offset:8192
	ds_read_b128 v[66:69], v59 offset:16
	ds_read_b128 v[70:73], v59 offset:32
	;; [unrolled: 1-line block ×3, first 2 shown]
	v_or_b32_e32 v58, s16, v0
	s_waitcnt lgkmcnt(4)
	v_fma_f64 v[34:35], -v[50:51], v[62:63], v[34:35]
	v_fma_f64 v[34:35], -v[52:53], v[64:65], v[34:35]
	s_waitcnt lgkmcnt(2)
	v_fma_f64 v[34:35], -v[46:47], v[66:67], v[34:35]
	v_fma_f64 v[34:35], -v[48:49], v[68:69], v[34:35]
	s_waitcnt lgkmcnt(1)
	v_fma_f64 v[34:35], -v[42:43], v[70:71], v[34:35]
	s_or_b32 s16, s9, 0x120
	v_fma_f64 v[34:35], -v[44:45], v[72:73], v[34:35]
	s_add_i32 s17, s16, s12
	s_waitcnt lgkmcnt(0)
	v_fma_f64 v[34:35], -v[38:39], v[74:75], v[34:35]
	s_lshl_b32 s17, s17, 3
	v_fma_f64 v[34:35], -v[40:41], v[76:77], v[34:35]
	v_mov_b32_e32 v74, s17
	v_mul_f64 v[34:35], v[60:61], v[34:35]
	v_lshlrev_b32_e32 v62, 3, v58
	ds_read_b128 v[58:61], v74
	ds_write_b64 v62, v[34:35] offset:8192
	ds_read_b128 v[62:65], v74 offset:16
	ds_read_b128 v[66:69], v74 offset:32
	;; [unrolled: 1-line block ×3, first 2 shown]
	s_or_b32 s17, s9, 0x140
	s_or_b32 s18, s17, s12
	s_waitcnt lgkmcnt(4)
	v_fma_f64 v[36:37], -v[50:51], v[58:59], v[36:37]
	v_fma_f64 v[36:37], -v[52:53], v[60:61], v[36:37]
	s_waitcnt lgkmcnt(2)
	v_fma_f64 v[36:37], -v[46:47], v[62:63], v[36:37]
	v_fma_f64 v[36:37], -v[48:49], v[64:65], v[36:37]
	s_waitcnt lgkmcnt(1)
	v_fma_f64 v[36:37], -v[42:43], v[66:67], v[36:37]
	ds_read_b64 v[66:67], v74 offset:64
	s_lshl_b32 s18, s18, 3
	v_fma_f64 v[36:37], -v[44:45], v[68:69], v[36:37]
	v_mov_b32_e32 v74, s18
	s_waitcnt lgkmcnt(1)
	v_fma_f64 v[36:37], -v[38:39], v[70:71], v[36:37]
	ds_read_b128 v[62:65], v74
	v_fma_f64 v[36:37], -v[40:41], v[72:73], v[36:37]
	s_waitcnt lgkmcnt(1)
	v_fma_f64 v[36:37], -v[34:35], v[66:67], v[36:37]
	ds_read_b128 v[66:69], v74 offset:16
	v_add_u32_e32 v78, 0x800, v78
	ds_read_b128 v[70:73], v74 offset:32
	ds_read2_b64 v[58:61], v78 offset0:41 offset1:74
	s_waitcnt lgkmcnt(3)
	v_fma_f64 v[30:31], -v[50:51], v[62:63], v[30:31]
	v_fma_f64 v[30:31], -v[52:53], v[64:65], v[30:31]
	ds_read_b128 v[62:65], v74 offset:48
	s_waitcnt lgkmcnt(3)
	v_fma_f64 v[30:31], -v[46:47], v[66:67], v[30:31]
	v_fma_f64 v[30:31], -v[48:49], v[68:69], v[30:31]
	ds_read_b128 v[66:69], v74 offset:64
	s_waitcnt lgkmcnt(3)
	v_fma_f64 v[30:31], -v[42:43], v[70:71], v[30:31]
	s_waitcnt lgkmcnt(2)
	v_mul_f64 v[36:37], v[58:59], v[36:37]
	v_or_b32_e32 v58, s16, v0
	v_fma_f64 v[30:31], -v[44:45], v[72:73], v[30:31]
	v_lshlrev_b32_e32 v58, 3, v58
	s_waitcnt lgkmcnt(1)
	v_fma_f64 v[30:31], -v[38:39], v[62:63], v[30:31]
	s_or_b32 s16, s9, 0x160
	ds_write_b64 v58, v[36:37] offset:8192
	v_fma_f64 v[30:31], -v[40:41], v[64:65], v[30:31]
	v_or_b32_e32 v58, s17, v0
	s_add_i32 s17, s16, s12
	s_waitcnt lgkmcnt(1)
	v_fma_f64 v[30:31], -v[34:35], v[66:67], v[30:31]
	s_lshl_b32 s17, s17, 3
	v_fma_f64 v[30:31], -v[36:37], v[68:69], v[30:31]
	v_mov_b32_e32 v74, s17
	v_mul_f64 v[30:31], v[60:61], v[30:31]
	v_lshlrev_b32_e32 v62, 3, v58
	ds_read_b128 v[58:61], v74
	ds_write_b64 v62, v[30:31] offset:8192
	ds_read_b128 v[62:65], v74 offset:16
	ds_read_b128 v[66:69], v74 offset:32
	;; [unrolled: 1-line block ×3, first 2 shown]
	v_add_u32_e32 v1, 0x2000, v1
	s_waitcnt lgkmcnt(4)
	v_fma_f64 v[32:33], -v[50:51], v[58:59], v[32:33]
	v_fma_f64 v[32:33], -v[52:53], v[60:61], v[32:33]
	s_waitcnt lgkmcnt(2)
	v_fma_f64 v[32:33], -v[46:47], v[62:63], v[32:33]
	v_fma_f64 v[32:33], -v[48:49], v[64:65], v[32:33]
	ds_read_b128 v[58:61], v74 offset:64
	s_waitcnt lgkmcnt(2)
	v_fma_f64 v[32:33], -v[42:43], v[66:67], v[32:33]
	v_fma_f64 v[32:33], -v[44:45], v[68:69], v[32:33]
	s_waitcnt lgkmcnt(1)
	v_fma_f64 v[32:33], -v[38:39], v[70:71], v[32:33]
	ds_read_b64 v[66:67], v74 offset:80
	ds_read2_b64 v[62:65], v78 offset0:107 offset1:140
	v_fma_f64 v[32:33], -v[40:41], v[72:73], v[32:33]
	s_waitcnt lgkmcnt(2)
	v_fma_f64 v[32:33], -v[34:35], v[58:59], v[32:33]
	v_or_b32_e32 v58, s16, v0
	s_or_b32 s16, s9, 0x180
	v_fma_f64 v[32:33], -v[36:37], v[60:61], v[32:33]
	s_or_b32 s17, s16, s12
	s_waitcnt lgkmcnt(1)
	v_fma_f64 v[32:33], -v[30:31], v[66:67], v[32:33]
	s_lshl_b32 s17, s17, 3
	s_waitcnt lgkmcnt(0)
	v_mul_f64 v[32:33], v[62:63], v[32:33]
	v_mov_b32_e32 v63, s17
	v_lshlrev_b32_e32 v62, 3, v58
	ds_read_b128 v[58:61], v63
	ds_write_b64 v62, v[32:33] offset:8192
	ds_read_b128 v[66:69], v63 offset:16
	ds_read_b128 v[70:73], v63 offset:32
	ds_read_b128 v[74:77], v63 offset:48
	s_waitcnt lgkmcnt(4)
	v_fma_f64 v[26:27], -v[50:51], v[58:59], v[26:27]
	v_fma_f64 v[26:27], -v[52:53], v[60:61], v[26:27]
	s_waitcnt lgkmcnt(2)
	v_fma_f64 v[26:27], -v[46:47], v[66:67], v[26:27]
	v_fma_f64 v[26:27], -v[48:49], v[68:69], v[26:27]
	ds_read_b128 v[58:61], v63 offset:64
	ds_read_b128 v[66:69], v63 offset:80
	s_waitcnt lgkmcnt(3)
	v_fma_f64 v[26:27], -v[42:43], v[70:71], v[26:27]
	v_fma_f64 v[26:27], -v[44:45], v[72:73], v[26:27]
	s_waitcnt lgkmcnt(2)
	v_fma_f64 v[26:27], -v[38:39], v[74:75], v[26:27]
	v_fma_f64 v[26:27], -v[40:41], v[76:77], v[26:27]
	s_waitcnt lgkmcnt(1)
	v_fma_f64 v[26:27], -v[34:35], v[58:59], v[26:27]
	v_or_b32_e32 v58, s16, v0
	s_or_b32 s16, s9, 0x1a0
	s_add_i32 s17, s16, s12
	s_lshl_b32 s17, s17, 3
	v_fma_f64 v[26:27], -v[36:37], v[60:61], v[26:27]
	v_mov_b32_e32 v74, s17
	s_waitcnt lgkmcnt(0)
	v_fma_f64 v[26:27], -v[30:31], v[66:67], v[26:27]
	v_lshlrev_b32_e32 v62, 3, v58
	ds_read_b128 v[58:61], v74
	v_fma_f64 v[26:27], -v[32:33], v[68:69], v[26:27]
	v_mul_f64 v[26:27], v[64:65], v[26:27]
	ds_write_b64 v62, v[26:27] offset:8192
	ds_read_b128 v[62:65], v74 offset:16
	ds_read_b128 v[66:69], v74 offset:32
	;; [unrolled: 1-line block ×3, first 2 shown]
	s_waitcnt lgkmcnt(4)
	v_fma_f64 v[28:29], -v[50:51], v[58:59], v[28:29]
	v_fma_f64 v[28:29], -v[52:53], v[60:61], v[28:29]
	s_waitcnt lgkmcnt(2)
	v_fma_f64 v[28:29], -v[46:47], v[62:63], v[28:29]
	v_fma_f64 v[28:29], -v[48:49], v[64:65], v[28:29]
	ds_read_b128 v[58:61], v74 offset:64
	ds_read_b128 v[62:65], v74 offset:80
	s_waitcnt lgkmcnt(3)
	v_fma_f64 v[28:29], -v[42:43], v[66:67], v[28:29]
	v_fma_f64 v[28:29], -v[44:45], v[68:69], v[28:29]
	s_waitcnt lgkmcnt(2)
	v_fma_f64 v[28:29], -v[38:39], v[70:71], v[28:29]
	v_fma_f64 v[28:29], -v[40:41], v[72:73], v[28:29]
	s_or_b32 s17, s9, 0x1c0
	s_waitcnt lgkmcnt(1)
	v_fma_f64 v[28:29], -v[34:35], v[58:59], v[28:29]
	ds_read_b64 v[66:67], v74 offset:96
	s_or_b32 s18, s17, s12
	v_fma_f64 v[28:29], -v[36:37], v[60:61], v[28:29]
	s_lshl_b32 s18, s18, 3
	s_waitcnt lgkmcnt(1)
	v_fma_f64 v[28:29], -v[30:31], v[62:63], v[28:29]
	v_mov_b32_e32 v74, s18
	v_fma_f64 v[28:29], -v[32:33], v[64:65], v[28:29]
	ds_read_b128 v[62:65], v74
	s_waitcnt lgkmcnt(1)
	v_fma_f64 v[28:29], -v[26:27], v[66:67], v[28:29]
	ds_read_b128 v[66:69], v74 offset:16
	ds_read_b128 v[70:73], v74 offset:32
	ds_read2_b64 v[58:61], v78 offset0:173 offset1:206
	s_waitcnt lgkmcnt(3)
	v_fma_f64 v[22:23], -v[50:51], v[62:63], v[22:23]
	v_fma_f64 v[22:23], -v[52:53], v[64:65], v[22:23]
	ds_read_b128 v[62:65], v74 offset:48
	s_waitcnt lgkmcnt(3)
	v_fma_f64 v[22:23], -v[46:47], v[66:67], v[22:23]
	v_fma_f64 v[22:23], -v[48:49], v[68:69], v[22:23]
	ds_read_b128 v[66:69], v74 offset:64
	s_waitcnt lgkmcnt(3)
	v_fma_f64 v[22:23], -v[42:43], v[70:71], v[22:23]
	v_fma_f64 v[22:23], -v[44:45], v[72:73], v[22:23]
	ds_read_b128 v[70:73], v74 offset:80
	s_waitcnt lgkmcnt(2)
	v_fma_f64 v[22:23], -v[38:39], v[62:63], v[22:23]
	v_fma_f64 v[22:23], -v[40:41], v[64:65], v[22:23]
	ds_read_b128 v[62:65], v74 offset:96
	s_waitcnt lgkmcnt(2)
	v_fma_f64 v[22:23], -v[34:35], v[66:67], v[22:23]
	v_mul_f64 v[28:29], v[58:59], v[28:29]
	v_or_b32_e32 v58, s16, v0
	v_fma_f64 v[22:23], -v[36:37], v[68:69], v[22:23]
	v_lshlrev_b32_e32 v58, 3, v58
	s_waitcnt lgkmcnt(1)
	v_fma_f64 v[22:23], -v[30:31], v[70:71], v[22:23]
	s_or_b32 s16, s9, 0x1e0
	ds_write_b64 v58, v[28:29] offset:8192
	v_fma_f64 v[22:23], -v[32:33], v[72:73], v[22:23]
	v_or_b32_e32 v58, s17, v0
	s_add_i32 s17, s16, s12
	s_waitcnt lgkmcnt(1)
	v_fma_f64 v[22:23], -v[26:27], v[62:63], v[22:23]
	s_lshl_b32 s17, s17, 3
	v_fma_f64 v[22:23], -v[28:29], v[64:65], v[22:23]
	v_mov_b32_e32 v74, s17
	v_mul_f64 v[22:23], v[60:61], v[22:23]
	v_lshlrev_b32_e32 v62, 3, v58
	ds_read_b128 v[58:61], v74
	ds_write_b64 v62, v[22:23] offset:8192
	ds_read_b128 v[62:65], v74 offset:16
	ds_read_b128 v[66:69], v74 offset:32
	;; [unrolled: 1-line block ×3, first 2 shown]
	s_waitcnt lgkmcnt(4)
	v_fma_f64 v[24:25], -v[50:51], v[58:59], v[24:25]
	v_fma_f64 v[24:25], -v[52:53], v[60:61], v[24:25]
	s_waitcnt lgkmcnt(2)
	v_fma_f64 v[24:25], -v[46:47], v[62:63], v[24:25]
	v_fma_f64 v[24:25], -v[48:49], v[64:65], v[24:25]
	ds_read_b128 v[58:61], v74 offset:64
	ds_read_b128 v[62:65], v74 offset:80
	s_waitcnt lgkmcnt(3)
	v_fma_f64 v[24:25], -v[42:43], v[66:67], v[24:25]
	v_fma_f64 v[24:25], -v[44:45], v[68:69], v[24:25]
	s_waitcnt lgkmcnt(2)
	v_fma_f64 v[24:25], -v[38:39], v[70:71], v[24:25]
	v_fma_f64 v[24:25], -v[40:41], v[72:73], v[24:25]
	ds_read_b128 v[66:69], v74 offset:96
	s_waitcnt lgkmcnt(2)
	v_fma_f64 v[24:25], -v[34:35], v[58:59], v[24:25]
	v_fma_f64 v[24:25], -v[36:37], v[60:61], v[24:25]
	ds_read_b128 v[58:61], v74 offset:112
	s_waitcnt lgkmcnt(2)
	v_fma_f64 v[24:25], -v[30:31], v[62:63], v[24:25]
	v_fma_f64 v[24:25], -v[32:33], v[64:65], v[24:25]
	s_waitcnt lgkmcnt(1)
	v_fma_f64 v[24:25], -v[26:27], v[66:67], v[24:25]
	v_fma_f64 v[24:25], -v[28:29], v[68:69], v[24:25]
	s_waitcnt lgkmcnt(0)
	v_fma_f64 v[24:25], -v[22:23], v[58:59], v[24:25]
	v_or_b32_e32 v58, s16, v0
	s_or_b32 s16, s12, 16
	s_lshl_b32 s17, s16, 5
	s_or_b32 s18, s17, s12
	s_lshl_b32 s18, s18, 3
	v_mov_b32_e32 v74, s18
	v_mul_f64 v[24:25], v[60:61], v[24:25]
	v_lshlrev_b32_e32 v62, 3, v58
	ds_read_b128 v[58:61], v74
	ds_write_b64 v62, v[24:25] offset:8192
	ds_read_b128 v[62:65], v74 offset:16
	ds_read_b128 v[66:69], v74 offset:32
	;; [unrolled: 1-line block ×3, first 2 shown]
	s_mulk_i32 s16, 0x108
	s_waitcnt lgkmcnt(4)
	v_fma_f64 v[18:19], -v[50:51], v[58:59], v[18:19]
	v_fma_f64 v[18:19], -v[52:53], v[60:61], v[18:19]
	s_waitcnt lgkmcnt(2)
	v_fma_f64 v[18:19], -v[46:47], v[62:63], v[18:19]
	v_fma_f64 v[18:19], -v[48:49], v[64:65], v[18:19]
	ds_read_b128 v[58:61], v74 offset:64
	ds_read_b128 v[62:65], v74 offset:80
	s_waitcnt lgkmcnt(3)
	v_fma_f64 v[18:19], -v[42:43], v[66:67], v[18:19]
	v_fma_f64 v[18:19], -v[44:45], v[68:69], v[18:19]
	s_waitcnt lgkmcnt(2)
	v_fma_f64 v[18:19], -v[38:39], v[70:71], v[18:19]
	v_fma_f64 v[18:19], -v[40:41], v[72:73], v[18:19]
	ds_read_b128 v[66:69], v74 offset:96
	s_waitcnt lgkmcnt(2)
	v_fma_f64 v[18:19], -v[34:35], v[58:59], v[18:19]
	v_fma_f64 v[18:19], -v[36:37], v[60:61], v[18:19]
	ds_read_b128 v[58:61], v74 offset:112
	s_waitcnt lgkmcnt(2)
	v_fma_f64 v[18:19], -v[30:31], v[62:63], v[18:19]
	v_fma_f64 v[18:19], -v[32:33], v[64:65], v[18:19]
	s_waitcnt lgkmcnt(1)
	v_fma_f64 v[18:19], -v[26:27], v[66:67], v[18:19]
	v_fma_f64 v[18:19], -v[28:29], v[68:69], v[18:19]
	s_waitcnt lgkmcnt(0)
	v_fma_f64 v[18:19], -v[22:23], v[58:59], v[18:19]
	v_mov_b32_e32 v58, s16
	s_or_b32 s16, s9, 0x220
	ds_read_b64 v[62:63], v58
	s_add_i32 s18, s16, s12
	s_lshl_b32 s18, s18, 3
	v_mov_b32_e32 v70, s18
	v_fma_f64 v[18:19], -v[24:25], v[60:61], v[18:19]
	ds_read_b128 v[58:61], v70
	s_waitcnt lgkmcnt(1)
	v_mul_f64 v[18:19], v[62:63], v[18:19]
	v_or_b32_e32 v62, s17, v0
	v_lshlrev_b32_e32 v66, 3, v62
	ds_read_b128 v[62:65], v70 offset:16
	ds_write_b64 v66, v[18:19] offset:8192
	ds_read_b128 v[66:69], v70 offset:32
	s_waitcnt lgkmcnt(3)
	v_fma_f64 v[20:21], -v[50:51], v[58:59], v[20:21]
	v_fma_f64 v[20:21], -v[52:53], v[60:61], v[20:21]
	ds_read_b128 v[58:61], v70 offset:48
	s_waitcnt lgkmcnt(3)
	v_fma_f64 v[20:21], -v[46:47], v[62:63], v[20:21]
	v_fma_f64 v[20:21], -v[48:49], v[64:65], v[20:21]
	;; [unrolled: 4-line block ×6, first 2 shown]
	s_waitcnt lgkmcnt(1)
	v_fma_f64 v[20:21], -v[26:27], v[58:59], v[20:21]
	v_or_b32_e32 v58, s16, v0
	s_or_b32 s16, s12, 18
	ds_read_b128 v[66:69], v70 offset:128
	s_lshl_b32 s17, s16, 5
	s_or_b32 s18, s17, s12
	v_fma_f64 v[20:21], -v[28:29], v[60:61], v[20:21]
	s_lshl_b32 s18, s18, 3
	s_waitcnt lgkmcnt(1)
	v_fma_f64 v[20:21], -v[22:23], v[62:63], v[20:21]
	v_mov_b32_e32 v74, s18
	v_fma_f64 v[20:21], -v[24:25], v[64:65], v[20:21]
	v_lshlrev_b32_e32 v62, 3, v58
	ds_read_b128 v[58:61], v74
	s_waitcnt lgkmcnt(1)
	v_fma_f64 v[20:21], -v[18:19], v[66:67], v[20:21]
	v_mul_f64 v[20:21], v[68:69], v[20:21]
	ds_write_b64 v62, v[20:21] offset:8192
	ds_read_b128 v[62:65], v74 offset:16
	ds_read_b128 v[66:69], v74 offset:32
	;; [unrolled: 1-line block ×3, first 2 shown]
	s_waitcnt lgkmcnt(4)
	v_fma_f64 v[14:15], -v[50:51], v[58:59], v[14:15]
	v_fma_f64 v[14:15], -v[52:53], v[60:61], v[14:15]
	s_waitcnt lgkmcnt(2)
	v_fma_f64 v[14:15], -v[46:47], v[62:63], v[14:15]
	v_fma_f64 v[14:15], -v[48:49], v[64:65], v[14:15]
	ds_read_b128 v[58:61], v74 offset:64
	ds_read_b128 v[62:65], v74 offset:80
	s_waitcnt lgkmcnt(3)
	v_fma_f64 v[14:15], -v[42:43], v[66:67], v[14:15]
	v_fma_f64 v[14:15], -v[44:45], v[68:69], v[14:15]
	s_waitcnt lgkmcnt(2)
	v_fma_f64 v[14:15], -v[38:39], v[70:71], v[14:15]
	v_fma_f64 v[14:15], -v[40:41], v[72:73], v[14:15]
	ds_read_b128 v[66:69], v74 offset:96
	s_waitcnt lgkmcnt(2)
	v_fma_f64 v[14:15], -v[34:35], v[58:59], v[14:15]
	v_fma_f64 v[14:15], -v[36:37], v[60:61], v[14:15]
	ds_read_b128 v[58:61], v74 offset:112
	s_waitcnt lgkmcnt(2)
	v_fma_f64 v[14:15], -v[30:31], v[62:63], v[14:15]
	v_fma_f64 v[14:15], -v[32:33], v[64:65], v[14:15]
	s_waitcnt lgkmcnt(1)
	v_fma_f64 v[14:15], -v[26:27], v[66:67], v[14:15]
	s_mulk_i32 s16, 0x108
	ds_read_b128 v[62:65], v74 offset:128
	v_fma_f64 v[14:15], -v[28:29], v[68:69], v[14:15]
	v_mov_b32_e32 v66, s16
	s_or_b32 s16, s9, 0x260
	ds_read_b64 v[66:67], v66
	s_waitcnt lgkmcnt(2)
	v_fma_f64 v[14:15], -v[22:23], v[58:59], v[14:15]
	v_or_b32_e32 v58, s17, v0
	s_add_i32 s17, s16, s12
	s_lshl_b32 s17, s17, 3
	v_fma_f64 v[14:15], -v[24:25], v[60:61], v[14:15]
	v_mov_b32_e32 v74, s17
	s_waitcnt lgkmcnt(1)
	v_fma_f64 v[14:15], -v[18:19], v[62:63], v[14:15]
	v_lshlrev_b32_e32 v62, 3, v58
	ds_read_b128 v[58:61], v74
	v_fma_f64 v[14:15], -v[20:21], v[64:65], v[14:15]
	s_waitcnt lgkmcnt(1)
	v_mul_f64 v[14:15], v[66:67], v[14:15]
	ds_write_b64 v62, v[14:15] offset:8192
	ds_read_b128 v[62:65], v74 offset:16
	ds_read_b128 v[66:69], v74 offset:32
	ds_read_b128 v[70:73], v74 offset:48
	s_waitcnt lgkmcnt(4)
	v_fma_f64 v[16:17], -v[50:51], v[58:59], v[16:17]
	v_fma_f64 v[16:17], -v[52:53], v[60:61], v[16:17]
	s_waitcnt lgkmcnt(2)
	v_fma_f64 v[16:17], -v[46:47], v[62:63], v[16:17]
	v_fma_f64 v[16:17], -v[48:49], v[64:65], v[16:17]
	ds_read_b128 v[58:61], v74 offset:64
	ds_read_b128 v[62:65], v74 offset:80
	s_waitcnt lgkmcnt(3)
	v_fma_f64 v[16:17], -v[42:43], v[66:67], v[16:17]
	v_fma_f64 v[16:17], -v[44:45], v[68:69], v[16:17]
	s_waitcnt lgkmcnt(2)
	v_fma_f64 v[16:17], -v[38:39], v[70:71], v[16:17]
	v_fma_f64 v[16:17], -v[40:41], v[72:73], v[16:17]
	ds_read_b128 v[66:69], v74 offset:96
	s_waitcnt lgkmcnt(2)
	v_fma_f64 v[16:17], -v[34:35], v[58:59], v[16:17]
	v_fma_f64 v[16:17], -v[36:37], v[60:61], v[16:17]
	ds_read_b128 v[58:61], v74 offset:112
	s_waitcnt lgkmcnt(2)
	v_fma_f64 v[16:17], -v[30:31], v[62:63], v[16:17]
	v_fma_f64 v[16:17], -v[32:33], v[64:65], v[16:17]
	s_waitcnt lgkmcnt(1)
	v_fma_f64 v[16:17], -v[26:27], v[66:67], v[16:17]
	ds_read_b128 v[62:65], v74 offset:128
	v_fma_f64 v[16:17], -v[28:29], v[68:69], v[16:17]
	ds_read_b128 v[66:69], v74 offset:144
	s_waitcnt lgkmcnt(2)
	v_fma_f64 v[16:17], -v[22:23], v[58:59], v[16:17]
	v_or_b32_e32 v58, s16, v0
	s_or_b32 s16, s12, 20
	s_lshl_b32 s17, s16, 5
	s_or_b32 s18, s17, s12
	v_fma_f64 v[16:17], -v[24:25], v[60:61], v[16:17]
	s_lshl_b32 s18, s18, 3
	s_waitcnt lgkmcnt(1)
	v_fma_f64 v[16:17], -v[18:19], v[62:63], v[16:17]
	v_mov_b32_e32 v74, s18
	v_fma_f64 v[16:17], -v[20:21], v[64:65], v[16:17]
	v_lshlrev_b32_e32 v62, 3, v58
	ds_read_b128 v[58:61], v74
	s_waitcnt lgkmcnt(1)
	v_fma_f64 v[16:17], -v[14:15], v[66:67], v[16:17]
	v_mul_f64 v[16:17], v[68:69], v[16:17]
	ds_write_b64 v62, v[16:17] offset:8192
	ds_read_b128 v[62:65], v74 offset:16
	ds_read_b128 v[66:69], v74 offset:32
	ds_read_b128 v[70:73], v74 offset:48
	s_waitcnt lgkmcnt(4)
	v_fma_f64 v[10:11], -v[50:51], v[58:59], v[10:11]
	v_fma_f64 v[10:11], -v[52:53], v[60:61], v[10:11]
	s_waitcnt lgkmcnt(2)
	v_fma_f64 v[10:11], -v[46:47], v[62:63], v[10:11]
	v_fma_f64 v[10:11], -v[48:49], v[64:65], v[10:11]
	ds_read_b128 v[58:61], v74 offset:64
	ds_read_b128 v[62:65], v74 offset:80
	s_waitcnt lgkmcnt(3)
	v_fma_f64 v[10:11], -v[42:43], v[66:67], v[10:11]
	v_fma_f64 v[10:11], -v[44:45], v[68:69], v[10:11]
	s_waitcnt lgkmcnt(2)
	v_fma_f64 v[10:11], -v[38:39], v[70:71], v[10:11]
	v_fma_f64 v[10:11], -v[40:41], v[72:73], v[10:11]
	ds_read_b128 v[66:69], v74 offset:96
	s_waitcnt lgkmcnt(2)
	v_fma_f64 v[10:11], -v[34:35], v[58:59], v[10:11]
	v_fma_f64 v[10:11], -v[36:37], v[60:61], v[10:11]
	ds_read_b128 v[58:61], v74 offset:112
	;; [unrolled: 4-line block ×4, first 2 shown]
	s_waitcnt lgkmcnt(2)
	v_fma_f64 v[10:11], -v[22:23], v[58:59], v[10:11]
	s_mulk_i32 s16, 0x108
	v_fma_f64 v[10:11], -v[24:25], v[60:61], v[10:11]
	v_mov_b32_e32 v58, s16
	s_waitcnt lgkmcnt(1)
	v_fma_f64 v[10:11], -v[18:19], v[62:63], v[10:11]
	ds_read_b64 v[62:63], v58
	s_or_b32 s16, s9, 0x2a0
	s_add_i32 s18, s16, s12
	v_fma_f64 v[10:11], -v[20:21], v[64:65], v[10:11]
	s_lshl_b32 s18, s18, 3
	s_waitcnt lgkmcnt(1)
	v_fma_f64 v[10:11], -v[14:15], v[66:67], v[10:11]
	v_mov_b32_e32 v70, s18
	v_fma_f64 v[10:11], -v[16:17], v[68:69], v[10:11]
	ds_read_b128 v[58:61], v70
	s_waitcnt lgkmcnt(1)
	v_mul_f64 v[10:11], v[62:63], v[10:11]
	v_or_b32_e32 v62, s17, v0
	v_lshlrev_b32_e32 v66, 3, v62
	ds_read_b128 v[62:65], v70 offset:16
	ds_write_b64 v66, v[10:11] offset:8192
	ds_read_b128 v[66:69], v70 offset:32
	s_waitcnt lgkmcnt(3)
	v_fma_f64 v[12:13], -v[50:51], v[58:59], v[12:13]
	v_fma_f64 v[12:13], -v[52:53], v[60:61], v[12:13]
	ds_read_b128 v[58:61], v70 offset:48
	s_waitcnt lgkmcnt(3)
	v_fma_f64 v[12:13], -v[46:47], v[62:63], v[12:13]
	v_fma_f64 v[12:13], -v[48:49], v[64:65], v[12:13]
	ds_read_b128 v[62:65], v70 offset:64
	s_waitcnt lgkmcnt(2)
	v_fma_f64 v[12:13], -v[42:43], v[66:67], v[12:13]
	v_fma_f64 v[12:13], -v[44:45], v[68:69], v[12:13]
	ds_read_b128 v[66:69], v70 offset:80
	s_waitcnt lgkmcnt(2)
	v_fma_f64 v[12:13], -v[38:39], v[58:59], v[12:13]
	v_fma_f64 v[12:13], -v[40:41], v[60:61], v[12:13]
	ds_read_b128 v[58:61], v70 offset:96
	s_waitcnt lgkmcnt(2)
	v_fma_f64 v[12:13], -v[34:35], v[62:63], v[12:13]
	v_fma_f64 v[12:13], -v[36:37], v[64:65], v[12:13]
	ds_read_b128 v[62:65], v70 offset:112
	s_waitcnt lgkmcnt(2)
	v_fma_f64 v[12:13], -v[30:31], v[66:67], v[12:13]
	v_fma_f64 v[12:13], -v[32:33], v[68:69], v[12:13]
	s_waitcnt lgkmcnt(1)
	v_fma_f64 v[12:13], -v[26:27], v[58:59], v[12:13]
	v_fma_f64 v[12:13], -v[28:29], v[60:61], v[12:13]
	ds_read_b128 v[58:61], v70 offset:128
	ds_read_b128 v[66:69], v70 offset:144
	s_waitcnt lgkmcnt(2)
	v_fma_f64 v[12:13], -v[22:23], v[62:63], v[12:13]
	v_fma_f64 v[12:13], -v[24:25], v[64:65], v[12:13]
	ds_read_b128 v[62:65], v70 offset:160
	s_waitcnt lgkmcnt(2)
	v_fma_f64 v[12:13], -v[18:19], v[58:59], v[12:13]
	v_or_b32_e32 v58, s16, v0
	s_or_b32 s16, s12, 22
	s_lshl_b32 s17, s16, 5
	v_fma_f64 v[12:13], -v[20:21], v[60:61], v[12:13]
	s_or_b32 s18, s17, s12
	s_waitcnt lgkmcnt(1)
	v_fma_f64 v[12:13], -v[14:15], v[66:67], v[12:13]
	s_lshl_b32 s18, s18, 3
	v_fma_f64 v[12:13], -v[16:17], v[68:69], v[12:13]
	v_mov_b32_e32 v74, s18
	s_waitcnt lgkmcnt(0)
	v_fma_f64 v[12:13], -v[10:11], v[62:63], v[12:13]
	v_lshlrev_b32_e32 v62, 3, v58
	ds_read_b128 v[58:61], v74
	v_mul_f64 v[12:13], v[64:65], v[12:13]
	ds_write_b64 v62, v[12:13] offset:8192
	ds_read_b128 v[62:65], v74 offset:16
	ds_read_b128 v[66:69], v74 offset:32
	;; [unrolled: 1-line block ×3, first 2 shown]
	s_mulk_i32 s16, 0x108
	s_waitcnt lgkmcnt(4)
	v_fma_f64 v[6:7], -v[50:51], v[58:59], v[6:7]
	v_fma_f64 v[6:7], -v[52:53], v[60:61], v[6:7]
	s_waitcnt lgkmcnt(2)
	v_fma_f64 v[6:7], -v[46:47], v[62:63], v[6:7]
	v_fma_f64 v[6:7], -v[48:49], v[64:65], v[6:7]
	ds_read_b128 v[58:61], v74 offset:64
	ds_read_b128 v[62:65], v74 offset:80
	s_waitcnt lgkmcnt(3)
	v_fma_f64 v[6:7], -v[42:43], v[66:67], v[6:7]
	v_fma_f64 v[6:7], -v[44:45], v[68:69], v[6:7]
	s_waitcnt lgkmcnt(2)
	v_fma_f64 v[6:7], -v[38:39], v[70:71], v[6:7]
	v_fma_f64 v[6:7], -v[40:41], v[72:73], v[6:7]
	ds_read_b128 v[66:69], v74 offset:96
	s_waitcnt lgkmcnt(2)
	v_fma_f64 v[6:7], -v[34:35], v[58:59], v[6:7]
	v_fma_f64 v[6:7], -v[36:37], v[60:61], v[6:7]
	ds_read_b128 v[58:61], v74 offset:112
	s_waitcnt lgkmcnt(2)
	v_fma_f64 v[6:7], -v[30:31], v[62:63], v[6:7]
	v_fma_f64 v[6:7], -v[32:33], v[64:65], v[6:7]
	s_waitcnt lgkmcnt(1)
	v_fma_f64 v[6:7], -v[26:27], v[66:67], v[6:7]
	ds_read_b128 v[62:65], v74 offset:128
	v_fma_f64 v[6:7], -v[28:29], v[68:69], v[6:7]
	s_waitcnt lgkmcnt(1)
	v_fma_f64 v[6:7], -v[22:23], v[58:59], v[6:7]
	v_fma_f64 v[6:7], -v[24:25], v[60:61], v[6:7]
	ds_read_b128 v[58:61], v74 offset:144
	s_waitcnt lgkmcnt(1)
	v_fma_f64 v[6:7], -v[18:19], v[62:63], v[6:7]
	v_fma_f64 v[6:7], -v[20:21], v[64:65], v[6:7]
	ds_read_b128 v[62:65], v74 offset:160
	v_mov_b32_e32 v66, s16
	s_or_b32 s16, s9, 0x2e0
	ds_read_b64 v[66:67], v66
	s_waitcnt lgkmcnt(2)
	v_fma_f64 v[6:7], -v[14:15], v[58:59], v[6:7]
	v_or_b32_e32 v58, s17, v0
	s_add_i32 s17, s16, s12
	s_lshl_b32 s17, s17, 3
	v_fma_f64 v[6:7], -v[16:17], v[60:61], v[6:7]
	v_mov_b32_e32 v74, s17
	s_waitcnt lgkmcnt(1)
	v_fma_f64 v[6:7], -v[10:11], v[62:63], v[6:7]
	v_lshlrev_b32_e32 v62, 3, v58
	ds_read_b128 v[58:61], v74
	v_fma_f64 v[6:7], -v[12:13], v[64:65], v[6:7]
	s_waitcnt lgkmcnt(1)
	v_mul_f64 v[6:7], v[66:67], v[6:7]
	ds_write_b64 v62, v[6:7] offset:8192
	ds_read_b128 v[62:65], v74 offset:16
	ds_read_b128 v[66:69], v74 offset:32
	;; [unrolled: 1-line block ×3, first 2 shown]
	s_waitcnt lgkmcnt(4)
	v_fma_f64 v[8:9], -v[50:51], v[58:59], v[8:9]
	v_fma_f64 v[8:9], -v[52:53], v[60:61], v[8:9]
	s_waitcnt lgkmcnt(2)
	v_fma_f64 v[8:9], -v[46:47], v[62:63], v[8:9]
	v_fma_f64 v[8:9], -v[48:49], v[64:65], v[8:9]
	ds_read_b128 v[58:61], v74 offset:64
	ds_read_b128 v[62:65], v74 offset:80
	s_waitcnt lgkmcnt(3)
	v_fma_f64 v[8:9], -v[42:43], v[66:67], v[8:9]
	v_fma_f64 v[8:9], -v[44:45], v[68:69], v[8:9]
	s_waitcnt lgkmcnt(2)
	v_fma_f64 v[8:9], -v[38:39], v[70:71], v[8:9]
	v_fma_f64 v[8:9], -v[40:41], v[72:73], v[8:9]
	ds_read_b128 v[66:69], v74 offset:96
	s_waitcnt lgkmcnt(2)
	v_fma_f64 v[8:9], -v[34:35], v[58:59], v[8:9]
	v_fma_f64 v[8:9], -v[36:37], v[60:61], v[8:9]
	ds_read_b128 v[58:61], v74 offset:112
	s_waitcnt lgkmcnt(2)
	v_fma_f64 v[8:9], -v[30:31], v[62:63], v[8:9]
	v_fma_f64 v[8:9], -v[32:33], v[64:65], v[8:9]
	s_waitcnt lgkmcnt(1)
	v_fma_f64 v[8:9], -v[26:27], v[66:67], v[8:9]
	ds_read_b128 v[62:65], v74 offset:128
	v_fma_f64 v[8:9], -v[28:29], v[68:69], v[8:9]
	s_waitcnt lgkmcnt(1)
	v_fma_f64 v[8:9], -v[22:23], v[58:59], v[8:9]
	v_fma_f64 v[8:9], -v[24:25], v[60:61], v[8:9]
	ds_read_b128 v[58:61], v74 offset:144
	s_waitcnt lgkmcnt(1)
	v_fma_f64 v[8:9], -v[18:19], v[62:63], v[8:9]
	ds_read_b128 v[66:69], v74 offset:160
	v_fma_f64 v[8:9], -v[20:21], v[64:65], v[8:9]
	ds_read_b128 v[62:65], v74 offset:176
	s_waitcnt lgkmcnt(2)
	v_fma_f64 v[8:9], -v[14:15], v[58:59], v[8:9]
	v_or_b32_e32 v58, s16, v0
	s_or_b32 s16, s12, 24
	s_lshl_b32 s17, s16, 5
	v_fma_f64 v[8:9], -v[16:17], v[60:61], v[8:9]
	s_or_b32 s18, s17, s12
	s_waitcnt lgkmcnt(1)
	v_fma_f64 v[8:9], -v[10:11], v[66:67], v[8:9]
	s_lshl_b32 s18, s18, 3
	v_fma_f64 v[8:9], -v[12:13], v[68:69], v[8:9]
	v_mov_b32_e32 v74, s18
	s_waitcnt lgkmcnt(0)
	v_fma_f64 v[8:9], -v[6:7], v[62:63], v[8:9]
	v_lshlrev_b32_e32 v62, 3, v58
	ds_read_b128 v[58:61], v74
	v_mul_f64 v[8:9], v[64:65], v[8:9]
	ds_write_b64 v62, v[8:9] offset:8192
	ds_read_b128 v[62:65], v74 offset:16
	ds_read_b128 v[66:69], v74 offset:32
	;; [unrolled: 1-line block ×3, first 2 shown]
	s_mulk_i32 s16, 0x108
	s_waitcnt lgkmcnt(4)
	v_fma_f64 v[2:3], -v[50:51], v[58:59], v[2:3]
	v_fma_f64 v[2:3], -v[52:53], v[60:61], v[2:3]
	s_waitcnt lgkmcnt(2)
	v_fma_f64 v[2:3], -v[46:47], v[62:63], v[2:3]
	v_fma_f64 v[2:3], -v[48:49], v[64:65], v[2:3]
	ds_read_b128 v[58:61], v74 offset:64
	ds_read_b128 v[62:65], v74 offset:80
	s_waitcnt lgkmcnt(3)
	v_fma_f64 v[2:3], -v[42:43], v[66:67], v[2:3]
	v_fma_f64 v[2:3], -v[44:45], v[68:69], v[2:3]
	s_waitcnt lgkmcnt(2)
	v_fma_f64 v[2:3], -v[38:39], v[70:71], v[2:3]
	v_fma_f64 v[2:3], -v[40:41], v[72:73], v[2:3]
	ds_read_b128 v[66:69], v74 offset:96
	s_waitcnt lgkmcnt(2)
	v_fma_f64 v[2:3], -v[34:35], v[58:59], v[2:3]
	v_fma_f64 v[2:3], -v[36:37], v[60:61], v[2:3]
	ds_read_b128 v[58:61], v74 offset:112
	s_waitcnt lgkmcnt(2)
	v_fma_f64 v[2:3], -v[30:31], v[62:63], v[2:3]
	v_fma_f64 v[2:3], -v[32:33], v[64:65], v[2:3]
	s_waitcnt lgkmcnt(1)
	v_fma_f64 v[2:3], -v[26:27], v[66:67], v[2:3]
	ds_read_b128 v[62:65], v74 offset:128
	v_fma_f64 v[2:3], -v[28:29], v[68:69], v[2:3]
	s_waitcnt lgkmcnt(1)
	v_fma_f64 v[2:3], -v[22:23], v[58:59], v[2:3]
	v_fma_f64 v[2:3], -v[24:25], v[60:61], v[2:3]
	ds_read_b128 v[58:61], v74 offset:144
	ds_read_b128 v[66:69], v74 offset:160
	s_waitcnt lgkmcnt(2)
	v_fma_f64 v[2:3], -v[18:19], v[62:63], v[2:3]
	v_fma_f64 v[2:3], -v[20:21], v[64:65], v[2:3]
	ds_read_b128 v[62:65], v74 offset:176
	s_waitcnt lgkmcnt(2)
	v_fma_f64 v[2:3], -v[14:15], v[58:59], v[2:3]
	v_fma_f64 v[2:3], -v[16:17], v[60:61], v[2:3]
	s_waitcnt lgkmcnt(1)
	v_fma_f64 v[2:3], -v[10:11], v[66:67], v[2:3]
	v_fma_f64 v[2:3], -v[12:13], v[68:69], v[2:3]
	v_mov_b32_e32 v58, s16
	s_waitcnt lgkmcnt(0)
	v_fma_f64 v[2:3], -v[6:7], v[62:63], v[2:3]
	s_or_b32 s9, s9, 0x320
	ds_read_b64 v[62:63], v58
	s_add_i32 s16, s9, s12
	s_lshl_b32 s16, s16, 3
	v_mov_b32_e32 v70, s16
	v_fma_f64 v[2:3], -v[8:9], v[64:65], v[2:3]
	ds_read_b128 v[58:61], v70
	s_waitcnt lgkmcnt(1)
	v_mul_f64 v[2:3], v[62:63], v[2:3]
	v_or_b32_e32 v62, s17, v0
	v_lshlrev_b32_e32 v66, 3, v62
	ds_read_b128 v[62:65], v70 offset:16
	ds_write_b64 v66, v[2:3] offset:8192
	ds_read_b128 v[66:69], v70 offset:32
	s_waitcnt lgkmcnt(3)
	v_fma_f64 v[4:5], -v[50:51], v[58:59], v[4:5]
	v_fma_f64 v[4:5], -v[52:53], v[60:61], v[4:5]
	ds_read_b128 v[58:61], v70 offset:48
	s_waitcnt lgkmcnt(3)
	v_fma_f64 v[4:5], -v[46:47], v[62:63], v[4:5]
	v_fma_f64 v[4:5], -v[48:49], v[64:65], v[4:5]
	ds_read_b128 v[62:65], v70 offset:64
	s_waitcnt lgkmcnt(2)
	v_fma_f64 v[4:5], -v[42:43], v[66:67], v[4:5]
	v_fma_f64 v[4:5], -v[44:45], v[68:69], v[4:5]
	ds_read_b128 v[66:69], v70 offset:80
	s_waitcnt lgkmcnt(2)
	v_fma_f64 v[4:5], -v[38:39], v[58:59], v[4:5]
	v_fma_f64 v[4:5], -v[40:41], v[60:61], v[4:5]
	ds_read_b128 v[58:61], v70 offset:96
	s_waitcnt lgkmcnt(2)
	v_fma_f64 v[4:5], -v[34:35], v[62:63], v[4:5]
	v_fma_f64 v[4:5], -v[36:37], v[64:65], v[4:5]
	ds_read_b128 v[62:65], v70 offset:112
	s_waitcnt lgkmcnt(2)
	v_fma_f64 v[4:5], -v[30:31], v[66:67], v[4:5]
	v_fma_f64 v[4:5], -v[32:33], v[68:69], v[4:5]
	ds_read_b128 v[66:69], v70 offset:128
	s_waitcnt lgkmcnt(2)
	v_fma_f64 v[4:5], -v[26:27], v[58:59], v[4:5]
	v_fma_f64 v[4:5], -v[28:29], v[60:61], v[4:5]
	ds_read_b128 v[58:61], v70 offset:144
	s_waitcnt lgkmcnt(2)
	v_fma_f64 v[4:5], -v[22:23], v[62:63], v[4:5]
	v_fma_f64 v[4:5], -v[24:25], v[64:65], v[4:5]
	ds_read_b128 v[62:65], v70 offset:160
	s_waitcnt lgkmcnt(2)
	v_fma_f64 v[4:5], -v[18:19], v[66:67], v[4:5]
	v_fma_f64 v[4:5], -v[20:21], v[68:69], v[4:5]
	ds_read_b128 v[66:69], v70 offset:176
	s_waitcnt lgkmcnt(2)
	v_fma_f64 v[4:5], -v[14:15], v[58:59], v[4:5]
	v_fma_f64 v[4:5], -v[16:17], v[60:61], v[4:5]
	ds_read_b128 v[58:61], v70 offset:192
	s_waitcnt lgkmcnt(2)
	v_fma_f64 v[4:5], -v[10:11], v[62:63], v[4:5]
	v_fma_f64 v[4:5], -v[12:13], v[64:65], v[4:5]
	s_waitcnt lgkmcnt(1)
	v_fma_f64 v[4:5], -v[6:7], v[66:67], v[4:5]
	v_fma_f64 v[4:5], -v[8:9], v[68:69], v[4:5]
	s_waitcnt lgkmcnt(0)
	v_fma_f64 v[4:5], -v[2:3], v[58:59], v[4:5]
	v_or_b32_e32 v58, s9, v0
	s_or_b32 s9, s12, 26
	s_lshl_b32 s16, s9, 5
	s_or_b32 s17, s16, s12
	s_lshl_b32 s17, s17, 3
	v_mov_b32_e32 v74, s17
	v_mul_f64 v[4:5], v[60:61], v[4:5]
	v_lshlrev_b32_e32 v62, 3, v58
	ds_read_b128 v[58:61], v74
	ds_write_b64 v62, v[4:5] offset:8192
	ds_read_b128 v[62:65], v74 offset:16
	ds_read_b128 v[66:69], v74 offset:32
	;; [unrolled: 1-line block ×3, first 2 shown]
	s_mulk_i32 s9, 0x108
	s_mov_b32 s12, s8
	s_waitcnt lgkmcnt(4)
	v_fma_f64 v[56:57], -v[50:51], v[58:59], v[56:57]
	v_fma_f64 v[56:57], -v[52:53], v[60:61], v[56:57]
	s_waitcnt lgkmcnt(2)
	v_fma_f64 v[56:57], -v[46:47], v[62:63], v[56:57]
	v_fma_f64 v[56:57], -v[48:49], v[64:65], v[56:57]
	s_waitcnt lgkmcnt(1)
	v_fma_f64 v[60:61], -v[42:43], v[66:67], v[56:57]
	ds_read_b128 v[56:59], v74 offset:64
	v_fma_f64 v[60:61], -v[44:45], v[68:69], v[60:61]
	s_waitcnt lgkmcnt(1)
	v_fma_f64 v[64:65], -v[38:39], v[70:71], v[60:61]
	ds_read_b128 v[60:63], v74 offset:80
	;; [unrolled: 4-line block ×7, first 2 shown]
	v_fma_f64 v[60:61], -v[20:21], v[62:63], v[60:61]
	s_waitcnt lgkmcnt(1)
	v_fma_f64 v[60:61], -v[14:15], v[64:65], v[60:61]
	v_fma_f64 v[64:65], -v[16:17], v[66:67], v[60:61]
	ds_read_b128 v[60:63], v74 offset:176
	v_mov_b32_e32 v66, s9
	ds_read_b64 v[66:67], v66
	s_waitcnt lgkmcnt(2)
	v_fma_f64 v[56:57], -v[10:11], v[56:57], v[64:65]
	v_fma_f64 v[64:65], -v[12:13], v[58:59], v[56:57]
	ds_read_b128 v[56:59], v74 offset:192
	s_waitcnt lgkmcnt(2)
	v_fma_f64 v[60:61], -v[6:7], v[60:61], v[64:65]
	v_fma_f64 v[60:61], -v[8:9], v[62:63], v[60:61]
	s_lshl_b32 s9, s13, 3
	v_mov_b32_e32 v74, s9
	s_waitcnt lgkmcnt(0)
	v_fma_f64 v[56:57], -v[2:3], v[56:57], v[60:61]
	v_fma_f64 v[56:57], -v[4:5], v[58:59], v[56:57]
	v_mul_f64 v[72:73], v[66:67], v[56:57]
	v_or_b32_e32 v56, s16, v0
	v_lshlrev_b32_e32 v60, 3, v56
	ds_read_b128 v[56:59], v74
	ds_write_b64 v60, v[72:73] offset:8192
	ds_read_b128 v[60:63], v74 offset:16
	ds_read_b128 v[64:67], v74 offset:32
	;; [unrolled: 1-line block ×3, first 2 shown]
	s_waitcnt lgkmcnt(4)
	v_fma_f64 v[50:51], -v[50:51], v[56:57], v[54:55]
	v_fma_f64 v[50:51], -v[52:53], v[58:59], v[50:51]
	s_waitcnt lgkmcnt(2)
	v_fma_f64 v[46:47], -v[46:47], v[60:61], v[50:51]
	v_fma_f64 v[46:47], -v[48:49], v[62:63], v[46:47]
	s_waitcnt lgkmcnt(1)
	v_fma_f64 v[42:43], -v[42:43], v[64:65], v[46:47]
	ds_read_b128 v[46:49], v74 offset:64
	v_fma_f64 v[42:43], -v[44:45], v[66:67], v[42:43]
	s_waitcnt lgkmcnt(1)
	v_fma_f64 v[38:39], -v[38:39], v[68:69], v[42:43]
	ds_read_b128 v[42:45], v74 offset:80
	;; [unrolled: 4-line block ×7, first 2 shown]
	v_fma_f64 v[18:19], -v[20:21], v[32:33], v[18:19]
	s_waitcnt lgkmcnt(1)
	v_fma_f64 v[14:15], -v[14:15], v[26:27], v[18:19]
	v_fma_f64 v[18:19], -v[16:17], v[28:29], v[14:15]
	ds_read_b128 v[14:17], v74 offset:176
	s_waitcnt lgkmcnt(1)
	v_fma_f64 v[10:11], -v[10:11], v[22:23], v[18:19]
	ds_read_b128 v[18:21], v74 offset:192
	v_fma_f64 v[22:23], -v[12:13], v[24:25], v[10:11]
	ds_read_b128 v[10:13], v74 offset:208
	s_waitcnt lgkmcnt(2)
	v_fma_f64 v[6:7], -v[6:7], v[14:15], v[22:23]
	v_fma_f64 v[6:7], -v[8:9], v[16:17], v[6:7]
	s_waitcnt lgkmcnt(1)
	v_fma_f64 v[2:3], -v[2:3], v[18:19], v[6:7]
	v_fma_f64 v[2:3], -v[4:5], v[20:21], v[2:3]
	s_waitcnt lgkmcnt(0)
	v_fma_f64 v[2:3], -v[72:73], v[10:11], v[2:3]
	v_mul_f64 v[2:3], v[12:13], v[2:3]
	ds_write_b64 v1, v[2:3]
.LBB102_26:
	s_cmp_ge_i32 s12, s30
	s_cbranch_scc1 .LBB102_37
; %bb.27:
	v_mov_b32_e32 v1, 0x2000
	s_add_i32 s8, s12, -1
	v_lshl_or_b32 v1, v0, 3, v1
	s_lshl_b32 s9, s12, 8
	s_mov_b32 s13, 0
	v_lshlrev_b32_e32 v4, 3, v0
	s_mov_b32 s16, s12
	s_branch .LBB102_29
.LBB102_28:                             ;   in Loop: Header=BB102_29 Depth=1
	s_mul_i32 s17, s12, 0x108
	v_mov_b32_e32 v6, s17
	ds_read_b64 v[6:7], v6
	s_add_i32 s12, s12, 1
	s_add_i32 s13, s13, 1
	s_addk_i32 s9, 0x100
	v_add_u16_e64 v8, s16, 1
	v_add_u32_e32 v5, 0x2000, v5
	s_waitcnt lgkmcnt(0)
	v_mul_f64 v[2:3], v[6:7], v[2:3]
	s_cmp_ge_i32 s12, s30
	v_readfirstlane_b32 s16, v8
	ds_write_b64 v5, v[2:3]
	s_cbranch_scc1 .LBB102_37
.LBB102_29:                             ; =>This Loop Header: Depth=1
                                        ;     Child Loop BB102_32 Depth 2
                                        ;     Child Loop BB102_36 Depth 2
	v_lshl_or_b32 v5, s12, 8, v4
	ds_read_b64 v[2:3], v5 offset:8192
	s_cmp_eq_u32 s12, 0
	s_cbranch_scc1 .LBB102_28
; %bb.30:                               ;   in Loop: Header=BB102_29 Depth=1
	s_add_i32 s17, s8, s13
	s_cmp_lt_u32 s17, 7
	s_cbranch_scc1 .LBB102_34
; %bb.31:                               ;   in Loop: Header=BB102_29 Depth=1
	s_and_b32 s17, s12, -8
	s_mov_b32 s18, 0
	s_mov_b32 s19, s9
	v_mov_b32_e32 v6, v1
.LBB102_32:                             ;   Parent Loop BB102_29 Depth=1
                                        ; =>  This Inner Loop Header: Depth=2
	ds_read2_b64 v[8:11], v6 offset1:32
	v_mov_b32_e32 v7, s19
	ds_read2_b64 v[12:15], v6 offset0:64 offset1:96
	ds_read2_b64 v[16:19], v6 offset0:128 offset1:160
	;; [unrolled: 1-line block ×3, first 2 shown]
	ds_read_b128 v[24:27], v7
	ds_read_b128 v[28:31], v7 offset:16
	ds_read_b128 v[32:35], v7 offset:32
	;; [unrolled: 1-line block ×3, first 2 shown]
	s_add_i32 s18, s18, 8
	s_waitcnt lgkmcnt(3)
	v_fma_f64 v[2:3], -v[8:9], v[24:25], v[2:3]
	v_fma_f64 v[2:3], -v[10:11], v[26:27], v[2:3]
	s_waitcnt lgkmcnt(2)
	v_fma_f64 v[2:3], -v[12:13], v[28:29], v[2:3]
	v_fma_f64 v[2:3], -v[14:15], v[30:31], v[2:3]
	s_waitcnt lgkmcnt(1)
	v_fma_f64 v[2:3], -v[16:17], v[32:33], v[2:3]
	v_fma_f64 v[2:3], -v[18:19], v[34:35], v[2:3]
	s_add_i32 s19, s19, 64
	s_waitcnt lgkmcnt(0)
	v_fma_f64 v[2:3], -v[20:21], v[36:37], v[2:3]
	v_add_u32_e32 v6, 0x800, v6
	s_cmp_lg_u32 s17, s18
	v_fma_f64 v[2:3], -v[22:23], v[38:39], v[2:3]
	s_cbranch_scc1 .LBB102_32
; %bb.33:                               ;   in Loop: Header=BB102_29 Depth=1
	s_and_b32 s18, s12, 7
	s_cmp_eq_u32 s18, 0
	s_cbranch_scc0 .LBB102_35
	s_branch .LBB102_28
.LBB102_34:                             ;   in Loop: Header=BB102_29 Depth=1
	s_mov_b32 s17, 0
	s_and_b32 s18, s12, 7
	s_cmp_eq_u32 s18, 0
	s_cbranch_scc1 .LBB102_28
.LBB102_35:                             ;   in Loop: Header=BB102_29 Depth=1
	s_and_b32 s18, s16, 7
	s_lshl_b32 s19, s17, 3
	v_lshl_add_u32 v6, s17, 8, v1
.LBB102_36:                             ;   Parent Loop BB102_29 Depth=1
                                        ; =>  This Inner Loop Header: Depth=2
	s_add_i32 s17, s9, s19
	v_mov_b32_e32 v7, s17
	ds_read_b64 v[8:9], v6
	ds_read_b64 v[10:11], v7
	s_add_i32 s19, s19, 8
	s_add_i32 s18, s18, -1
	v_add_u32_e32 v6, 0x100, v6
	s_cmp_lg_u32 s18, 0
	s_waitcnt lgkmcnt(0)
	v_fma_f64 v[2:3], -v[8:9], v[10:11], v[2:3]
	s_cbranch_scc1 .LBB102_36
	s_branch .LBB102_28
.LBB102_37:
	s_mov_b64 s[8:9], 0
.LBB102_38:
	s_and_b64 vcc, exec, s[8:9]
	s_cbranch_vccz .LBB102_60
; %bb.39:
	s_cmp_gt_i32 s10, 31
	s_mov_b32 s8, s31
	s_cbranch_scc0 .LBB102_41
; %bb.40:
	s_lshl_b32 s33, s31, 5
	s_lshl_b32 s34, s30, 5
	v_or_b32_e32 v1, s33, v0
	s_sub_i32 s8, s34, 64
	s_add_i32 s29, s34, 0xffffffa0
	v_lshlrev_b32_e32 v76, 3, v1
	v_or_b32_e32 v1, s8, v0
	v_or_b32_e32 v2, s29, v0
	s_add_i32 s8, s34, 0xffffff80
	v_lshlrev_b32_e32 v1, 3, v1
	v_lshlrev_b32_e32 v85, 3, v2
	v_or_b32_e32 v2, s8, v0
	s_add_i32 s28, s34, 0xffffff60
	v_lshlrev_b32_e32 v2, 3, v2
	ds_read_b64 v[66:67], v76 offset:8192
	ds_read_b64 v[72:73], v1 offset:8192
	ds_read_b64 v[80:81], v85 offset:8192
	ds_read_b64 v[86:87], v2 offset:8192
	v_or_b32_e32 v1, s28, v0
	s_add_i32 s8, s34, 0xffffff40
	s_add_i32 s27, s34, 0xffffff20
	v_lshlrev_b32_e32 v98, 3, v1
	v_or_b32_e32 v1, s8, v0
	v_or_b32_e32 v2, s27, v0
	s_add_i32 s8, s34, 0xffffff00
	v_lshlrev_b32_e32 v1, 3, v1
	v_lshlrev_b32_e32 v104, 3, v2
	v_or_b32_e32 v2, s8, v0
	s_add_i32 s26, s34, 0xfffffee0
	v_lshlrev_b32_e32 v2, 3, v2
	ds_read_b64 v[88:89], v98 offset:8192
	ds_read_b64 v[44:45], v1 offset:8192
	ds_read_b64 v[38:39], v104 offset:8192
	ds_read_b64 v[36:37], v2 offset:8192
	v_or_b32_e32 v1, s26, v0
	s_add_i32 s8, s34, 0xfffffec0
	;; [unrolled: 16-line block ×7, first 2 shown]
	v_lshlrev_b32_e32 v60, 3, v1
	v_or_b32_e32 v1, s8, v0
	s_add_i32 s8, s34, 0xfffffc20
	s_addk_i32 s34, 0xfc00
	v_or_b32_e32 v48, s34, v0
	s_add_i32 s34, s30, -2
	s_add_i32 s35, s34, s33
	s_lshl_b32 s35, s35, 3
	v_lshlrev_b32_e32 v56, 3, v1
	v_or_b32_e32 v1, s8, v0
	v_lshlrev_b32_e32 v64, 3, v48
	v_mov_b32_e32 v68, s35
	s_mul_i32 s37, s31, 0x108
	v_lshlrev_b32_e32 v1, 3, v1
	ds_read_b64 v[48:49], v60 offset:8192
	ds_read_b64 v[58:59], v56 offset:8192
	;; [unrolled: 1-line block ×4, first 2 shown]
	ds_read2_b64 v[68:71], v68 offset1:1
	s_add_i32 s35, s37, 0xfffffef8
	v_mov_b32_e32 v74, s35
	ds_read_b64 v[74:75], v74
	s_lshl_b32 s34, s34, 5
	s_waitcnt lgkmcnt(1)
	v_mul_f64 v[66:67], v[70:71], v[66:67]
	s_add_i32 s35, s30, -4
	v_fma_f64 v[68:69], -v[66:67], v[68:69], v[72:73]
	v_or_b32_e32 v70, s34, v0
	s_add_i32 s36, s35, s33
	s_waitcnt lgkmcnt(0)
	v_mul_f64 v[68:69], v[74:75], v[68:69]
	v_lshlrev_b32_e32 v70, 3, v70
	s_lshl_b32 s36, s36, 3
	ds_write_b64 v70, v[68:69] offset:8192
	v_mov_b32_e32 v70, s36
	ds_read2_b64 v[72:75], v70 offset1:1
	s_add_i32 s36, s35, s34
	s_lshl_b32 s36, s36, 3
	v_mov_b32_e32 v70, s36
	s_add_i32 s36, s35, s29
	s_lshl_b32 s36, s36, 3
	ds_write_b64 v76, v[66:67] offset:8192
	ds_read2_b64 v[76:79], v70 offset1:1
	s_waitcnt lgkmcnt(2)
	v_fma_f64 v[70:71], -v[66:67], v[74:75], v[80:81]
	v_mov_b32_e32 v74, s36
	ds_read2_b64 v[80:83], v74 offset1:1
	s_add_i32 s36, s37, 0xfffffce8
	v_mov_b32_e32 v74, s36
	ds_read_b64 v[74:75], v74
	s_waitcnt lgkmcnt(2)
	v_fma_f64 v[70:71], -v[68:69], v[78:79], v[70:71]
	v_fma_f64 v[72:73], -v[66:67], v[72:73], v[86:87]
	s_add_i32 s36, s30, -6
	s_waitcnt lgkmcnt(1)
	v_mul_f64 v[70:71], v[82:83], v[70:71]
	v_fma_f64 v[72:73], -v[68:69], v[76:77], v[72:73]
	s_add_i32 s38, s36, s33
	v_fma_f64 v[72:73], -v[70:71], v[80:81], v[72:73]
	s_lshl_b32 s38, s38, 3
	s_waitcnt lgkmcnt(0)
	v_mul_f64 v[72:73], v[74:75], v[72:73]
	v_mov_b32_e32 v74, s38
	s_add_i32 s38, s36, s34
	ds_write_b64 v85, v[70:71] offset:8192
	s_lshl_b32 s38, s38, 3
	v_mov_b32_e32 v75, s38
	ds_read2_b64 v[76:79], v74 offset1:1
	ds_read2_b64 v[80:83], v75 offset1:1
	s_lshl_b32 s35, s35, 5
	v_or_b32_e32 v74, s35, v0
	s_add_i32 s38, s36, s29
	v_lshlrev_b32_e32 v74, 3, v74
	s_lshl_b32 s38, s38, 3
	ds_write_b64 v74, v[72:73] offset:8192
	s_waitcnt lgkmcnt(2)
	v_fma_f64 v[74:75], -v[66:67], v[78:79], v[88:89]
	v_mov_b32_e32 v78, s38
	s_add_i32 s38, s36, s35
	s_lshl_b32 s38, s38, 3
	ds_read2_b64 v[86:89], v78 offset1:1
	v_mov_b32_e32 v78, s38
	s_add_i32 s38, s36, s28
	s_lshl_b32 s38, s38, 3
	ds_read2_b64 v[90:93], v78 offset1:1
	v_mov_b32_e32 v78, s38
	ds_read2_b64 v[94:97], v78 offset1:1
	s_add_i32 s38, s37, 0xfffffad8
	v_mov_b32_e32 v78, s38
	s_waitcnt lgkmcnt(4)
	v_fma_f64 v[74:75], -v[68:69], v[82:83], v[74:75]
	ds_read_b64 v[78:79], v78
	v_fma_f64 v[44:45], -v[66:67], v[76:77], v[44:45]
	s_waitcnt lgkmcnt(3)
	v_fma_f64 v[74:75], -v[70:71], v[88:89], v[74:75]
	v_fma_f64 v[44:45], -v[68:69], v[80:81], v[44:45]
	s_waitcnt lgkmcnt(2)
	v_fma_f64 v[74:75], -v[72:73], v[92:93], v[74:75]
	v_fma_f64 v[44:45], -v[70:71], v[86:87], v[44:45]
	s_add_i32 s38, s30, -8
	s_waitcnt lgkmcnt(1)
	v_mul_f64 v[74:75], v[96:97], v[74:75]
	v_fma_f64 v[44:45], -v[72:73], v[90:91], v[44:45]
	s_add_i32 s39, s38, s33
	v_fma_f64 v[44:45], -v[74:75], v[94:95], v[44:45]
	s_lshl_b32 s39, s39, 3
	s_waitcnt lgkmcnt(0)
	v_mul_f64 v[76:77], v[78:79], v[44:45]
	v_mov_b32_e32 v44, s39
	s_add_i32 s39, s38, s34
	ds_write_b64 v98, v[74:75] offset:8192
	s_lshl_b32 s36, s36, 5
	s_lshl_b32 s39, s39, 3
	v_mov_b32_e32 v45, s39
	ds_read2_b64 v[80:83], v44 offset1:1
	ds_read2_b64 v[86:89], v45 offset1:1
	v_or_b32_e32 v44, s36, v0
	s_add_i32 s39, s38, s29
	v_lshlrev_b32_e32 v44, 3, v44
	s_lshl_b32 s39, s39, 3
	ds_write_b64 v44, v[76:77] offset:8192
	v_mov_b32_e32 v44, s39
	s_add_i32 s39, s38, s35
	s_lshl_b32 s39, s39, 3
	v_mov_b32_e32 v45, s39
	s_add_i32 s39, s38, s28
	s_waitcnt lgkmcnt(2)
	v_fma_f64 v[38:39], -v[66:67], v[82:83], v[38:39]
	s_lshl_b32 s39, s39, 3
	s_waitcnt lgkmcnt(1)
	v_fma_f64 v[38:39], -v[68:69], v[88:89], v[38:39]
	ds_read2_b64 v[88:91], v44 offset1:1
	ds_read2_b64 v[92:95], v45 offset1:1
	v_mov_b32_e32 v44, s39
	s_add_i32 s39, s38, s36
	s_lshl_b32 s39, s39, 3
	v_mov_b32_e32 v45, s39
	s_add_i32 s39, s37, 0xfffff9d0
	ds_read2_b64 v[96:99], v44 offset1:1
	ds_read2_b64 v[100:103], v45 offset1:1
	v_mov_b32_e32 v44, s39
	ds_read_b64 v[44:45], v44
	s_waitcnt lgkmcnt(4)
	v_fma_f64 v[38:39], -v[70:71], v[90:91], v[38:39]
	s_waitcnt lgkmcnt(3)
	v_fma_f64 v[38:39], -v[72:73], v[94:95], v[38:39]
	s_waitcnt lgkmcnt(2)
	v_fma_f64 v[38:39], -v[74:75], v[98:99], v[38:39]
	s_add_i32 s39, s38, s27
	s_waitcnt lgkmcnt(1)
	v_fma_f64 v[38:39], -v[76:77], v[102:103], v[38:39]
	s_lshl_b32 s39, s39, 3
	s_waitcnt lgkmcnt(0)
	v_mul_f64 v[78:79], v[44:45], v[38:39]
	v_fma_f64 v[36:37], -v[66:67], v[80:81], v[36:37]
	v_mov_b32_e32 v38, s39
	s_add_i32 s39, s37, 0xfffff8c8
	v_fma_f64 v[36:37], -v[68:69], v[86:87], v[36:37]
	ds_read_b64 v[38:39], v38
	v_mov_b32_e32 v44, s39
	v_fma_f64 v[36:37], -v[70:71], v[88:89], v[36:37]
	ds_read_b64 v[44:45], v44
	v_fma_f64 v[36:37], -v[72:73], v[92:93], v[36:37]
	v_fma_f64 v[36:37], -v[74:75], v[96:97], v[36:37]
	v_fma_f64 v[36:37], -v[76:77], v[100:101], v[36:37]
	s_add_i32 s39, s30, -10
	s_waitcnt lgkmcnt(1)
	v_fma_f64 v[36:37], -v[78:79], v[38:39], v[36:37]
	s_lshl_b32 s38, s38, 5
	s_add_i32 s40, s39, s33
	s_waitcnt lgkmcnt(0)
	v_mul_f64 v[80:81], v[44:45], v[36:37]
	v_or_b32_e32 v36, s38, v0
	s_lshl_b32 s40, s40, 3
	v_lshlrev_b32_e32 v44, 3, v36
	v_mov_b32_e32 v36, s40
	s_add_i32 s40, s39, s34
	s_lshl_b32 s40, s40, 3
	v_mov_b32_e32 v45, s40
	s_add_i32 s40, s39, s29
	ds_write_b64 v104, v[78:79] offset:8192
	s_lshl_b32 s40, s40, 3
	ds_read2_b64 v[36:39], v36 offset1:1
	ds_read2_b64 v[86:89], v45 offset1:1
	v_mov_b32_e32 v45, s40
	s_add_i32 s40, s39, s35
	s_lshl_b32 s40, s40, 3
	v_mov_b32_e32 v82, s40
	s_add_i32 s40, s39, s28
	ds_read2_b64 v[90:93], v45 offset1:1
	ds_read2_b64 v[94:97], v82 offset1:1
	s_lshl_b32 s40, s40, 3
	s_waitcnt lgkmcnt(3)
	v_fma_f64 v[30:31], -v[66:67], v[38:39], v[30:31]
	v_mov_b32_e32 v38, s40
	s_add_i32 s40, s39, s36
	s_lshl_b32 s40, s40, 3
	s_waitcnt lgkmcnt(2)
	v_fma_f64 v[30:31], -v[68:69], v[88:89], v[30:31]
	v_mov_b32_e32 v39, s40
	s_add_i32 s40, s39, s27
	ds_write_b64 v44, v[80:81] offset:8192
	s_waitcnt lgkmcnt(2)
	v_fma_f64 v[30:31], -v[70:71], v[92:93], v[30:31]
	s_lshl_b32 s40, s40, 3
	s_waitcnt lgkmcnt(1)
	v_fma_f64 v[30:31], -v[72:73], v[96:97], v[30:31]
	ds_read2_b64 v[96:99], v38 offset1:1
	ds_read2_b64 v[100:103], v39 offset1:1
	v_mov_b32_e32 v38, s40
	s_add_i32 s40, s39, s38
	s_lshl_b32 s40, s40, 3
	v_mov_b32_e32 v39, s40
	s_add_i32 s40, s37, 0xfffff7c0
	ds_read2_b64 v[104:107], v38 offset1:1
	ds_read2_b64 v[108:111], v39 offset1:1
	v_mov_b32_e32 v38, s40
	ds_read_b64 v[38:39], v38
	s_waitcnt lgkmcnt(4)
	v_fma_f64 v[30:31], -v[74:75], v[98:99], v[30:31]
	s_waitcnt lgkmcnt(3)
	v_fma_f64 v[30:31], -v[76:77], v[102:103], v[30:31]
	;; [unrolled: 2-line block ×3, first 2 shown]
	v_fma_f64 v[24:25], -v[66:67], v[36:37], v[24:25]
	s_add_i32 s40, s39, s26
	s_waitcnt lgkmcnt(1)
	v_fma_f64 v[30:31], -v[80:81], v[110:111], v[30:31]
	v_fma_f64 v[24:25], -v[68:69], v[86:87], v[24:25]
	s_lshl_b32 s40, s40, 3
	s_waitcnt lgkmcnt(0)
	v_mul_f64 v[82:83], v[38:39], v[30:31]
	v_fma_f64 v[24:25], -v[70:71], v[90:91], v[24:25]
	v_mov_b32_e32 v30, s40
	s_addk_i32 s37, 0xf6b8
	v_fma_f64 v[24:25], -v[72:73], v[94:95], v[24:25]
	ds_read_b64 v[30:31], v30
	v_mov_b32_e32 v36, s37
	v_fma_f64 v[24:25], -v[74:75], v[96:97], v[24:25]
	ds_read_b64 v[36:37], v36
	v_fma_f64 v[24:25], -v[76:77], v[100:101], v[24:25]
	v_fma_f64 v[24:25], -v[78:79], v[104:105], v[24:25]
	s_add_i32 s40, s30, -12
	v_fma_f64 v[24:25], -v[80:81], v[108:109], v[24:25]
	s_add_i32 s37, s40, s33
	s_waitcnt lgkmcnt(1)
	v_fma_f64 v[24:25], -v[82:83], v[30:31], v[24:25]
	s_lshl_b32 s37, s37, 3
	ds_write_b64 v84, v[82:83] offset:8192
	s_waitcnt lgkmcnt(1)
	v_mul_f64 v[84:85], v[36:37], v[24:25]
	v_mov_b32_e32 v25, s37
	s_add_i32 s37, s40, s34
	s_lshl_b32 s37, s37, 3
	v_mov_b32_e32 v30, s37
	s_add_i32 s37, s40, s29
	s_lshl_b32 s37, s37, 3
	ds_read2_b64 v[36:39], v25 offset1:1
	ds_read2_b64 v[88:91], v30 offset1:1
	v_mov_b32_e32 v25, s37
	s_add_i32 s37, s40, s35
	s_lshl_b32 s37, s37, 3
	v_mov_b32_e32 v30, s37
	ds_read2_b64 v[92:95], v25 offset1:1
	ds_read2_b64 v[96:99], v30 offset1:1
	s_waitcnt lgkmcnt(3)
	v_fma_f64 v[22:23], -v[66:67], v[38:39], v[22:23]
	s_lshl_b32 s39, s39, 5
	s_waitcnt lgkmcnt(2)
	v_fma_f64 v[22:23], -v[68:69], v[90:91], v[22:23]
	s_add_i32 s37, s40, s28
	v_or_b32_e32 v24, s39, v0
	s_waitcnt lgkmcnt(1)
	v_fma_f64 v[22:23], -v[70:71], v[94:95], v[22:23]
	s_lshl_b32 s37, s37, 3
	v_lshlrev_b32_e32 v24, 3, v24
	s_waitcnt lgkmcnt(0)
	v_fma_f64 v[30:31], -v[72:73], v[98:99], v[22:23]
	v_mov_b32_e32 v22, s37
	ds_write_b64 v24, v[84:85] offset:8192
	ds_read2_b64 v[22:25], v22 offset1:1
	s_add_i32 s37, s40, s36
	s_lshl_b32 s37, s37, 3
	v_mov_b32_e32 v38, s37
	ds_read2_b64 v[98:101], v38 offset1:1
	s_add_i32 s37, s40, s27
	s_lshl_b32 s37, s37, 3
	s_waitcnt lgkmcnt(1)
	v_fma_f64 v[24:25], -v[74:75], v[24:25], v[30:31]
	v_mov_b32_e32 v30, s37
	s_add_i32 s37, s40, s38
	s_lshl_b32 s37, s37, 3
	v_mov_b32_e32 v31, s37
	s_add_i32 s37, s40, s26
	s_lshl_b32 s37, s37, 3
	ds_read2_b64 v[102:105], v30 offset1:1
	ds_read2_b64 v[106:109], v31 offset1:1
	v_mov_b32_e32 v30, s37
	s_add_i32 s37, s40, s39
	s_lshl_b32 s37, s37, 3
	v_mov_b32_e32 v31, s37
	ds_read2_b64 v[110:113], v30 offset1:1
	ds_read2_b64 v[114:117], v31 offset1:1
	s_waitcnt lgkmcnt(4)
	v_fma_f64 v[24:25], -v[76:77], v[100:101], v[24:25]
	v_fma_f64 v[20:21], -v[66:67], v[36:37], v[20:21]
	s_waitcnt lgkmcnt(3)
	v_fma_f64 v[24:25], -v[78:79], v[104:105], v[24:25]
	s_add_i32 s37, s40, s25
	v_fma_f64 v[20:21], -v[68:69], v[88:89], v[20:21]
	s_waitcnt lgkmcnt(2)
	v_fma_f64 v[24:25], -v[80:81], v[108:109], v[24:25]
	s_lshl_b32 s37, s37, 3
	v_fma_f64 v[20:21], -v[70:71], v[92:93], v[20:21]
	s_waitcnt lgkmcnt(1)
	v_fma_f64 v[24:25], -v[82:83], v[112:113], v[24:25]
	v_mov_b32_e32 v30, s37
	s_mul_i32 s37, s30, 0x108
	v_fma_f64 v[20:21], -v[72:73], v[96:97], v[20:21]
	s_waitcnt lgkmcnt(0)
	v_fma_f64 v[24:25], -v[84:85], v[116:117], v[24:25]
	ds_read2_b64 v[116:119], v30 offset1:1
	s_add_i32 s41, s37, 0xfffff3a0
	v_fma_f64 v[20:21], -v[74:75], v[22:23], v[20:21]
	v_mov_b32_e32 v30, s41
	v_fma_f64 v[20:21], -v[76:77], v[98:99], v[20:21]
	ds_read_b64 v[30:31], v30
	v_fma_f64 v[20:21], -v[78:79], v[102:103], v[20:21]
	v_fma_f64 v[20:21], -v[80:81], v[106:107], v[20:21]
	;; [unrolled: 1-line block ×3, first 2 shown]
	s_waitcnt lgkmcnt(1)
	v_mul_f64 v[86:87], v[118:119], v[24:25]
	v_fma_f64 v[20:21], -v[84:85], v[114:115], v[20:21]
	s_add_i32 s41, s30, -14
	v_fma_f64 v[20:21], -v[86:87], v[116:117], v[20:21]
	s_lshl_b32 s40, s40, 5
	s_add_i32 s42, s41, s33
	s_waitcnt lgkmcnt(0)
	v_mul_f64 v[88:89], v[30:31], v[20:21]
	v_or_b32_e32 v20, s40, v0
	s_lshl_b32 s42, s42, 3
	v_lshlrev_b32_e32 v24, 3, v20
	v_mov_b32_e32 v20, s42
	s_add_i32 s42, s41, s34
	s_lshl_b32 s42, s42, 3
	v_mov_b32_e32 v25, s42
	s_add_i32 s42, s41, s29
	ds_write_b64 v63, v[86:87] offset:8192
	s_lshl_b32 s42, s42, 3
	ds_read2_b64 v[20:23], v20 offset1:1
	ds_read2_b64 v[36:39], v25 offset1:1
	v_mov_b32_e32 v25, s42
	s_add_i32 s42, s41, s35
	s_lshl_b32 s42, s42, 3
	v_mov_b32_e32 v30, s42
	s_add_i32 s42, s41, s28
	s_lshl_b32 s42, s42, 3
	ds_read2_b64 v[92:95], v25 offset1:1
	ds_read2_b64 v[96:99], v30 offset1:1
	s_waitcnt lgkmcnt(3)
	v_fma_f64 v[18:19], -v[66:67], v[22:23], v[18:19]
	v_mov_b32_e32 v22, s42
	ds_write_b64 v24, v[88:89] offset:8192
	ds_read2_b64 v[22:25], v22 offset1:1
	s_add_i32 s42, s41, s36
	s_waitcnt lgkmcnt(4)
	v_fma_f64 v[18:19], -v[68:69], v[38:39], v[18:19]
	s_lshl_b32 s42, s42, 3
	s_waitcnt lgkmcnt(3)
	v_fma_f64 v[18:19], -v[70:71], v[94:95], v[18:19]
	v_mov_b32_e32 v30, s42
	s_add_i32 s42, s41, s27
	s_waitcnt lgkmcnt(2)
	v_fma_f64 v[18:19], -v[72:73], v[98:99], v[18:19]
	ds_read2_b64 v[98:101], v30 offset1:1
	s_lshl_b32 s42, s42, 3
	s_waitcnt lgkmcnt(1)
	v_fma_f64 v[18:19], -v[74:75], v[24:25], v[18:19]
	v_mov_b32_e32 v24, s42
	s_add_i32 s42, s41, s38
	s_lshl_b32 s42, s42, 3
	v_mov_b32_e32 v25, s42
	s_add_i32 s42, s41, s26
	s_lshl_b32 s42, s42, 3
	ds_read2_b64 v[102:105], v24 offset1:1
	ds_read2_b64 v[106:109], v25 offset1:1
	v_mov_b32_e32 v24, s42
	s_add_i32 s42, s41, s39
	s_lshl_b32 s42, s42, 3
	v_mov_b32_e32 v25, s42
	ds_read2_b64 v[110:113], v24 offset1:1
	ds_read2_b64 v[114:117], v25 offset1:1
	s_waitcnt lgkmcnt(4)
	v_fma_f64 v[18:19], -v[76:77], v[100:101], v[18:19]
	s_add_i32 s42, s41, s25
	s_waitcnt lgkmcnt(3)
	v_fma_f64 v[18:19], -v[78:79], v[104:105], v[18:19]
	s_lshl_b32 s42, s42, 3
	v_fma_f64 v[16:17], -v[66:67], v[20:21], v[16:17]
	s_waitcnt lgkmcnt(2)
	v_fma_f64 v[18:19], -v[80:81], v[108:109], v[18:19]
	v_mov_b32_e32 v24, s42
	s_add_i32 s42, s41, s40
	v_fma_f64 v[16:17], -v[68:69], v[36:37], v[16:17]
	s_waitcnt lgkmcnt(1)
	v_fma_f64 v[18:19], -v[82:83], v[112:113], v[18:19]
	s_lshl_b32 s42, s42, 3
	v_fma_f64 v[16:17], -v[70:71], v[92:93], v[16:17]
	s_waitcnt lgkmcnt(0)
	v_fma_f64 v[18:19], -v[84:85], v[116:117], v[18:19]
	ds_read2_b64 v[116:119], v24 offset1:1
	v_mov_b32_e32 v24, s42
	s_add_i32 s42, s41, s21
	v_fma_f64 v[16:17], -v[72:73], v[96:97], v[16:17]
	s_lshl_b32 s42, s42, 3
	v_fma_f64 v[16:17], -v[74:75], v[22:23], v[16:17]
	ds_read2_b64 v[120:123], v24 offset1:1
	v_mov_b32_e32 v24, s42
	v_fma_f64 v[16:17], -v[76:77], v[98:99], v[16:17]
	ds_read2_b64 v[124:127], v24 offset1:1
	s_add_i32 s42, s37, 0xfffff190
	v_fma_f64 v[16:17], -v[78:79], v[102:103], v[16:17]
	v_mov_b32_e32 v24, s42
	v_fma_f64 v[16:17], -v[80:81], v[106:107], v[16:17]
	ds_read_b64 v[24:25], v24
	v_fma_f64 v[16:17], -v[82:83], v[110:111], v[16:17]
	s_waitcnt lgkmcnt(3)
	v_fma_f64 v[18:19], -v[86:87], v[118:119], v[18:19]
	v_fma_f64 v[16:17], -v[84:85], v[114:115], v[16:17]
	s_waitcnt lgkmcnt(2)
	v_fma_f64 v[18:19], -v[88:89], v[122:123], v[18:19]
	v_fma_f64 v[16:17], -v[86:87], v[116:117], v[16:17]
	s_waitcnt lgkmcnt(1)
	v_mul_f64 v[90:91], v[126:127], v[18:19]
	v_fma_f64 v[16:17], -v[88:89], v[120:121], v[16:17]
	v_fma_f64 v[16:17], -v[90:91], v[124:125], v[16:17]
	s_lshl_b32 s41, s41, 5
	s_add_i32 s42, s30, -16
	s_waitcnt lgkmcnt(0)
	v_mul_f64 v[92:93], v[24:25], v[16:17]
	v_or_b32_e32 v16, s41, v0
	s_add_i32 s43, s42, s33
	v_lshlrev_b32_e32 v16, 3, v16
	s_lshl_b32 s43, s43, 3
	ds_write_b64 v16, v[92:93] offset:8192
	v_mov_b32_e32 v16, s43
	ds_read2_b64 v[16:19], v16 offset1:1
	s_add_i32 s43, s42, s34
	s_lshl_b32 s43, s43, 3
	v_mov_b32_e32 v20, s43
	ds_read2_b64 v[20:23], v20 offset1:1
	s_add_i32 s43, s42, s29
	s_lshl_b32 s43, s43, 3
	s_waitcnt lgkmcnt(1)
	v_fma_f64 v[8:9], -v[66:67], v[18:19], v[8:9]
	v_mov_b32_e32 v18, s43
	s_add_i32 s43, s42, s35
	s_lshl_b32 s43, s43, 3
	v_mov_b32_e32 v19, s43
	s_add_i32 s43, s42, s28
	ds_write_b64 v62, v[90:91] offset:8192
	s_lshl_b32 s43, s43, 3
	ds_read2_b64 v[36:39], v18 offset1:1
	ds_read2_b64 v[96:99], v19 offset1:1
	v_mov_b32_e32 v18, s43
	s_add_i32 s43, s42, s36
	s_lshl_b32 s43, s43, 3
	v_mov_b32_e32 v19, s43
	s_add_i32 s43, s42, s27
	ds_read2_b64 v[100:103], v18 offset1:1
	ds_read2_b64 v[104:107], v19 offset1:1
	s_lshl_b32 s43, s43, 3
	s_waitcnt lgkmcnt(5)
	v_fma_f64 v[8:9], -v[68:69], v[22:23], v[8:9]
	v_mov_b32_e32 v18, s43
	s_add_i32 s43, s42, s38
	s_waitcnt lgkmcnt(3)
	v_fma_f64 v[8:9], -v[70:71], v[38:39], v[8:9]
	s_lshl_b32 s43, s43, 3
	s_waitcnt lgkmcnt(2)
	v_fma_f64 v[8:9], -v[72:73], v[98:99], v[8:9]
	ds_read2_b64 v[22:25], v18 offset1:1
	v_mov_b32_e32 v18, s43
	s_add_i32 s43, s42, s26
	s_waitcnt lgkmcnt(2)
	v_fma_f64 v[8:9], -v[74:75], v[102:103], v[8:9]
	s_lshl_b32 s43, s43, 3
	s_waitcnt lgkmcnt(1)
	v_fma_f64 v[8:9], -v[76:77], v[106:107], v[8:9]
	ds_read2_b64 v[106:109], v18 offset1:1
	v_mov_b32_e32 v18, s43
	s_add_i32 s43, s42, s39
	s_lshl_b32 s43, s43, 3
	v_mov_b32_e32 v19, s43
	s_add_i32 s43, s42, s25
	s_lshl_b32 s43, s43, 3
	ds_read2_b64 v[110:113], v18 offset1:1
	ds_read2_b64 v[114:117], v19 offset1:1
	v_mov_b32_e32 v18, s43
	s_add_i32 s43, s42, s40
	s_lshl_b32 s43, s43, 3
	s_waitcnt lgkmcnt(3)
	v_fma_f64 v[8:9], -v[78:79], v[24:25], v[8:9]
	v_mov_b32_e32 v19, s43
	ds_read2_b64 v[118:121], v18 offset1:1
	ds_read2_b64 v[122:125], v19 offset1:1
	v_fma_f64 v[6:7], -v[66:67], v[16:17], v[6:7]
	s_waitcnt lgkmcnt(4)
	v_fma_f64 v[8:9], -v[80:81], v[108:109], v[8:9]
	s_add_i32 s43, s42, s21
	v_fma_f64 v[6:7], -v[68:69], v[20:21], v[6:7]
	s_waitcnt lgkmcnt(3)
	v_fma_f64 v[8:9], -v[82:83], v[112:113], v[8:9]
	s_lshl_b32 s43, s43, 3
	v_fma_f64 v[6:7], -v[70:71], v[36:37], v[6:7]
	s_waitcnt lgkmcnt(2)
	v_fma_f64 v[8:9], -v[84:85], v[116:117], v[8:9]
	v_mov_b32_e32 v18, s43
	s_add_i32 s43, s42, s41
	v_fma_f64 v[6:7], -v[72:73], v[96:97], v[6:7]
	s_waitcnt lgkmcnt(1)
	v_fma_f64 v[8:9], -v[86:87], v[120:121], v[8:9]
	s_lshl_b32 s43, s43, 3
	v_fma_f64 v[6:7], -v[74:75], v[100:101], v[6:7]
	s_waitcnt lgkmcnt(0)
	v_fma_f64 v[8:9], -v[88:89], v[124:125], v[8:9]
	ds_read2_b64 v[124:127], v18 offset1:1
	v_mov_b32_e32 v18, s43
	s_add_i32 s43, s42, s20
	v_fma_f64 v[6:7], -v[76:77], v[104:105], v[6:7]
	s_lshl_b32 s43, s43, 3
	v_fma_f64 v[6:7], -v[78:79], v[22:23], v[6:7]
	ds_read2_b64 v[128:131], v18 offset1:1
	v_mov_b32_e32 v18, s43
	v_fma_f64 v[6:7], -v[80:81], v[106:107], v[6:7]
	ds_read2_b64 v[132:135], v18 offset1:1
	s_add_i32 s43, s37, 0xffffef80
	v_fma_f64 v[6:7], -v[82:83], v[110:111], v[6:7]
	v_mov_b32_e32 v18, s43
	v_fma_f64 v[6:7], -v[84:85], v[114:115], v[6:7]
	ds_read_b64 v[18:19], v18
	v_fma_f64 v[6:7], -v[86:87], v[118:119], v[6:7]
	s_waitcnt lgkmcnt(3)
	v_fma_f64 v[8:9], -v[90:91], v[126:127], v[8:9]
	v_fma_f64 v[6:7], -v[88:89], v[122:123], v[6:7]
	s_waitcnt lgkmcnt(2)
	v_fma_f64 v[8:9], -v[92:93], v[130:131], v[8:9]
	v_fma_f64 v[6:7], -v[90:91], v[124:125], v[6:7]
	s_sub_i32 s43, s30, 18
	s_waitcnt lgkmcnt(1)
	v_mul_f64 v[94:95], v[134:135], v[8:9]
	v_fma_f64 v[6:7], -v[92:93], v[128:129], v[6:7]
	s_add_i32 s44, s43, s33
	v_fma_f64 v[6:7], -v[94:95], v[132:133], v[6:7]
	s_lshl_b32 s44, s44, 3
	s_waitcnt lgkmcnt(0)
	v_mul_f64 v[96:97], v[18:19], v[6:7]
	v_mov_b32_e32 v6, s44
	s_add_i32 s44, s43, s34
	s_lshl_b32 s44, s44, 3
	ds_write_b64 v61, v[94:95] offset:8192
	v_mov_b32_e32 v16, s44
	ds_read2_b64 v[6:9], v6 offset1:1
	ds_read2_b64 v[16:19], v16 offset1:1
	s_add_i32 s44, s43, s29
	s_lshl_b32 s42, s42, 5
	s_lshl_b32 s44, s44, 3
	v_or_b32_e32 v20, s42, v0
	s_waitcnt lgkmcnt(1)
	v_fma_f64 v[4:5], -v[66:67], v[8:9], v[4:5]
	v_mov_b32_e32 v8, s44
	s_add_i32 s44, s43, s35
	v_lshlrev_b32_e32 v20, 3, v20
	s_lshl_b32 s44, s44, 3
	ds_write_b64 v20, v[96:97] offset:8192
	s_waitcnt lgkmcnt(1)
	v_fma_f64 v[4:5], -v[68:69], v[18:19], v[4:5]
	ds_read2_b64 v[18:21], v8 offset1:1
	v_mov_b32_e32 v8, s44
	s_add_i32 s44, s43, s28
	s_lshl_b32 s44, s44, 3
	ds_read2_b64 v[22:25], v8 offset1:1
	v_mov_b32_e32 v8, s44
	s_add_i32 s44, s43, s36
	s_lshl_b32 s44, s44, 3
	v_mov_b32_e32 v9, s44
	s_add_i32 s44, s43, s27
	s_lshl_b32 s44, s44, 3
	ds_read2_b64 v[36:39], v8 offset1:1
	ds_read2_b64 v[100:103], v9 offset1:1
	v_mov_b32_e32 v8, s44
	s_add_i32 s44, s43, s38
	s_lshl_b32 s44, s44, 3
	s_waitcnt lgkmcnt(3)
	v_fma_f64 v[4:5], -v[70:71], v[20:21], v[4:5]
	v_mov_b32_e32 v9, s44
	ds_read2_b64 v[104:107], v8 offset1:1
	ds_read2_b64 v[108:111], v9 offset1:1
	s_waitcnt lgkmcnt(4)
	v_fma_f64 v[4:5], -v[72:73], v[24:25], v[4:5]
	s_add_i32 s44, s43, s26
	s_waitcnt lgkmcnt(3)
	v_fma_f64 v[4:5], -v[74:75], v[38:39], v[4:5]
	s_lshl_b32 s44, s44, 3
	s_waitcnt lgkmcnt(2)
	v_fma_f64 v[4:5], -v[76:77], v[102:103], v[4:5]
	v_mov_b32_e32 v8, s44
	s_add_i32 s44, s43, s39
	s_waitcnt lgkmcnt(1)
	v_fma_f64 v[4:5], -v[78:79], v[106:107], v[4:5]
	s_lshl_b32 s44, s44, 3
	s_waitcnt lgkmcnt(0)
	v_fma_f64 v[4:5], -v[80:81], v[110:111], v[4:5]
	ds_read2_b64 v[110:113], v8 offset1:1
	v_mov_b32_e32 v8, s44
	s_add_i32 s44, s43, s25
	s_lshl_b32 s44, s44, 3
	ds_read2_b64 v[114:117], v8 offset1:1
	v_mov_b32_e32 v8, s44
	s_add_i32 s44, s43, s40
	s_lshl_b32 s44, s44, 3
	v_mov_b32_e32 v9, s44
	s_add_i32 s44, s43, s21
	s_lshl_b32 s44, s44, 3
	ds_read2_b64 v[118:121], v8 offset1:1
	ds_read2_b64 v[122:125], v9 offset1:1
	v_mov_b32_e32 v8, s44
	s_add_i32 s44, s43, s41
	v_fma_f64 v[2:3], -v[66:67], v[6:7], v[2:3]
	s_lshl_b32 s44, s44, 3
	v_fma_f64 v[2:3], -v[68:69], v[16:17], v[2:3]
	s_waitcnt lgkmcnt(3)
	v_fma_f64 v[4:5], -v[82:83], v[112:113], v[4:5]
	v_mov_b32_e32 v9, s44
	ds_read2_b64 v[126:129], v8 offset1:1
	ds_read2_b64 v[130:133], v9 offset1:1
	v_fma_f64 v[2:3], -v[70:71], v[18:19], v[2:3]
	s_waitcnt lgkmcnt(4)
	v_fma_f64 v[4:5], -v[84:85], v[116:117], v[4:5]
	s_add_i32 s44, s43, s20
	v_fma_f64 v[2:3], -v[72:73], v[22:23], v[2:3]
	s_waitcnt lgkmcnt(3)
	v_fma_f64 v[4:5], -v[86:87], v[120:121], v[4:5]
	s_lshl_b32 s44, s44, 3
	v_fma_f64 v[2:3], -v[74:75], v[36:37], v[2:3]
	s_waitcnt lgkmcnt(2)
	v_fma_f64 v[4:5], -v[88:89], v[124:125], v[4:5]
	v_mov_b32_e32 v8, s44
	s_add_i32 s44, s43, s42
	v_fma_f64 v[2:3], -v[76:77], v[100:101], v[2:3]
	s_waitcnt lgkmcnt(1)
	v_fma_f64 v[4:5], -v[90:91], v[128:129], v[4:5]
	s_lshl_b32 s44, s44, 3
	v_fma_f64 v[2:3], -v[78:79], v[104:105], v[2:3]
	s_waitcnt lgkmcnt(0)
	v_fma_f64 v[4:5], -v[92:93], v[132:133], v[4:5]
	ds_read2_b64 v[132:135], v8 offset1:1
	v_mov_b32_e32 v8, s44
	s_add_i32 s44, s43, s19
	v_fma_f64 v[2:3], -v[80:81], v[108:109], v[2:3]
	s_lshl_b32 s44, s44, 3
	v_fma_f64 v[2:3], -v[82:83], v[110:111], v[2:3]
	ds_read2_b64 v[136:139], v8 offset1:1
	v_mov_b32_e32 v8, s44
	v_fma_f64 v[2:3], -v[84:85], v[114:115], v[2:3]
	ds_read2_b64 v[140:143], v8 offset1:1
	s_add_i32 s44, s37, 0xffffed70
	v_fma_f64 v[2:3], -v[86:87], v[118:119], v[2:3]
	v_mov_b32_e32 v8, s44
	v_fma_f64 v[2:3], -v[88:89], v[122:123], v[2:3]
	ds_read_b64 v[8:9], v8
	v_fma_f64 v[2:3], -v[90:91], v[126:127], v[2:3]
	s_waitcnt lgkmcnt(3)
	v_fma_f64 v[4:5], -v[94:95], v[134:135], v[4:5]
	v_fma_f64 v[2:3], -v[92:93], v[130:131], v[2:3]
	s_waitcnt lgkmcnt(2)
	v_fma_f64 v[4:5], -v[96:97], v[138:139], v[4:5]
	v_fma_f64 v[2:3], -v[94:95], v[132:133], v[2:3]
	s_waitcnt lgkmcnt(1)
	v_mul_f64 v[98:99], v[142:143], v[4:5]
	v_fma_f64 v[2:3], -v[96:97], v[136:137], v[2:3]
	s_sub_i32 s44, s30, 20
	v_fma_f64 v[2:3], -v[98:99], v[140:141], v[2:3]
	s_lshl_b32 s43, s43, 5
	s_add_i32 s45, s44, s33
	s_waitcnt lgkmcnt(0)
	v_mul_f64 v[100:101], v[8:9], v[2:3]
	v_or_b32_e32 v2, s43, v0
	s_lshl_b32 s45, s45, 3
	v_lshlrev_b32_e32 v24, 3, v2
	v_mov_b32_e32 v2, s45
	s_add_i32 s45, s44, s34
	s_lshl_b32 s45, s45, 3
	v_mov_b32_e32 v6, s45
	s_add_i32 s45, s44, s29
	s_lshl_b32 s45, s45, 3
	ds_write_b64 v55, v[98:99] offset:8192
	v_mov_b32_e32 v16, s45
	s_add_i32 s45, s44, s35
	ds_read2_b64 v[2:5], v2 offset1:1
	ds_read2_b64 v[6:9], v6 offset1:1
	s_lshl_b32 s45, s45, 3
	v_mov_b32_e32 v20, s45
	ds_read2_b64 v[16:19], v16 offset1:1
	ds_read2_b64 v[20:23], v20 offset1:1
	s_add_i32 s45, s44, s28
	s_waitcnt lgkmcnt(3)
	v_fma_f64 v[4:5], -v[66:67], v[4:5], v[14:15]
	s_lshl_b32 s45, s45, 3
	s_waitcnt lgkmcnt(2)
	v_fma_f64 v[4:5], -v[68:69], v[8:9], v[4:5]
	v_mov_b32_e32 v8, s45
	s_add_i32 s45, s44, s36
	s_waitcnt lgkmcnt(1)
	v_fma_f64 v[4:5], -v[70:71], v[18:19], v[4:5]
	s_lshl_b32 s45, s45, 3
	ds_write_b64 v24, v[100:101] offset:8192
	s_waitcnt lgkmcnt(1)
	v_fma_f64 v[4:5], -v[72:73], v[22:23], v[4:5]
	ds_read2_b64 v[22:25], v8 offset1:1
	v_mov_b32_e32 v8, s45
	s_add_i32 s45, s44, s27
	s_lshl_b32 s45, s45, 3
	ds_read2_b64 v[36:39], v8 offset1:1
	v_mov_b32_e32 v8, s45
	s_add_i32 s45, s44, s38
	s_lshl_b32 s45, s45, 3
	v_mov_b32_e32 v9, s45
	s_add_i32 s45, s44, s26
	s_lshl_b32 s45, s45, 3
	ds_read2_b64 v[104:107], v8 offset1:1
	ds_read2_b64 v[108:111], v9 offset1:1
	v_mov_b32_e32 v8, s45
	s_add_i32 s45, s44, s39
	s_lshl_b32 s45, s45, 3
	s_waitcnt lgkmcnt(3)
	v_fma_f64 v[4:5], -v[74:75], v[24:25], v[4:5]
	v_mov_b32_e32 v9, s45
	ds_read2_b64 v[112:115], v8 offset1:1
	ds_read2_b64 v[116:119], v9 offset1:1
	s_waitcnt lgkmcnt(4)
	v_fma_f64 v[4:5], -v[76:77], v[38:39], v[4:5]
	s_add_i32 s45, s44, s25
	s_waitcnt lgkmcnt(3)
	v_fma_f64 v[4:5], -v[78:79], v[106:107], v[4:5]
	s_lshl_b32 s45, s45, 3
	s_waitcnt lgkmcnt(2)
	v_fma_f64 v[4:5], -v[80:81], v[110:111], v[4:5]
	v_mov_b32_e32 v8, s45
	s_add_i32 s45, s44, s40
	s_waitcnt lgkmcnt(1)
	v_fma_f64 v[4:5], -v[82:83], v[114:115], v[4:5]
	s_lshl_b32 s45, s45, 3
	s_waitcnt lgkmcnt(0)
	v_fma_f64 v[4:5], -v[84:85], v[118:119], v[4:5]
	ds_read2_b64 v[118:121], v8 offset1:1
	v_mov_b32_e32 v8, s45
	s_add_i32 s45, s44, s21
	s_lshl_b32 s45, s45, 3
	ds_read2_b64 v[122:125], v8 offset1:1
	v_mov_b32_e32 v8, s45
	s_add_i32 s45, s44, s41
	s_lshl_b32 s45, s45, 3
	v_mov_b32_e32 v9, s45
	s_add_i32 s45, s44, s20
	v_fma_f64 v[2:3], -v[66:67], v[2:3], v[12:13]
	s_lshl_b32 s45, s45, 3
	v_fma_f64 v[2:3], -v[68:69], v[6:7], v[2:3]
	ds_read2_b64 v[126:129], v8 offset1:1
	ds_read2_b64 v[130:133], v9 offset1:1
	v_mov_b32_e32 v8, s45
	s_add_i32 s45, s44, s42
	v_fma_f64 v[2:3], -v[70:71], v[16:17], v[2:3]
	s_lshl_b32 s45, s45, 3
	v_fma_f64 v[2:3], -v[72:73], v[20:21], v[2:3]
	s_waitcnt lgkmcnt(3)
	v_fma_f64 v[4:5], -v[86:87], v[120:121], v[4:5]
	v_mov_b32_e32 v9, s45
	ds_read2_b64 v[134:137], v8 offset1:1
	ds_read2_b64 v[138:141], v9 offset1:1
	v_fma_f64 v[2:3], -v[74:75], v[22:23], v[2:3]
	s_waitcnt lgkmcnt(4)
	v_fma_f64 v[4:5], -v[88:89], v[124:125], v[4:5]
	s_add_i32 s45, s44, s19
	v_fma_f64 v[2:3], -v[76:77], v[36:37], v[2:3]
	s_waitcnt lgkmcnt(3)
	v_fma_f64 v[4:5], -v[90:91], v[128:129], v[4:5]
	s_lshl_b32 s45, s45, 3
	v_fma_f64 v[2:3], -v[78:79], v[104:105], v[2:3]
	s_waitcnt lgkmcnt(2)
	v_fma_f64 v[4:5], -v[92:93], v[132:133], v[4:5]
	v_mov_b32_e32 v8, s45
	s_add_i32 s45, s44, s43
	v_fma_f64 v[2:3], -v[80:81], v[108:109], v[2:3]
	s_waitcnt lgkmcnt(1)
	v_fma_f64 v[4:5], -v[94:95], v[136:137], v[4:5]
	s_lshl_b32 s45, s45, 3
	v_fma_f64 v[2:3], -v[82:83], v[112:113], v[2:3]
	s_waitcnt lgkmcnt(0)
	v_fma_f64 v[4:5], -v[96:97], v[140:141], v[4:5]
	ds_read2_b64 v[140:143], v8 offset1:1
	v_mov_b32_e32 v8, s45
	s_add_i32 s45, s44, s18
	v_fma_f64 v[2:3], -v[84:85], v[116:117], v[2:3]
	s_lshl_b32 s45, s45, 3
	v_fma_f64 v[2:3], -v[86:87], v[118:119], v[2:3]
	ds_read2_b64 v[144:147], v8 offset1:1
	v_mov_b32_e32 v8, s45
	v_fma_f64 v[2:3], -v[88:89], v[122:123], v[2:3]
	ds_read2_b64 v[148:151], v8 offset1:1
	s_add_i32 s45, s37, 0xffffeb60
	v_fma_f64 v[2:3], -v[90:91], v[126:127], v[2:3]
	v_mov_b32_e32 v8, s45
	v_fma_f64 v[2:3], -v[92:93], v[130:131], v[2:3]
	ds_read_b64 v[8:9], v8
	v_fma_f64 v[2:3], -v[94:95], v[134:135], v[2:3]
	s_waitcnt lgkmcnt(3)
	v_fma_f64 v[4:5], -v[98:99], v[142:143], v[4:5]
	v_fma_f64 v[2:3], -v[96:97], v[138:139], v[2:3]
	s_waitcnt lgkmcnt(2)
	v_fma_f64 v[4:5], -v[100:101], v[146:147], v[4:5]
	v_fma_f64 v[2:3], -v[98:99], v[140:141], v[2:3]
	s_waitcnt lgkmcnt(1)
	v_mul_f64 v[102:103], v[150:151], v[4:5]
	v_fma_f64 v[2:3], -v[100:101], v[144:145], v[2:3]
	v_fma_f64 v[2:3], -v[102:103], v[148:149], v[2:3]
	s_lshl_b32 s44, s44, 5
	s_sub_i32 s45, s30, 22
	s_waitcnt lgkmcnt(0)
	v_mul_f64 v[104:105], v[8:9], v[2:3]
	v_or_b32_e32 v2, s44, v0
	s_add_i32 s46, s45, s33
	v_lshlrev_b32_e32 v2, 3, v2
	s_lshl_b32 s46, s46, 3
	ds_write_b64 v2, v[104:105] offset:8192
	v_mov_b32_e32 v2, s46
	ds_read2_b64 v[2:5], v2 offset1:1
	s_add_i32 s46, s45, s34
	s_lshl_b32 s46, s46, 3
	v_mov_b32_e32 v6, s46
	ds_read2_b64 v[6:9], v6 offset1:1
	s_add_i32 s46, s45, s29
	s_lshl_b32 s46, s46, 3
	s_waitcnt lgkmcnt(1)
	v_fma_f64 v[4:5], -v[66:67], v[4:5], v[10:11]
	v_mov_b32_e32 v10, s46
	s_add_i32 s46, s45, s35
	s_lshl_b32 s46, s46, 3
	v_mov_b32_e32 v14, s46
	s_add_i32 s46, s45, s28
	s_lshl_b32 s46, s46, 3
	;; [unrolled: 3-line block ×4, first 2 shown]
	s_waitcnt lgkmcnt(0)
	v_fma_f64 v[4:5], -v[68:69], v[8:9], v[4:5]
	v_mov_b32_e32 v8, s46
	s_add_i32 s46, s45, s38
	ds_write_b64 v54, v[102:103] offset:8192
	s_lshl_b32 s46, s46, 3
	ds_read2_b64 v[10:13], v10 offset1:1
	ds_read2_b64 v[14:17], v14 offset1:1
	;; [unrolled: 1-line block ×5, first 2 shown]
	v_mov_b32_e32 v8, s46
	s_add_i32 s46, s45, s26
	s_lshl_b32 s46, s46, 3
	ds_read2_b64 v[108:111], v8 offset1:1
	v_mov_b32_e32 v8, s46
	s_add_i32 s46, s45, s39
	s_lshl_b32 s46, s46, 3
	s_waitcnt lgkmcnt(5)
	v_fma_f64 v[4:5], -v[70:71], v[12:13], v[4:5]
	v_mov_b32_e32 v9, s46
	s_add_i32 s46, s45, s25
	s_waitcnt lgkmcnt(4)
	v_fma_f64 v[4:5], -v[72:73], v[16:17], v[4:5]
	s_lshl_b32 s46, s46, 3
	s_waitcnt lgkmcnt(3)
	v_fma_f64 v[4:5], -v[74:75], v[20:21], v[4:5]
	ds_read2_b64 v[112:115], v8 offset1:1
	ds_read2_b64 v[116:119], v9 offset1:1
	v_mov_b32_e32 v8, s46
	s_add_i32 s46, s45, s40
	s_waitcnt lgkmcnt(4)
	v_fma_f64 v[4:5], -v[76:77], v[24:25], v[4:5]
	s_lshl_b32 s46, s46, 3
	s_waitcnt lgkmcnt(3)
	v_fma_f64 v[4:5], -v[78:79], v[38:39], v[4:5]
	v_mov_b32_e32 v9, s46
	ds_read2_b64 v[120:123], v8 offset1:1
	ds_read2_b64 v[124:127], v9 offset1:1
	s_waitcnt lgkmcnt(4)
	v_fma_f64 v[4:5], -v[80:81], v[110:111], v[4:5]
	s_add_i32 s46, s45, s21
	s_waitcnt lgkmcnt(3)
	v_fma_f64 v[4:5], -v[82:83], v[114:115], v[4:5]
	s_lshl_b32 s46, s46, 3
	s_waitcnt lgkmcnt(2)
	v_fma_f64 v[4:5], -v[84:85], v[118:119], v[4:5]
	v_mov_b32_e32 v8, s46
	s_add_i32 s46, s45, s41
	s_waitcnt lgkmcnt(1)
	v_fma_f64 v[4:5], -v[86:87], v[122:123], v[4:5]
	s_lshl_b32 s46, s46, 3
	s_waitcnt lgkmcnt(0)
	v_fma_f64 v[4:5], -v[88:89], v[126:127], v[4:5]
	ds_read2_b64 v[126:129], v8 offset1:1
	v_mov_b32_e32 v8, s46
	s_add_i32 s46, s45, s20
	s_lshl_b32 s46, s46, 3
	ds_read2_b64 v[130:133], v8 offset1:1
	v_mov_b32_e32 v8, s46
	s_add_i32 s46, s45, s42
	v_fma_f64 v[2:3], -v[66:67], v[2:3], v[28:29]
	s_lshl_b32 s46, s46, 3
	v_fma_f64 v[2:3], -v[68:69], v[6:7], v[2:3]
	v_mov_b32_e32 v9, s46
	s_add_i32 s46, s45, s19
	v_fma_f64 v[2:3], -v[70:71], v[10:11], v[2:3]
	s_lshl_b32 s46, s46, 3
	v_fma_f64 v[2:3], -v[72:73], v[14:15], v[2:3]
	ds_read2_b64 v[134:137], v8 offset1:1
	ds_read2_b64 v[138:141], v9 offset1:1
	v_mov_b32_e32 v8, s46
	s_add_i32 s46, s45, s43
	v_fma_f64 v[2:3], -v[74:75], v[18:19], v[2:3]
	s_lshl_b32 s46, s46, 3
	v_fma_f64 v[2:3], -v[76:77], v[22:23], v[2:3]
	s_waitcnt lgkmcnt(3)
	v_fma_f64 v[4:5], -v[90:91], v[128:129], v[4:5]
	v_mov_b32_e32 v9, s46
	ds_read2_b64 v[142:145], v8 offset1:1
	ds_read2_b64 v[146:149], v9 offset1:1
	v_fma_f64 v[2:3], -v[78:79], v[36:37], v[2:3]
	s_waitcnt lgkmcnt(4)
	v_fma_f64 v[4:5], -v[92:93], v[132:133], v[4:5]
	s_add_i32 s46, s45, s18
	v_fma_f64 v[2:3], -v[80:81], v[108:109], v[2:3]
	s_waitcnt lgkmcnt(3)
	v_fma_f64 v[4:5], -v[94:95], v[136:137], v[4:5]
	s_lshl_b32 s46, s46, 3
	v_fma_f64 v[2:3], -v[82:83], v[112:113], v[2:3]
	s_waitcnt lgkmcnt(2)
	v_fma_f64 v[4:5], -v[96:97], v[140:141], v[4:5]
	v_mov_b32_e32 v8, s46
	s_add_i32 s46, s45, s44
	v_fma_f64 v[2:3], -v[84:85], v[116:117], v[2:3]
	s_waitcnt lgkmcnt(1)
	v_fma_f64 v[4:5], -v[98:99], v[144:145], v[4:5]
	s_lshl_b32 s46, s46, 3
	v_fma_f64 v[2:3], -v[86:87], v[120:121], v[2:3]
	s_waitcnt lgkmcnt(0)
	v_fma_f64 v[4:5], -v[100:101], v[148:149], v[4:5]
	ds_read2_b64 v[148:151], v8 offset1:1
	v_mov_b32_e32 v8, s46
	s_add_i32 s46, s45, s17
	v_fma_f64 v[2:3], -v[88:89], v[124:125], v[2:3]
	s_lshl_b32 s46, s46, 3
	v_fma_f64 v[2:3], -v[90:91], v[126:127], v[2:3]
	ds_read2_b64 v[152:155], v8 offset1:1
	v_mov_b32_e32 v8, s46
	v_fma_f64 v[2:3], -v[92:93], v[130:131], v[2:3]
	ds_read2_b64 v[156:159], v8 offset1:1
	s_add_i32 s46, s37, 0xffffe950
	v_fma_f64 v[2:3], -v[94:95], v[134:135], v[2:3]
	v_mov_b32_e32 v8, s46
	v_fma_f64 v[2:3], -v[96:97], v[138:139], v[2:3]
	ds_read_b64 v[8:9], v8
	v_fma_f64 v[2:3], -v[98:99], v[142:143], v[2:3]
	s_waitcnt lgkmcnt(3)
	v_fma_f64 v[4:5], -v[102:103], v[150:151], v[4:5]
	v_fma_f64 v[2:3], -v[100:101], v[146:147], v[2:3]
	s_waitcnt lgkmcnt(2)
	v_fma_f64 v[4:5], -v[104:105], v[154:155], v[4:5]
	v_fma_f64 v[2:3], -v[102:103], v[148:149], v[2:3]
	s_sub_i32 s46, s30, 24
	s_waitcnt lgkmcnt(1)
	v_mul_f64 v[106:107], v[158:159], v[4:5]
	v_fma_f64 v[2:3], -v[104:105], v[152:153], v[2:3]
	s_add_i32 s47, s46, s33
	v_fma_f64 v[2:3], -v[106:107], v[156:157], v[2:3]
	s_lshl_b32 s47, s47, 3
	s_waitcnt lgkmcnt(0)
	v_mul_f64 v[108:109], v[8:9], v[2:3]
	v_mov_b32_e32 v2, s47
	s_add_i32 s47, s46, s34
	s_lshl_b32 s47, s47, 3
	ds_write_b64 v53, v[106:107] offset:8192
	v_mov_b32_e32 v6, s47
	ds_read2_b64 v[2:5], v2 offset1:1
	ds_read2_b64 v[6:9], v6 offset1:1
	s_lshl_b32 s45, s45, 5
	s_add_i32 s47, s46, s29
	v_or_b32_e32 v10, s45, v0
	s_waitcnt lgkmcnt(1)
	v_fma_f64 v[4:5], -v[66:67], v[4:5], v[26:27]
	s_lshl_b32 s47, s47, 3
	v_lshlrev_b32_e32 v10, 3, v10
	s_waitcnt lgkmcnt(0)
	v_fma_f64 v[4:5], -v[68:69], v[8:9], v[4:5]
	v_mov_b32_e32 v8, s47
	ds_write_b64 v10, v[108:109] offset:8192
	ds_read2_b64 v[8:11], v8 offset1:1
	s_add_i32 s47, s46, s35
	s_lshl_b32 s47, s47, 3
	v_mov_b32_e32 v12, s47
	ds_read2_b64 v[12:15], v12 offset1:1
	s_add_i32 s47, s46, s28
	s_lshl_b32 s47, s47, 3
	s_waitcnt lgkmcnt(1)
	v_fma_f64 v[4:5], -v[70:71], v[10:11], v[4:5]
	v_mov_b32_e32 v10, s47
	s_add_i32 s47, s46, s36
	s_lshl_b32 s47, s47, 3
	v_mov_b32_e32 v11, s47
	s_add_i32 s47, s46, s27
	s_lshl_b32 s47, s47, 3
	ds_read2_b64 v[16:19], v10 offset1:1
	ds_read2_b64 v[20:23], v11 offset1:1
	v_mov_b32_e32 v10, s47
	s_add_i32 s47, s46, s38
	s_lshl_b32 s47, s47, 3
	v_mov_b32_e32 v11, s47
	s_add_i32 s47, s46, s26
	s_lshl_b32 s47, s47, 3
	ds_read2_b64 v[24:27], v10 offset1:1
	ds_read2_b64 v[28:31], v11 offset1:1
	v_mov_b32_e32 v10, s47
	s_add_i32 s47, s46, s39
	s_lshl_b32 s47, s47, 3
	ds_read2_b64 v[36:39], v10 offset1:1
	v_mov_b32_e32 v10, s47
	s_add_i32 s47, s46, s25
	s_lshl_b32 s47, s47, 3
	ds_read2_b64 v[112:115], v10 offset1:1
	v_mov_b32_e32 v10, s47
	s_add_i32 s47, s46, s40
	s_waitcnt lgkmcnt(6)
	v_fma_f64 v[4:5], -v[72:73], v[14:15], v[4:5]
	s_lshl_b32 s47, s47, 3
	s_waitcnt lgkmcnt(5)
	v_fma_f64 v[4:5], -v[74:75], v[18:19], v[4:5]
	v_mov_b32_e32 v11, s47
	s_add_i32 s47, s46, s21
	s_waitcnt lgkmcnt(4)
	v_fma_f64 v[4:5], -v[76:77], v[22:23], v[4:5]
	s_lshl_b32 s47, s47, 3
	s_waitcnt lgkmcnt(3)
	v_fma_f64 v[4:5], -v[78:79], v[26:27], v[4:5]
	ds_read2_b64 v[116:119], v10 offset1:1
	ds_read2_b64 v[120:123], v11 offset1:1
	v_mov_b32_e32 v10, s47
	s_add_i32 s47, s46, s41
	s_waitcnt lgkmcnt(4)
	v_fma_f64 v[4:5], -v[80:81], v[30:31], v[4:5]
	s_lshl_b32 s47, s47, 3
	s_waitcnt lgkmcnt(3)
	v_fma_f64 v[4:5], -v[82:83], v[38:39], v[4:5]
	v_mov_b32_e32 v11, s47
	ds_read2_b64 v[124:127], v10 offset1:1
	ds_read2_b64 v[128:131], v11 offset1:1
	s_waitcnt lgkmcnt(4)
	v_fma_f64 v[4:5], -v[84:85], v[114:115], v[4:5]
	s_add_i32 s47, s46, s20
	s_waitcnt lgkmcnt(3)
	v_fma_f64 v[4:5], -v[86:87], v[118:119], v[4:5]
	s_lshl_b32 s47, s47, 3
	s_waitcnt lgkmcnt(2)
	v_fma_f64 v[4:5], -v[88:89], v[122:123], v[4:5]
	v_mov_b32_e32 v10, s47
	s_add_i32 s47, s46, s42
	s_waitcnt lgkmcnt(1)
	v_fma_f64 v[4:5], -v[90:91], v[126:127], v[4:5]
	s_lshl_b32 s47, s47, 3
	s_waitcnt lgkmcnt(0)
	v_fma_f64 v[4:5], -v[92:93], v[130:131], v[4:5]
	ds_read2_b64 v[130:133], v10 offset1:1
	v_mov_b32_e32 v10, s47
	s_add_i32 s47, s46, s19
	v_fma_f64 v[2:3], -v[66:67], v[2:3], v[34:35]
	s_lshl_b32 s47, s47, 3
	v_fma_f64 v[2:3], -v[68:69], v[6:7], v[2:3]
	ds_read2_b64 v[134:137], v10 offset1:1
	v_mov_b32_e32 v10, s47
	s_add_i32 s47, s46, s43
	v_fma_f64 v[2:3], -v[70:71], v[8:9], v[2:3]
	s_lshl_b32 s47, s47, 3
	v_fma_f64 v[2:3], -v[72:73], v[12:13], v[2:3]
	v_mov_b32_e32 v11, s47
	s_add_i32 s47, s46, s18
	v_fma_f64 v[2:3], -v[74:75], v[16:17], v[2:3]
	s_lshl_b32 s47, s47, 3
	v_fma_f64 v[2:3], -v[76:77], v[20:21], v[2:3]
	ds_read2_b64 v[138:141], v10 offset1:1
	ds_read2_b64 v[142:145], v11 offset1:1
	v_mov_b32_e32 v10, s47
	s_add_i32 s47, s46, s44
	v_fma_f64 v[2:3], -v[78:79], v[24:25], v[2:3]
	s_lshl_b32 s47, s47, 3
	v_fma_f64 v[2:3], -v[80:81], v[28:29], v[2:3]
	s_waitcnt lgkmcnt(3)
	v_fma_f64 v[4:5], -v[94:95], v[132:133], v[4:5]
	v_mov_b32_e32 v11, s47
	ds_read2_b64 v[146:149], v10 offset1:1
	ds_read2_b64 v[150:153], v11 offset1:1
	v_fma_f64 v[2:3], -v[82:83], v[36:37], v[2:3]
	s_waitcnt lgkmcnt(4)
	v_fma_f64 v[4:5], -v[96:97], v[136:137], v[4:5]
	s_add_i32 s47, s46, s17
	v_fma_f64 v[2:3], -v[84:85], v[112:113], v[2:3]
	s_waitcnt lgkmcnt(3)
	v_fma_f64 v[4:5], -v[98:99], v[140:141], v[4:5]
	s_lshl_b32 s47, s47, 3
	v_fma_f64 v[2:3], -v[86:87], v[116:117], v[2:3]
	s_waitcnt lgkmcnt(2)
	v_fma_f64 v[4:5], -v[100:101], v[144:145], v[4:5]
	v_mov_b32_e32 v10, s47
	s_add_i32 s47, s46, s45
	v_fma_f64 v[2:3], -v[88:89], v[120:121], v[2:3]
	s_waitcnt lgkmcnt(1)
	v_fma_f64 v[4:5], -v[102:103], v[148:149], v[4:5]
	s_lshl_b32 s47, s47, 3
	v_fma_f64 v[2:3], -v[90:91], v[124:125], v[2:3]
	s_waitcnt lgkmcnt(0)
	v_fma_f64 v[4:5], -v[104:105], v[152:153], v[4:5]
	ds_read2_b64 v[152:155], v10 offset1:1
	v_mov_b32_e32 v10, s47
	s_add_i32 s47, s46, s16
	v_fma_f64 v[2:3], -v[92:93], v[128:129], v[2:3]
	s_lshl_b32 s47, s47, 3
	v_fma_f64 v[2:3], -v[94:95], v[130:131], v[2:3]
	ds_read2_b64 v[156:159], v10 offset1:1
	v_mov_b32_e32 v10, s47
	v_fma_f64 v[2:3], -v[96:97], v[134:135], v[2:3]
	ds_read2_b64 v[160:163], v10 offset1:1
	s_add_i32 s47, s37, 0xffffe740
	v_fma_f64 v[2:3], -v[98:99], v[138:139], v[2:3]
	v_mov_b32_e32 v10, s47
	v_fma_f64 v[2:3], -v[100:101], v[142:143], v[2:3]
	ds_read_b64 v[10:11], v10
	v_fma_f64 v[2:3], -v[102:103], v[146:147], v[2:3]
	s_waitcnt lgkmcnt(3)
	v_fma_f64 v[4:5], -v[106:107], v[154:155], v[4:5]
	v_fma_f64 v[2:3], -v[104:105], v[150:151], v[2:3]
	s_waitcnt lgkmcnt(2)
	v_fma_f64 v[4:5], -v[108:109], v[158:159], v[4:5]
	v_fma_f64 v[2:3], -v[106:107], v[152:153], v[2:3]
	s_waitcnt lgkmcnt(1)
	v_mul_f64 v[110:111], v[162:163], v[4:5]
	v_fma_f64 v[2:3], -v[108:109], v[156:157], v[2:3]
	s_sub_i32 s47, s30, 26
	v_fma_f64 v[2:3], -v[110:111], v[160:161], v[2:3]
	s_lshl_b32 s46, s46, 5
	s_add_i32 s48, s47, s33
	s_waitcnt lgkmcnt(0)
	v_mul_f64 v[112:113], v[10:11], v[2:3]
	v_or_b32_e32 v2, s46, v0
	s_lshl_b32 s48, s48, 3
	v_lshlrev_b32_e32 v18, 3, v2
	v_mov_b32_e32 v2, s48
	s_add_i32 s48, s47, s34
	s_lshl_b32 s48, s48, 3
	v_mov_b32_e32 v6, s48
	s_add_i32 s48, s47, s29
	s_lshl_b32 s48, s48, 3
	ds_write_b64 v47, v[110:111] offset:8192
	v_mov_b32_e32 v10, s48
	s_add_i32 s48, s47, s35
	ds_read2_b64 v[2:5], v2 offset1:1
	ds_read2_b64 v[6:9], v6 offset1:1
	s_lshl_b32 s48, s48, 3
	v_mov_b32_e32 v14, s48
	ds_read2_b64 v[10:13], v10 offset1:1
	ds_read2_b64 v[14:17], v14 offset1:1
	s_add_i32 s48, s47, s28
	s_waitcnt lgkmcnt(3)
	v_fma_f64 v[4:5], -v[66:67], v[4:5], v[32:33]
	s_lshl_b32 s48, s48, 3
	s_waitcnt lgkmcnt(2)
	v_fma_f64 v[4:5], -v[68:69], v[8:9], v[4:5]
	v_mov_b32_e32 v8, s48
	s_add_i32 s48, s47, s36
	s_waitcnt lgkmcnt(1)
	v_fma_f64 v[4:5], -v[70:71], v[12:13], v[4:5]
	s_lshl_b32 s48, s48, 3
	ds_write_b64 v18, v[112:113] offset:8192
	s_waitcnt lgkmcnt(1)
	v_fma_f64 v[4:5], -v[72:73], v[16:17], v[4:5]
	ds_read2_b64 v[16:19], v8 offset1:1
	v_mov_b32_e32 v8, s48
	s_add_i32 s48, s47, s27
	s_lshl_b32 s48, s48, 3
	ds_read2_b64 v[20:23], v8 offset1:1
	v_mov_b32_e32 v8, s48
	s_add_i32 s48, s47, s38
	s_lshl_b32 s48, s48, 3
	v_mov_b32_e32 v9, s48
	s_add_i32 s48, s47, s26
	s_lshl_b32 s48, s48, 3
	ds_read2_b64 v[24:27], v8 offset1:1
	ds_read2_b64 v[28:31], v9 offset1:1
	v_mov_b32_e32 v8, s48
	s_add_i32 s48, s47, s39
	s_lshl_b32 s48, s48, 3
	v_mov_b32_e32 v9, s48
	s_add_i32 s48, s47, s25
	s_lshl_b32 s48, s48, 3
	ds_read2_b64 v[32:35], v8 offset1:1
	ds_read2_b64 v[36:39], v9 offset1:1
	v_mov_b32_e32 v8, s48
	s_add_i32 s48, s47, s40
	s_lshl_b32 s48, s48, 3
	ds_read2_b64 v[116:119], v8 offset1:1
	v_mov_b32_e32 v8, s48
	s_add_i32 s48, s47, s21
	s_lshl_b32 s48, s48, 3
	s_waitcnt lgkmcnt(6)
	v_fma_f64 v[4:5], -v[74:75], v[18:19], v[4:5]
	ds_read2_b64 v[120:123], v8 offset1:1
	v_mov_b32_e32 v8, s48
	s_add_i32 s48, s47, s41
	s_waitcnt lgkmcnt(6)
	v_fma_f64 v[4:5], -v[76:77], v[22:23], v[4:5]
	s_lshl_b32 s48, s48, 3
	s_waitcnt lgkmcnt(5)
	v_fma_f64 v[4:5], -v[78:79], v[26:27], v[4:5]
	v_mov_b32_e32 v9, s48
	s_add_i32 s48, s47, s20
	s_waitcnt lgkmcnt(4)
	v_fma_f64 v[4:5], -v[80:81], v[30:31], v[4:5]
	s_lshl_b32 s48, s48, 3
	s_waitcnt lgkmcnt(3)
	v_fma_f64 v[4:5], -v[82:83], v[34:35], v[4:5]
	ds_read2_b64 v[124:127], v8 offset1:1
	ds_read2_b64 v[128:131], v9 offset1:1
	v_mov_b32_e32 v8, s48
	s_add_i32 s48, s47, s42
	s_waitcnt lgkmcnt(4)
	v_fma_f64 v[4:5], -v[84:85], v[38:39], v[4:5]
	s_lshl_b32 s48, s48, 3
	s_waitcnt lgkmcnt(3)
	v_fma_f64 v[4:5], -v[86:87], v[118:119], v[4:5]
	v_mov_b32_e32 v9, s48
	ds_read2_b64 v[132:135], v8 offset1:1
	ds_read2_b64 v[136:139], v9 offset1:1
	s_waitcnt lgkmcnt(4)
	v_fma_f64 v[4:5], -v[88:89], v[122:123], v[4:5]
	s_add_i32 s48, s47, s19
	s_waitcnt lgkmcnt(3)
	v_fma_f64 v[4:5], -v[90:91], v[126:127], v[4:5]
	s_lshl_b32 s48, s48, 3
	s_waitcnt lgkmcnt(2)
	v_fma_f64 v[4:5], -v[92:93], v[130:131], v[4:5]
	v_mov_b32_e32 v8, s48
	s_add_i32 s48, s47, s43
	v_fma_f64 v[2:3], -v[66:67], v[2:3], v[42:43]
	s_waitcnt lgkmcnt(1)
	v_fma_f64 v[4:5], -v[94:95], v[134:135], v[4:5]
	s_lshl_b32 s48, s48, 3
	v_fma_f64 v[2:3], -v[68:69], v[6:7], v[2:3]
	s_waitcnt lgkmcnt(0)
	v_fma_f64 v[4:5], -v[96:97], v[138:139], v[4:5]
	ds_read2_b64 v[138:141], v8 offset1:1
	v_mov_b32_e32 v8, s48
	s_add_i32 s48, s47, s18
	v_fma_f64 v[2:3], -v[70:71], v[10:11], v[2:3]
	s_lshl_b32 s48, s48, 3
	v_fma_f64 v[2:3], -v[72:73], v[14:15], v[2:3]
	ds_read2_b64 v[142:145], v8 offset1:1
	v_mov_b32_e32 v8, s48
	s_add_i32 s48, s47, s44
	v_fma_f64 v[2:3], -v[74:75], v[16:17], v[2:3]
	s_lshl_b32 s48, s48, 3
	v_fma_f64 v[2:3], -v[76:77], v[20:21], v[2:3]
	v_mov_b32_e32 v9, s48
	s_add_i32 s48, s47, s17
	v_fma_f64 v[2:3], -v[78:79], v[24:25], v[2:3]
	s_lshl_b32 s48, s48, 3
	v_fma_f64 v[2:3], -v[80:81], v[28:29], v[2:3]
	ds_read2_b64 v[146:149], v8 offset1:1
	ds_read2_b64 v[150:153], v9 offset1:1
	v_mov_b32_e32 v8, s48
	s_add_i32 s48, s47, s45
	v_fma_f64 v[2:3], -v[82:83], v[32:33], v[2:3]
	s_lshl_b32 s48, s48, 3
	v_fma_f64 v[2:3], -v[84:85], v[36:37], v[2:3]
	s_waitcnt lgkmcnt(3)
	v_fma_f64 v[4:5], -v[98:99], v[140:141], v[4:5]
	v_mov_b32_e32 v9, s48
	ds_read2_b64 v[154:157], v8 offset1:1
	ds_read2_b64 v[158:161], v9 offset1:1
	v_fma_f64 v[2:3], -v[86:87], v[116:117], v[2:3]
	s_waitcnt lgkmcnt(4)
	v_fma_f64 v[4:5], -v[100:101], v[144:145], v[4:5]
	s_add_i32 s48, s47, s16
	v_fma_f64 v[2:3], -v[88:89], v[120:121], v[2:3]
	s_waitcnt lgkmcnt(3)
	v_fma_f64 v[4:5], -v[102:103], v[148:149], v[4:5]
	s_lshl_b32 s48, s48, 3
	v_fma_f64 v[2:3], -v[90:91], v[124:125], v[2:3]
	s_waitcnt lgkmcnt(2)
	v_fma_f64 v[4:5], -v[104:105], v[152:153], v[4:5]
	v_mov_b32_e32 v8, s48
	s_add_i32 s48, s47, s46
	v_fma_f64 v[2:3], -v[92:93], v[128:129], v[2:3]
	s_waitcnt lgkmcnt(1)
	v_fma_f64 v[4:5], -v[106:107], v[156:157], v[4:5]
	s_lshl_b32 s48, s48, 3
	v_fma_f64 v[2:3], -v[94:95], v[132:133], v[2:3]
	s_waitcnt lgkmcnt(0)
	v_fma_f64 v[4:5], -v[108:109], v[160:161], v[4:5]
	ds_read2_b64 v[160:163], v8 offset1:1
	v_mov_b32_e32 v8, s48
	s_add_i32 s48, s47, s13
	v_fma_f64 v[2:3], -v[96:97], v[136:137], v[2:3]
	s_lshl_b32 s48, s48, 3
	v_fma_f64 v[2:3], -v[98:99], v[138:139], v[2:3]
	ds_read2_b64 v[164:167], v8 offset1:1
	v_mov_b32_e32 v8, s48
	v_fma_f64 v[2:3], -v[100:101], v[142:143], v[2:3]
	ds_read2_b64 v[168:171], v8 offset1:1
	s_add_i32 s48, s37, 0xffffe530
	v_fma_f64 v[2:3], -v[102:103], v[146:147], v[2:3]
	v_mov_b32_e32 v8, s48
	v_fma_f64 v[2:3], -v[104:105], v[150:151], v[2:3]
	ds_read_b64 v[8:9], v8
	v_fma_f64 v[2:3], -v[106:107], v[154:155], v[2:3]
	s_waitcnt lgkmcnt(3)
	v_fma_f64 v[4:5], -v[110:111], v[162:163], v[4:5]
	v_fma_f64 v[2:3], -v[108:109], v[158:159], v[2:3]
	s_waitcnt lgkmcnt(2)
	v_fma_f64 v[4:5], -v[112:113], v[166:167], v[4:5]
	v_fma_f64 v[2:3], -v[110:111], v[160:161], v[2:3]
	s_waitcnt lgkmcnt(1)
	v_mul_f64 v[114:115], v[170:171], v[4:5]
	v_fma_f64 v[2:3], -v[112:113], v[164:165], v[2:3]
	v_fma_f64 v[2:3], -v[114:115], v[168:169], v[2:3]
	s_lshl_b32 s47, s47, 5
	s_sub_i32 s48, s30, 28
	s_waitcnt lgkmcnt(0)
	v_mul_f64 v[116:117], v[8:9], v[2:3]
	v_or_b32_e32 v2, s47, v0
	s_add_i32 s49, s48, s33
	v_lshlrev_b32_e32 v2, 3, v2
	s_lshl_b32 s49, s49, 3
	ds_write_b64 v2, v[116:117] offset:8192
	v_mov_b32_e32 v2, s49
	s_add_i32 s49, s48, s34
	s_lshl_b32 s49, s49, 3
	v_mov_b32_e32 v6, s49
	s_add_i32 s49, s48, s29
	s_lshl_b32 s49, s49, 3
	v_mov_b32_e32 v10, s49
	s_add_i32 s49, s48, s35
	s_lshl_b32 s49, s49, 3
	ds_read2_b64 v[2:5], v2 offset1:1
	ds_read2_b64 v[6:9], v6 offset1:1
	v_mov_b32_e32 v14, s49
	s_add_i32 s49, s48, s28
	s_lshl_b32 s49, s49, 3
	ds_write_b64 v46, v[114:115] offset:8192
	v_mov_b32_e32 v18, s49
	s_add_i32 s49, s48, s36
	ds_read2_b64 v[10:13], v10 offset1:1
	ds_read2_b64 v[14:17], v14 offset1:1
	s_lshl_b32 s49, s49, 3
	v_mov_b32_e32 v22, s49
	s_waitcnt lgkmcnt(4)
	v_fma_f64 v[4:5], -v[66:67], v[4:5], v[40:41]
	ds_read2_b64 v[18:21], v18 offset1:1
	ds_read2_b64 v[22:25], v22 offset1:1
	s_waitcnt lgkmcnt(5)
	v_fma_f64 v[4:5], -v[68:69], v[8:9], v[4:5]
	s_add_i32 s49, s48, s27
	s_waitcnt lgkmcnt(3)
	v_fma_f64 v[4:5], -v[70:71], v[12:13], v[4:5]
	s_lshl_b32 s49, s49, 3
	s_waitcnt lgkmcnt(2)
	v_fma_f64 v[4:5], -v[72:73], v[16:17], v[4:5]
	v_mov_b32_e32 v8, s49
	s_add_i32 s49, s48, s38
	s_waitcnt lgkmcnt(1)
	v_fma_f64 v[4:5], -v[74:75], v[20:21], v[4:5]
	s_lshl_b32 s49, s49, 3
	s_waitcnt lgkmcnt(0)
	v_fma_f64 v[4:5], -v[76:77], v[24:25], v[4:5]
	ds_read2_b64 v[24:27], v8 offset1:1
	v_mov_b32_e32 v8, s49
	s_add_i32 s49, s48, s26
	s_lshl_b32 s49, s49, 3
	ds_read2_b64 v[28:31], v8 offset1:1
	v_mov_b32_e32 v8, s49
	s_add_i32 s49, s48, s39
	s_lshl_b32 s49, s49, 3
	v_mov_b32_e32 v9, s49
	s_add_i32 s49, s48, s25
	s_lshl_b32 s49, s49, 3
	ds_read2_b64 v[32:35], v8 offset1:1
	ds_read2_b64 v[36:39], v9 offset1:1
	v_mov_b32_e32 v8, s49
	s_add_i32 s49, s48, s40
	s_lshl_b32 s49, s49, 3
	v_mov_b32_e32 v9, s49
	s_add_i32 s49, s48, s21
	s_lshl_b32 s49, s49, 3
	ds_read2_b64 v[40:43], v8 offset1:1
	ds_read2_b64 v[44:47], v9 offset1:1
	v_mov_b32_e32 v8, s49
	s_add_i32 s49, s48, s41
	s_lshl_b32 s49, s49, 3
	ds_read2_b64 v[120:123], v8 offset1:1
	v_mov_b32_e32 v8, s49
	s_add_i32 s49, s48, s20
	s_lshl_b32 s49, s49, 3
	s_waitcnt lgkmcnt(6)
	v_fma_f64 v[4:5], -v[78:79], v[26:27], v[4:5]
	ds_read2_b64 v[124:127], v8 offset1:1
	v_mov_b32_e32 v8, s49
	s_add_i32 s49, s48, s42
	s_waitcnt lgkmcnt(6)
	v_fma_f64 v[4:5], -v[80:81], v[30:31], v[4:5]
	s_lshl_b32 s49, s49, 3
	s_waitcnt lgkmcnt(5)
	v_fma_f64 v[4:5], -v[82:83], v[34:35], v[4:5]
	v_mov_b32_e32 v9, s49
	s_add_i32 s49, s48, s19
	s_waitcnt lgkmcnt(4)
	v_fma_f64 v[4:5], -v[84:85], v[38:39], v[4:5]
	s_lshl_b32 s49, s49, 3
	s_waitcnt lgkmcnt(3)
	v_fma_f64 v[4:5], -v[86:87], v[42:43], v[4:5]
	ds_read2_b64 v[128:131], v8 offset1:1
	ds_read2_b64 v[132:135], v9 offset1:1
	v_mov_b32_e32 v8, s49
	s_add_i32 s49, s48, s43
	s_waitcnt lgkmcnt(4)
	v_fma_f64 v[4:5], -v[88:89], v[46:47], v[4:5]
	s_lshl_b32 s49, s49, 3
	s_waitcnt lgkmcnt(3)
	v_fma_f64 v[4:5], -v[90:91], v[122:123], v[4:5]
	v_mov_b32_e32 v9, s49
	ds_read2_b64 v[136:139], v8 offset1:1
	ds_read2_b64 v[140:143], v9 offset1:1
	s_waitcnt lgkmcnt(4)
	v_fma_f64 v[4:5], -v[92:93], v[126:127], v[4:5]
	s_add_i32 s49, s48, s18
	v_fma_f64 v[2:3], -v[66:67], v[2:3], v[50:51]
	s_waitcnt lgkmcnt(3)
	v_fma_f64 v[4:5], -v[94:95], v[130:131], v[4:5]
	s_lshl_b32 s49, s49, 3
	v_fma_f64 v[2:3], -v[68:69], v[6:7], v[2:3]
	s_waitcnt lgkmcnt(2)
	v_fma_f64 v[4:5], -v[96:97], v[134:135], v[4:5]
	v_mov_b32_e32 v8, s49
	s_add_i32 s49, s48, s44
	v_fma_f64 v[2:3], -v[70:71], v[10:11], v[2:3]
	s_waitcnt lgkmcnt(1)
	v_fma_f64 v[4:5], -v[98:99], v[138:139], v[4:5]
	s_lshl_b32 s49, s49, 3
	v_fma_f64 v[2:3], -v[72:73], v[14:15], v[2:3]
	s_waitcnt lgkmcnt(0)
	v_fma_f64 v[4:5], -v[100:101], v[142:143], v[4:5]
	ds_read2_b64 v[142:145], v8 offset1:1
	v_mov_b32_e32 v8, s49
	s_add_i32 s49, s48, s17
	v_fma_f64 v[2:3], -v[74:75], v[18:19], v[2:3]
	s_lshl_b32 s49, s49, 3
	v_fma_f64 v[2:3], -v[76:77], v[22:23], v[2:3]
	ds_read2_b64 v[146:149], v8 offset1:1
	v_mov_b32_e32 v8, s49
	s_add_i32 s49, s48, s45
	v_fma_f64 v[2:3], -v[78:79], v[24:25], v[2:3]
	s_lshl_b32 s49, s49, 3
	v_fma_f64 v[2:3], -v[80:81], v[28:29], v[2:3]
	v_mov_b32_e32 v9, s49
	s_add_i32 s49, s48, s16
	v_fma_f64 v[2:3], -v[82:83], v[32:33], v[2:3]
	s_lshl_b32 s49, s49, 3
	v_fma_f64 v[2:3], -v[84:85], v[36:37], v[2:3]
	ds_read2_b64 v[150:153], v8 offset1:1
	ds_read2_b64 v[154:157], v9 offset1:1
	v_mov_b32_e32 v8, s49
	s_add_i32 s49, s48, s46
	v_fma_f64 v[2:3], -v[86:87], v[40:41], v[2:3]
	s_lshl_b32 s49, s49, 3
	v_fma_f64 v[2:3], -v[88:89], v[44:45], v[2:3]
	s_waitcnt lgkmcnt(3)
	v_fma_f64 v[4:5], -v[102:103], v[144:145], v[4:5]
	v_mov_b32_e32 v9, s49
	ds_read2_b64 v[158:161], v8 offset1:1
	ds_read2_b64 v[162:165], v9 offset1:1
	v_fma_f64 v[2:3], -v[90:91], v[120:121], v[2:3]
	s_waitcnt lgkmcnt(4)
	v_fma_f64 v[4:5], -v[104:105], v[148:149], v[4:5]
	s_add_i32 s49, s48, s13
	v_fma_f64 v[2:3], -v[92:93], v[124:125], v[2:3]
	s_waitcnt lgkmcnt(3)
	v_fma_f64 v[4:5], -v[106:107], v[152:153], v[4:5]
	s_lshl_b32 s49, s49, 3
	v_fma_f64 v[2:3], -v[94:95], v[128:129], v[2:3]
	s_waitcnt lgkmcnt(2)
	v_fma_f64 v[4:5], -v[108:109], v[156:157], v[4:5]
	v_mov_b32_e32 v8, s49
	s_add_i32 s49, s48, s47
	v_fma_f64 v[2:3], -v[96:97], v[132:133], v[2:3]
	s_waitcnt lgkmcnt(1)
	v_fma_f64 v[4:5], -v[110:111], v[160:161], v[4:5]
	s_lshl_b32 s49, s49, 3
	v_fma_f64 v[2:3], -v[98:99], v[136:137], v[2:3]
	s_waitcnt lgkmcnt(0)
	v_fma_f64 v[4:5], -v[112:113], v[164:165], v[4:5]
	ds_read2_b64 v[164:167], v8 offset1:1
	v_mov_b32_e32 v8, s49
	s_add_i32 s49, s48, s12
	v_fma_f64 v[2:3], -v[100:101], v[140:141], v[2:3]
	s_lshl_b32 s49, s49, 3
	v_fma_f64 v[2:3], -v[102:103], v[142:143], v[2:3]
	ds_read2_b64 v[168:171], v8 offset1:1
	v_mov_b32_e32 v8, s49
	v_fma_f64 v[2:3], -v[104:105], v[146:147], v[2:3]
	ds_read2_b64 v[172:175], v8 offset1:1
	s_add_i32 s49, s37, 0xffffe320
	v_fma_f64 v[2:3], -v[106:107], v[150:151], v[2:3]
	v_mov_b32_e32 v8, s49
	v_fma_f64 v[2:3], -v[108:109], v[154:155], v[2:3]
	ds_read_b64 v[8:9], v8
	v_fma_f64 v[2:3], -v[110:111], v[158:159], v[2:3]
	s_waitcnt lgkmcnt(3)
	v_fma_f64 v[4:5], -v[114:115], v[166:167], v[4:5]
	v_fma_f64 v[2:3], -v[112:113], v[162:163], v[2:3]
	s_waitcnt lgkmcnt(2)
	v_fma_f64 v[4:5], -v[116:117], v[170:171], v[4:5]
	v_fma_f64 v[2:3], -v[114:115], v[164:165], v[2:3]
	s_sub_i32 s49, s30, 30
	s_waitcnt lgkmcnt(1)
	v_mul_f64 v[118:119], v[174:175], v[4:5]
	v_fma_f64 v[2:3], -v[116:117], v[168:169], v[2:3]
	s_add_i32 s50, s49, s33
	v_fma_f64 v[2:3], -v[118:119], v[172:173], v[2:3]
	s_lshl_b32 s50, s50, 3
	s_waitcnt lgkmcnt(0)
	v_mul_f64 v[120:121], v[8:9], v[2:3]
	v_mov_b32_e32 v2, s50
	s_add_i32 s50, s49, s34
	s_lshl_b32 s50, s50, 3
	ds_write_b64 v52, v[118:119] offset:8192
	v_mov_b32_e32 v6, s50
	ds_read2_b64 v[2:5], v2 offset1:1
	ds_read2_b64 v[6:9], v6 offset1:1
	s_lshl_b32 s48, s48, 5
	s_add_i32 s50, s49, s29
	v_or_b32_e32 v10, s48, v0
	s_waitcnt lgkmcnt(1)
	v_fma_f64 v[4:5], -v[66:67], v[4:5], v[48:49]
	s_lshl_b32 s50, s50, 3
	v_lshlrev_b32_e32 v10, 3, v10
	s_waitcnt lgkmcnt(0)
	v_fma_f64 v[4:5], -v[68:69], v[8:9], v[4:5]
	v_mov_b32_e32 v8, s50
	ds_write_b64 v10, v[120:121] offset:8192
	ds_read2_b64 v[8:11], v8 offset1:1
	s_add_i32 s50, s49, s35
	s_lshl_b32 s50, s50, 3
	v_mov_b32_e32 v12, s50
	ds_read2_b64 v[12:15], v12 offset1:1
	s_add_i32 s50, s49, s28
	s_lshl_b32 s50, s50, 3
	s_waitcnt lgkmcnt(1)
	v_fma_f64 v[4:5], -v[70:71], v[10:11], v[4:5]
	v_mov_b32_e32 v10, s50
	s_add_i32 s50, s49, s36
	s_lshl_b32 s50, s50, 3
	v_mov_b32_e32 v11, s50
	s_add_i32 s50, s49, s27
	s_lshl_b32 s50, s50, 3
	ds_read2_b64 v[16:19], v10 offset1:1
	ds_read2_b64 v[20:23], v11 offset1:1
	v_mov_b32_e32 v10, s50
	s_add_i32 s50, s49, s38
	s_lshl_b32 s50, s50, 3
	v_mov_b32_e32 v11, s50
	ds_read2_b64 v[24:27], v10 offset1:1
	ds_read2_b64 v[28:31], v11 offset1:1
	s_waitcnt lgkmcnt(4)
	v_fma_f64 v[4:5], -v[72:73], v[14:15], v[4:5]
	s_add_i32 s50, s49, s26
	s_waitcnt lgkmcnt(3)
	v_fma_f64 v[4:5], -v[74:75], v[18:19], v[4:5]
	s_lshl_b32 s50, s50, 3
	s_waitcnt lgkmcnt(2)
	v_fma_f64 v[4:5], -v[76:77], v[22:23], v[4:5]
	v_mov_b32_e32 v10, s50
	s_add_i32 s50, s49, s39
	s_waitcnt lgkmcnt(1)
	v_fma_f64 v[4:5], -v[78:79], v[26:27], v[4:5]
	s_lshl_b32 s50, s50, 3
	s_waitcnt lgkmcnt(0)
	v_fma_f64 v[4:5], -v[80:81], v[30:31], v[4:5]
	ds_read2_b64 v[30:33], v10 offset1:1
	v_mov_b32_e32 v10, s50
	s_add_i32 s50, s49, s25
	s_lshl_b32 s50, s50, 3
	ds_read2_b64 v[34:37], v10 offset1:1
	v_mov_b32_e32 v10, s50
	s_add_i32 s50, s49, s40
	s_lshl_b32 s50, s50, 3
	v_mov_b32_e32 v11, s50
	s_add_i32 s50, s49, s21
	s_lshl_b32 s50, s50, 3
	ds_read2_b64 v[38:41], v10 offset1:1
	ds_read2_b64 v[42:45], v11 offset1:1
	v_mov_b32_e32 v10, s50
	s_add_i32 s50, s49, s41
	s_lshl_b32 s50, s50, 3
	s_waitcnt lgkmcnt(3)
	v_fma_f64 v[4:5], -v[82:83], v[32:33], v[4:5]
	v_mov_b32_e32 v11, s50
	ds_read2_b64 v[46:49], v10 offset1:1
	ds_read2_b64 v[50:53], v11 offset1:1
	s_waitcnt lgkmcnt(4)
	v_fma_f64 v[4:5], -v[84:85], v[36:37], v[4:5]
	s_add_i32 s50, s49, s20
	s_waitcnt lgkmcnt(3)
	v_fma_f64 v[4:5], -v[86:87], v[40:41], v[4:5]
	s_lshl_b32 s50, s50, 3
	s_waitcnt lgkmcnt(2)
	v_fma_f64 v[4:5], -v[88:89], v[44:45], v[4:5]
	v_mov_b32_e32 v10, s50
	s_add_i32 s50, s49, s42
	s_waitcnt lgkmcnt(1)
	v_fma_f64 v[4:5], -v[90:91], v[48:49], v[4:5]
	s_lshl_b32 s50, s50, 3
	s_waitcnt lgkmcnt(0)
	v_fma_f64 v[4:5], -v[92:93], v[52:53], v[4:5]
	ds_read2_b64 v[52:55], v10 offset1:1
	v_mov_b32_e32 v10, s50
	s_add_i32 s50, s49, s19
	s_lshl_b32 s50, s50, 3
	ds_read2_b64 v[124:127], v10 offset1:1
	v_mov_b32_e32 v10, s50
	s_add_i32 s50, s49, s43
	s_lshl_b32 s50, s50, 3
	v_mov_b32_e32 v11, s50
	s_add_i32 s50, s49, s18
	s_lshl_b32 s50, s50, 3
	ds_read2_b64 v[128:131], v10 offset1:1
	ds_read2_b64 v[132:135], v11 offset1:1
	v_mov_b32_e32 v10, s50
	s_add_i32 s50, s49, s44
	s_lshl_b32 s50, s50, 3
	v_fma_f64 v[2:3], -v[66:67], v[2:3], v[58:59]
	s_waitcnt lgkmcnt(3)
	v_fma_f64 v[4:5], -v[94:95], v[54:55], v[4:5]
	v_mov_b32_e32 v11, s50
	ds_read2_b64 v[136:139], v10 offset1:1
	ds_read2_b64 v[140:143], v11 offset1:1
	v_fma_f64 v[2:3], -v[68:69], v[6:7], v[2:3]
	s_waitcnt lgkmcnt(4)
	v_fma_f64 v[4:5], -v[96:97], v[126:127], v[4:5]
	s_add_i32 s50, s49, s17
	v_fma_f64 v[2:3], -v[70:71], v[8:9], v[2:3]
	s_waitcnt lgkmcnt(3)
	v_fma_f64 v[4:5], -v[98:99], v[130:131], v[4:5]
	s_lshl_b32 s50, s50, 3
	v_fma_f64 v[2:3], -v[72:73], v[12:13], v[2:3]
	s_waitcnt lgkmcnt(2)
	v_fma_f64 v[4:5], -v[100:101], v[134:135], v[4:5]
	v_mov_b32_e32 v10, s50
	s_add_i32 s50, s49, s45
	v_fma_f64 v[2:3], -v[74:75], v[16:17], v[2:3]
	s_waitcnt lgkmcnt(1)
	v_fma_f64 v[4:5], -v[102:103], v[138:139], v[4:5]
	s_lshl_b32 s50, s50, 3
	v_fma_f64 v[2:3], -v[76:77], v[20:21], v[2:3]
	s_waitcnt lgkmcnt(0)
	v_fma_f64 v[4:5], -v[104:105], v[142:143], v[4:5]
	ds_read2_b64 v[142:145], v10 offset1:1
	v_mov_b32_e32 v10, s50
	s_add_i32 s50, s49, s16
	v_fma_f64 v[2:3], -v[78:79], v[24:25], v[2:3]
	s_lshl_b32 s50, s50, 3
	v_fma_f64 v[2:3], -v[80:81], v[28:29], v[2:3]
	ds_read2_b64 v[146:149], v10 offset1:1
	v_mov_b32_e32 v10, s50
	s_add_i32 s50, s49, s46
	v_fma_f64 v[2:3], -v[82:83], v[30:31], v[2:3]
	s_lshl_b32 s50, s50, 3
	v_fma_f64 v[2:3], -v[84:85], v[34:35], v[2:3]
	v_mov_b32_e32 v11, s50
	s_add_i32 s50, s49, s13
	v_fma_f64 v[2:3], -v[86:87], v[38:39], v[2:3]
	s_lshl_b32 s50, s50, 3
	v_fma_f64 v[2:3], -v[88:89], v[42:43], v[2:3]
	ds_read2_b64 v[150:153], v10 offset1:1
	ds_read2_b64 v[154:157], v11 offset1:1
	v_mov_b32_e32 v10, s50
	s_add_i32 s50, s49, s47
	v_fma_f64 v[2:3], -v[90:91], v[46:47], v[2:3]
	s_lshl_b32 s50, s50, 3
	v_fma_f64 v[2:3], -v[92:93], v[50:51], v[2:3]
	s_waitcnt lgkmcnt(3)
	v_fma_f64 v[4:5], -v[106:107], v[144:145], v[4:5]
	v_mov_b32_e32 v11, s50
	ds_read2_b64 v[158:161], v10 offset1:1
	ds_read2_b64 v[162:165], v11 offset1:1
	v_fma_f64 v[2:3], -v[94:95], v[52:53], v[2:3]
	s_waitcnt lgkmcnt(4)
	v_fma_f64 v[4:5], -v[108:109], v[148:149], v[4:5]
	s_add_i32 s50, s49, s12
	v_fma_f64 v[2:3], -v[96:97], v[124:125], v[2:3]
	s_waitcnt lgkmcnt(3)
	v_fma_f64 v[4:5], -v[110:111], v[152:153], v[4:5]
	s_lshl_b32 s50, s50, 3
	v_fma_f64 v[2:3], -v[98:99], v[128:129], v[2:3]
	s_waitcnt lgkmcnt(2)
	v_fma_f64 v[4:5], -v[112:113], v[156:157], v[4:5]
	v_mov_b32_e32 v10, s50
	s_add_i32 s50, s49, s48
	v_fma_f64 v[2:3], -v[100:101], v[132:133], v[2:3]
	s_waitcnt lgkmcnt(1)
	v_fma_f64 v[4:5], -v[114:115], v[160:161], v[4:5]
	s_lshl_b32 s50, s50, 3
	v_fma_f64 v[2:3], -v[102:103], v[136:137], v[2:3]
	s_waitcnt lgkmcnt(0)
	v_fma_f64 v[4:5], -v[116:117], v[164:165], v[4:5]
	ds_read2_b64 v[164:167], v10 offset1:1
	v_mov_b32_e32 v10, s50
	s_add_i32 s50, s49, s9
	v_fma_f64 v[2:3], -v[104:105], v[140:141], v[2:3]
	s_lshl_b32 s50, s50, 3
	v_fma_f64 v[2:3], -v[106:107], v[142:143], v[2:3]
	ds_read2_b64 v[168:171], v10 offset1:1
	v_mov_b32_e32 v10, s50
	v_fma_f64 v[2:3], -v[108:109], v[146:147], v[2:3]
	ds_read2_b64 v[172:175], v10 offset1:1
	s_add_i32 s50, s37, 0xffffe110
	v_fma_f64 v[2:3], -v[110:111], v[150:151], v[2:3]
	v_mov_b32_e32 v10, s50
	v_fma_f64 v[2:3], -v[112:113], v[154:155], v[2:3]
	ds_read_b64 v[10:11], v10
	v_fma_f64 v[2:3], -v[114:115], v[158:159], v[2:3]
	s_waitcnt lgkmcnt(3)
	v_fma_f64 v[4:5], -v[118:119], v[166:167], v[4:5]
	v_fma_f64 v[2:3], -v[116:117], v[162:163], v[2:3]
	s_waitcnt lgkmcnt(2)
	v_fma_f64 v[4:5], -v[120:121], v[170:171], v[4:5]
	v_fma_f64 v[2:3], -v[118:119], v[164:165], v[2:3]
	s_waitcnt lgkmcnt(1)
	v_mul_f64 v[122:123], v[174:175], v[4:5]
	v_fma_f64 v[2:3], -v[120:121], v[168:169], v[2:3]
	s_lshl_b32 s50, s49, 5
	s_sub_i32 s49, s30, 32
	v_fma_f64 v[2:3], -v[122:123], v[172:173], v[2:3]
	s_add_i32 s33, s49, s33
	s_waitcnt lgkmcnt(0)
	v_mul_f64 v[124:125], v[10:11], v[2:3]
	v_or_b32_e32 v2, s50, v0
	s_lshl_b32 s33, s33, 3
	v_lshlrev_b32_e32 v18, 3, v2
	v_mov_b32_e32 v2, s33
	s_add_i32 s33, s49, s34
	s_add_i32 s29, s49, s29
	s_lshl_b32 s33, s33, 3
	s_lshl_b32 s29, s29, 3
	ds_write_b64 v60, v[122:123] offset:8192
	v_mov_b32_e32 v6, s33
	v_mov_b32_e32 v10, s29
	s_add_i32 s29, s49, s35
	ds_read2_b64 v[2:5], v2 offset1:1
	ds_read2_b64 v[6:9], v6 offset1:1
	s_lshl_b32 s29, s29, 3
	v_mov_b32_e32 v14, s29
	ds_read2_b64 v[10:13], v10 offset1:1
	ds_read2_b64 v[14:17], v14 offset1:1
	s_add_i32 s28, s49, s28
	s_waitcnt lgkmcnt(3)
	v_fma_f64 v[4:5], -v[66:67], v[4:5], v[56:57]
	s_lshl_b32 s28, s28, 3
	s_waitcnt lgkmcnt(2)
	v_fma_f64 v[4:5], -v[68:69], v[8:9], v[4:5]
	v_mov_b32_e32 v8, s28
	s_add_i32 s28, s49, s36
	s_waitcnt lgkmcnt(1)
	v_fma_f64 v[4:5], -v[70:71], v[12:13], v[4:5]
	s_lshl_b32 s28, s28, 3
	s_add_i32 s27, s49, s27
	ds_write_b64 v18, v[124:125] offset:8192
	s_waitcnt lgkmcnt(1)
	v_fma_f64 v[4:5], -v[72:73], v[16:17], v[4:5]
	ds_read2_b64 v[16:19], v8 offset1:1
	v_mov_b32_e32 v8, s28
	s_lshl_b32 s27, s27, 3
	ds_read2_b64 v[20:23], v8 offset1:1
	v_mov_b32_e32 v8, s27
	s_add_i32 s27, s49, s38
	s_add_i32 s26, s49, s26
	s_lshl_b32 s27, s27, 3
	s_lshl_b32 s26, s26, 3
	v_mov_b32_e32 v9, s27
	ds_read2_b64 v[24:27], v8 offset1:1
	ds_read2_b64 v[28:31], v9 offset1:1
	v_mov_b32_e32 v8, s26
	s_add_i32 s26, s49, s39
	s_lshl_b32 s26, s26, 3
	s_waitcnt lgkmcnt(3)
	v_fma_f64 v[4:5], -v[74:75], v[18:19], v[4:5]
	v_mov_b32_e32 v9, s26
	ds_read2_b64 v[32:35], v8 offset1:1
	ds_read2_b64 v[36:39], v9 offset1:1
	s_waitcnt lgkmcnt(4)
	v_fma_f64 v[4:5], -v[76:77], v[22:23], v[4:5]
	s_add_i32 s25, s49, s25
	s_waitcnt lgkmcnt(3)
	v_fma_f64 v[4:5], -v[78:79], v[26:27], v[4:5]
	s_lshl_b32 s25, s25, 3
	s_waitcnt lgkmcnt(2)
	v_fma_f64 v[4:5], -v[80:81], v[30:31], v[4:5]
	v_mov_b32_e32 v8, s25
	s_add_i32 s25, s49, s40
	s_waitcnt lgkmcnt(1)
	v_fma_f64 v[4:5], -v[82:83], v[34:35], v[4:5]
	s_lshl_b32 s25, s25, 3
	s_add_i32 s21, s49, s21
	s_waitcnt lgkmcnt(0)
	v_fma_f64 v[4:5], -v[84:85], v[38:39], v[4:5]
	ds_read2_b64 v[38:41], v8 offset1:1
	v_mov_b32_e32 v8, s25
	s_lshl_b32 s21, s21, 3
	ds_read2_b64 v[42:45], v8 offset1:1
	v_mov_b32_e32 v8, s21
	s_add_i32 s21, s49, s41
	s_add_i32 s20, s49, s20
	s_lshl_b32 s21, s21, 3
	s_lshl_b32 s20, s20, 3
	v_mov_b32_e32 v9, s21
	ds_read2_b64 v[46:49], v8 offset1:1
	ds_read2_b64 v[50:53], v9 offset1:1
	v_mov_b32_e32 v8, s20
	s_add_i32 s20, s49, s42
	s_lshl_b32 s20, s20, 3
	s_waitcnt lgkmcnt(3)
	v_fma_f64 v[4:5], -v[86:87], v[40:41], v[4:5]
	v_mov_b32_e32 v9, s20
	ds_read2_b64 v[54:57], v8 offset1:1
	ds_read2_b64 v[58:61], v9 offset1:1
	s_waitcnt lgkmcnt(4)
	v_fma_f64 v[4:5], -v[88:89], v[44:45], v[4:5]
	s_add_i32 s19, s49, s19
	s_waitcnt lgkmcnt(3)
	v_fma_f64 v[4:5], -v[90:91], v[48:49], v[4:5]
	s_lshl_b32 s19, s19, 3
	s_waitcnt lgkmcnt(2)
	v_fma_f64 v[4:5], -v[92:93], v[52:53], v[4:5]
	v_mov_b32_e32 v8, s19
	s_add_i32 s19, s49, s43
	v_fma_f64 v[2:3], -v[66:67], v[2:3], v[64:65]
	s_waitcnt lgkmcnt(1)
	v_fma_f64 v[4:5], -v[94:95], v[56:57], v[4:5]
	s_lshl_b32 s19, s19, 3
	s_add_i32 s18, s49, s18
	v_fma_f64 v[2:3], -v[68:69], v[6:7], v[2:3]
	s_waitcnt lgkmcnt(0)
	v_fma_f64 v[4:5], -v[96:97], v[60:61], v[4:5]
	ds_read2_b64 v[60:63], v8 offset1:1
	v_mov_b32_e32 v8, s19
	s_lshl_b32 s18, s18, 3
	v_fma_f64 v[2:3], -v[70:71], v[10:11], v[2:3]
	ds_read2_b64 v[126:129], v8 offset1:1
	v_mov_b32_e32 v8, s18
	s_add_i32 s18, s49, s44
	s_add_i32 s17, s49, s17
	v_fma_f64 v[2:3], -v[72:73], v[14:15], v[2:3]
	s_lshl_b32 s18, s18, 3
	s_lshl_b32 s17, s17, 3
	v_fma_f64 v[2:3], -v[74:75], v[16:17], v[2:3]
	v_mov_b32_e32 v9, s18
	ds_read2_b64 v[130:133], v8 offset1:1
	ds_read2_b64 v[134:137], v9 offset1:1
	v_mov_b32_e32 v8, s17
	s_add_i32 s17, s49, s45
	v_fma_f64 v[2:3], -v[76:77], v[20:21], v[2:3]
	s_lshl_b32 s17, s17, 3
	v_fma_f64 v[2:3], -v[78:79], v[24:25], v[2:3]
	s_waitcnt lgkmcnt(3)
	v_fma_f64 v[4:5], -v[98:99], v[62:63], v[4:5]
	v_mov_b32_e32 v9, s17
	ds_read2_b64 v[138:141], v8 offset1:1
	ds_read2_b64 v[142:145], v9 offset1:1
	v_fma_f64 v[2:3], -v[80:81], v[28:29], v[2:3]
	s_waitcnt lgkmcnt(4)
	v_fma_f64 v[4:5], -v[100:101], v[128:129], v[4:5]
	s_add_i32 s16, s49, s16
	v_fma_f64 v[2:3], -v[82:83], v[32:33], v[2:3]
	s_waitcnt lgkmcnt(3)
	v_fma_f64 v[4:5], -v[102:103], v[132:133], v[4:5]
	s_lshl_b32 s16, s16, 3
	v_fma_f64 v[2:3], -v[84:85], v[36:37], v[2:3]
	s_waitcnt lgkmcnt(2)
	v_fma_f64 v[4:5], -v[104:105], v[136:137], v[4:5]
	v_mov_b32_e32 v8, s16
	s_add_i32 s16, s49, s46
	v_fma_f64 v[2:3], -v[86:87], v[38:39], v[2:3]
	s_waitcnt lgkmcnt(1)
	v_fma_f64 v[4:5], -v[106:107], v[140:141], v[4:5]
	s_lshl_b32 s16, s16, 3
	s_add_i32 s13, s49, s13
	v_fma_f64 v[2:3], -v[88:89], v[42:43], v[2:3]
	s_waitcnt lgkmcnt(0)
	v_fma_f64 v[4:5], -v[108:109], v[144:145], v[4:5]
	ds_read2_b64 v[144:147], v8 offset1:1
	v_mov_b32_e32 v8, s16
	s_lshl_b32 s13, s13, 3
	v_fma_f64 v[2:3], -v[90:91], v[46:47], v[2:3]
	ds_read2_b64 v[148:151], v8 offset1:1
	v_mov_b32_e32 v8, s13
	s_add_i32 s13, s49, s47
	s_add_i32 s12, s49, s12
	v_fma_f64 v[2:3], -v[92:93], v[50:51], v[2:3]
	s_lshl_b32 s13, s13, 3
	s_lshl_b32 s12, s12, 3
	v_fma_f64 v[2:3], -v[94:95], v[54:55], v[2:3]
	v_mov_b32_e32 v9, s13
	ds_read2_b64 v[152:155], v8 offset1:1
	ds_read2_b64 v[156:159], v9 offset1:1
	v_mov_b32_e32 v8, s12
	s_add_i32 s12, s49, s48
	v_fma_f64 v[2:3], -v[96:97], v[58:59], v[2:3]
	s_lshl_b32 s12, s12, 3
	v_fma_f64 v[2:3], -v[98:99], v[60:61], v[2:3]
	s_waitcnt lgkmcnt(3)
	v_fma_f64 v[4:5], -v[110:111], v[146:147], v[4:5]
	v_mov_b32_e32 v9, s12
	ds_read2_b64 v[160:163], v8 offset1:1
	ds_read2_b64 v[164:167], v9 offset1:1
	v_fma_f64 v[2:3], -v[100:101], v[126:127], v[2:3]
	s_waitcnt lgkmcnt(4)
	v_fma_f64 v[4:5], -v[112:113], v[150:151], v[4:5]
	s_add_i32 s9, s49, s9
	v_fma_f64 v[2:3], -v[102:103], v[130:131], v[2:3]
	s_waitcnt lgkmcnt(3)
	v_fma_f64 v[4:5], -v[114:115], v[154:155], v[4:5]
	s_lshl_b32 s9, s9, 3
	v_fma_f64 v[2:3], -v[104:105], v[134:135], v[2:3]
	s_waitcnt lgkmcnt(2)
	v_fma_f64 v[4:5], -v[116:117], v[158:159], v[4:5]
	v_mov_b32_e32 v8, s9
	s_add_i32 s9, s49, s50
	v_fma_f64 v[2:3], -v[106:107], v[138:139], v[2:3]
	s_waitcnt lgkmcnt(1)
	v_fma_f64 v[4:5], -v[118:119], v[162:163], v[4:5]
	s_lshl_b32 s9, s9, 3
	s_add_i32 s8, s49, s8
	v_fma_f64 v[2:3], -v[108:109], v[142:143], v[2:3]
	s_waitcnt lgkmcnt(0)
	v_fma_f64 v[4:5], -v[120:121], v[166:167], v[4:5]
	ds_read2_b64 v[166:169], v8 offset1:1
	v_mov_b32_e32 v8, s9
	s_lshl_b32 s8, s8, 3
	v_fma_f64 v[2:3], -v[110:111], v[144:145], v[2:3]
	ds_read2_b64 v[170:173], v8 offset1:1
	v_mov_b32_e32 v8, s8
	v_fma_f64 v[2:3], -v[112:113], v[148:149], v[2:3]
	ds_read2_b64 v[174:177], v8 offset1:1
	s_add_i32 s8, s37, 0xffffdf00
	v_fma_f64 v[2:3], -v[114:115], v[152:153], v[2:3]
	v_mov_b32_e32 v8, s8
	v_fma_f64 v[2:3], -v[116:117], v[156:157], v[2:3]
	ds_read_b64 v[8:9], v8
	v_fma_f64 v[2:3], -v[118:119], v[160:161], v[2:3]
	s_waitcnt lgkmcnt(3)
	v_fma_f64 v[4:5], -v[122:123], v[168:169], v[4:5]
	v_fma_f64 v[2:3], -v[120:121], v[164:165], v[2:3]
	s_waitcnt lgkmcnt(2)
	v_fma_f64 v[4:5], -v[124:125], v[172:173], v[4:5]
	v_fma_f64 v[2:3], -v[122:123], v[166:167], v[2:3]
	s_waitcnt lgkmcnt(1)
	v_mul_f64 v[4:5], v[176:177], v[4:5]
	v_fma_f64 v[2:3], -v[124:125], v[170:171], v[2:3]
	ds_write_b64 v1, v[4:5] offset:8192
	v_fma_f64 v[2:3], -v[4:5], v[174:175], v[2:3]
	v_lshlrev_b32_e32 v1, 3, v0
	s_waitcnt lgkmcnt(1)
	v_mul_f64 v[2:3], v[8:9], v[2:3]
	v_lshl_or_b32 v1, s49, 8, v1
	s_sub_i32 s8, s30, 33
	ds_write_b64 v1, v[2:3] offset:8192
.LBB102_41:
	s_cmp_gt_i32 s8, -1
	s_cbranch_scc0 .LBB102_60
; %bb.42:
	s_cmp_lt_u32 s8, 27
	s_cbranch_scc1 .LBB102_47
; %bb.43:
	s_lshl_b32 s9, s8, 5
	v_or_b32_e32 v1, s9, v0
	v_lshlrev_b32_e32 v1, 3, v1
	v_add_u32_e32 v2, 0x1c00, v1
	ds_read2_b64 v[54:57], v2 offset0:96 offset1:128
	v_add_u32_e32 v2, 0x1800, v1
	ds_read2_b64 v[50:53], v2 offset0:160 offset1:192
	ds_read2_b64 v[46:49], v2 offset0:96 offset1:128
	ds_read2_b64 v[42:45], v2 offset0:32 offset1:64
	v_add_u32_e32 v2, 0x1400, v1
	ds_read2_b64 v[38:41], v2 offset0:96 offset1:128
	v_add_u32_e32 v2, 0x1000, v1
	ds_read2_b64 v[34:37], v2 offset0:160 offset1:192
	ds_read2_b64 v[30:33], v2 offset0:96 offset1:128
	ds_read2_b64 v[26:29], v2 offset0:32 offset1:64
	;; [unrolled: 6-line block ×3, first 2 shown]
	v_add_u32_e32 v2, 0x400, v1
	ds_read2_b64 v[6:9], v2 offset0:96 offset1:128
	ds_read2_b64 v[2:5], v1 offset0:160 offset1:192
	s_cmp_le_i32 s31, s8
	s_cbranch_scc1 .LBB102_46
; %bb.44:
	s_lshl_b32 s13, s30, 8
	s_lshl_b32 s12, s8, 3
	s_add_i32 s12, s13, s12
	v_lshl_or_b32 v58, v0, 3, s13
	s_addk_i32 s12, 0xfe28
	v_add_u32_e32 v58, 0x1f00, v58
	s_mov_b32 s13, s31
.LBB102_45:                             ; =>This Inner Loop Header: Depth=1
	v_mov_b32_e32 v59, s12
	ds_read_b64 v[116:117], v58
	ds_read2_b64 v[60:63], v59 offset0:26 offset1:27
	ds_read2_b64 v[64:67], v59 offset0:24 offset1:25
	;; [unrolled: 1-line block ×13, first 2 shown]
	ds_read2_b64 v[112:115], v59 offset1:1
	s_add_i32 s13, s13, -1
	s_addk_i32 s12, 0xff00
	v_add_u32_e32 v58, 0xffffff00, v58
	s_cmp_gt_i32 s13, s8
	s_waitcnt lgkmcnt(13)
	v_fma_f64 v[56:57], -v[116:117], v[62:63], v[56:57]
	v_fma_f64 v[54:55], -v[116:117], v[60:61], v[54:55]
	s_waitcnt lgkmcnt(12)
	v_fma_f64 v[52:53], -v[116:117], v[66:67], v[52:53]
	v_fma_f64 v[50:51], -v[116:117], v[64:65], v[50:51]
	;; [unrolled: 3-line block ×14, first 2 shown]
	s_cbranch_scc1 .LBB102_45
.LBB102_46:
	s_add_i32 s13, s8, -1
	s_add_i32 s12, s13, s9
	s_lshl_b32 s12, s12, 3
	v_mov_b32_e32 v58, s12
	s_mul_i32 s12, s8, 0x108
	ds_read2_b64 v[58:61], v58 offset1:1
	s_add_i32 s16, s12, 0xfffffef8
	v_mov_b32_e32 v62, s16
	ds_read_b64 v[62:63], v62
	v_add_u32_e32 v1, 0x2000, v1
	s_waitcnt lgkmcnt(1)
	v_mul_f64 v[56:57], v[60:61], v[56:57]
	s_lshl_b32 s13, s13, 5
	s_add_i32 s17, s8, -3
	ds_write_b64 v1, v[56:57]
	v_fma_f64 v[54:55], -v[56:57], v[58:59], v[54:55]
	v_or_b32_e32 v1, s13, v0
	s_add_i32 s16, s17, s9
	s_waitcnt lgkmcnt(1)
	v_mul_f64 v[54:55], v[62:63], v[54:55]
	v_lshlrev_b32_e32 v1, 3, v1
	s_lshl_b32 s16, s16, 3
	ds_write_b64 v1, v[54:55] offset:8192
	v_mov_b32_e32 v1, s16
	s_add_i32 s16, s17, s13
	s_lshl_b32 s16, s16, 3
	ds_read2_b64 v[60:63], v1 offset1:1
	v_mov_b32_e32 v1, s16
	s_sub_i32 s16, s9, 64
	s_add_i32 s18, s17, s16
	s_lshl_b32 s18, s18, 3
	ds_read2_b64 v[64:67], v1 offset1:1
	v_mov_b32_e32 v1, s18
	ds_read2_b64 v[68:71], v1 offset1:1
	s_add_i32 s18, s12, 0xfffffce8
	v_mov_b32_e32 v1, s18
	s_waitcnt lgkmcnt(2)
	v_fma_f64 v[52:53], -v[56:57], v[62:63], v[52:53]
	ds_read_b64 v[62:63], v1
	s_add_i32 s19, s8, -5
	s_waitcnt lgkmcnt(2)
	v_fma_f64 v[52:53], -v[54:55], v[66:67], v[52:53]
	v_or_b32_e32 v1, s16, v0
	s_add_i32 s18, s19, s9
	s_waitcnt lgkmcnt(1)
	v_mul_f64 v[58:59], v[70:71], v[52:53]
	v_lshlrev_b32_e32 v1, 3, v1
	v_fma_f64 v[50:51], -v[56:57], v[60:61], v[50:51]
	s_lshl_b32 s18, s18, 3
	ds_write_b64 v1, v[58:59] offset:8192
	v_fma_f64 v[50:51], -v[54:55], v[64:65], v[50:51]
	v_mov_b32_e32 v1, s18
	s_add_i32 s18, s19, s13
	v_fma_f64 v[50:51], -v[58:59], v[68:69], v[50:51]
	s_lshl_b32 s18, s18, 3
	s_lshl_b32 s17, s17, 5
	s_waitcnt lgkmcnt(1)
	v_mul_f64 v[60:61], v[62:63], v[50:51]
	v_mov_b32_e32 v62, s18
	ds_read2_b64 v[50:53], v1 offset1:1
	ds_read2_b64 v[64:67], v62 offset1:1
	v_or_b32_e32 v1, s17, v0
	s_add_i32 s18, s19, s16
	v_lshlrev_b32_e32 v1, 3, v1
	s_lshl_b32 s18, s18, 3
	ds_write_b64 v1, v[60:61] offset:8192
	v_mov_b32_e32 v1, s18
	s_add_i32 s18, s19, s17
	s_waitcnt lgkmcnt(2)
	v_fma_f64 v[48:49], -v[56:57], v[52:53], v[48:49]
	s_lshl_b32 s18, s18, 3
	s_waitcnt lgkmcnt(1)
	v_fma_f64 v[48:49], -v[54:55], v[66:67], v[48:49]
	ds_read2_b64 v[66:69], v1 offset1:1
	v_mov_b32_e32 v1, s18
	s_add_i32 s18, s9, 0xffffff80
	s_add_i32 s20, s19, s18
	s_lshl_b32 s20, s20, 3
	ds_read2_b64 v[70:73], v1 offset1:1
	v_mov_b32_e32 v1, s20
	ds_read2_b64 v[74:77], v1 offset1:1
	s_add_i32 s20, s12, 0xfffffad8
	s_waitcnt lgkmcnt(2)
	v_fma_f64 v[48:49], -v[58:59], v[68:69], v[48:49]
	v_mov_b32_e32 v1, s20
	s_add_i32 s21, s8, -7
	s_waitcnt lgkmcnt(1)
	v_fma_f64 v[48:49], -v[60:61], v[72:73], v[48:49]
	ds_read_b64 v[52:53], v1
	v_or_b32_e32 v1, s18, v0
	v_fma_f64 v[46:47], -v[56:57], v[50:51], v[46:47]
	s_add_i32 s20, s21, s9
	s_waitcnt lgkmcnt(1)
	v_mul_f64 v[62:63], v[76:77], v[48:49]
	v_lshlrev_b32_e32 v1, 3, v1
	v_fma_f64 v[46:47], -v[54:55], v[64:65], v[46:47]
	s_lshl_b32 s20, s20, 3
	ds_write_b64 v1, v[62:63] offset:8192
	v_fma_f64 v[46:47], -v[58:59], v[66:67], v[46:47]
	v_mov_b32_e32 v1, s20
	s_add_i32 s20, s21, s13
	v_fma_f64 v[46:47], -v[60:61], v[70:71], v[46:47]
	s_lshl_b32 s20, s20, 3
	v_fma_f64 v[46:47], -v[62:63], v[74:75], v[46:47]
	s_lshl_b32 s19, s19, 5
	v_mov_b32_e32 v50, s20
	s_waitcnt lgkmcnt(1)
	v_mul_f64 v[64:65], v[52:53], v[46:47]
	ds_read2_b64 v[46:49], v1 offset1:1
	ds_read2_b64 v[50:53], v50 offset1:1
	v_or_b32_e32 v1, s19, v0
	s_add_i32 s20, s21, s16
	v_lshlrev_b32_e32 v1, 3, v1
	s_lshl_b32 s20, s20, 3
	ds_write_b64 v1, v[64:65] offset:8192
	v_mov_b32_e32 v1, s20
	s_add_i32 s20, s21, s17
	s_lshl_b32 s20, s20, 3
	ds_read2_b64 v[68:71], v1 offset1:1
	v_mov_b32_e32 v1, s20
	s_add_i32 s20, s21, s18
	s_lshl_b32 s20, s20, 3
	ds_read2_b64 v[72:75], v1 offset1:1
	v_mov_b32_e32 v1, s20
	s_add_i32 s20, s21, s19
	s_lshl_b32 s20, s20, 3
	s_waitcnt lgkmcnt(4)
	v_fma_f64 v[44:45], -v[56:57], v[48:49], v[44:45]
	v_mov_b32_e32 v48, s20
	s_add_i32 s20, s12, 0xfffff9d0
	ds_read2_b64 v[76:79], v1 offset1:1
	ds_read2_b64 v[80:83], v48 offset1:1
	v_mov_b32_e32 v1, s20
	s_waitcnt lgkmcnt(5)
	v_fma_f64 v[44:45], -v[54:55], v[52:53], v[44:45]
	ds_read_b64 v[48:49], v1
	s_waitcnt lgkmcnt(4)
	v_fma_f64 v[44:45], -v[58:59], v[70:71], v[44:45]
	s_waitcnt lgkmcnt(3)
	v_fma_f64 v[44:45], -v[60:61], v[74:75], v[44:45]
	;; [unrolled: 2-line block ×3, first 2 shown]
	s_add_i32 s20, s9, 0xffffff40
	s_waitcnt lgkmcnt(1)
	v_fma_f64 v[44:45], -v[64:65], v[82:83], v[44:45]
	v_or_b32_e32 v1, s20, v0
	s_add_i32 s25, s21, s20
	s_waitcnt lgkmcnt(0)
	v_mul_f64 v[66:67], v[48:49], v[44:45]
	v_lshlrev_b32_e32 v1, 3, v1
	s_lshl_b32 s25, s25, 3
	ds_write_b64 v1, v[66:67] offset:8192
	v_fma_f64 v[42:43], -v[56:57], v[46:47], v[42:43]
	v_mov_b32_e32 v1, s25
	s_add_i32 s25, s12, 0xfffff8c8
	v_fma_f64 v[42:43], -v[54:55], v[50:51], v[42:43]
	ds_read_b64 v[44:45], v1
	v_mov_b32_e32 v1, s25
	v_fma_f64 v[42:43], -v[58:59], v[68:69], v[42:43]
	ds_read_b64 v[46:47], v1
	v_fma_f64 v[42:43], -v[60:61], v[72:73], v[42:43]
	v_fma_f64 v[42:43], -v[62:63], v[76:77], v[42:43]
	s_add_i32 s26, s8, -9
	v_fma_f64 v[42:43], -v[64:65], v[80:81], v[42:43]
	s_add_i32 s25, s26, s9
	s_waitcnt lgkmcnt(1)
	v_fma_f64 v[42:43], -v[66:67], v[44:45], v[42:43]
	s_lshl_b32 s25, s25, 3
	s_waitcnt lgkmcnt(0)
	v_mul_f64 v[68:69], v[46:47], v[42:43]
	v_mov_b32_e32 v42, s25
	s_add_i32 s25, s26, s13
	s_lshl_b32 s25, s25, 3
	v_mov_b32_e32 v46, s25
	s_add_i32 s25, s26, s16
	s_lshl_b32 s25, s25, 3
	ds_read2_b64 v[42:45], v42 offset1:1
	ds_read2_b64 v[46:49], v46 offset1:1
	v_mov_b32_e32 v50, s25
	s_add_i32 s25, s26, s17
	s_lshl_b32 s25, s25, 3
	s_lshl_b32 s21, s21, 5
	v_mov_b32_e32 v70, s25
	ds_read2_b64 v[50:53], v50 offset1:1
	ds_read2_b64 v[72:75], v70 offset1:1
	v_or_b32_e32 v1, s21, v0
	s_add_i32 s25, s26, s18
	v_lshlrev_b32_e32 v1, 3, v1
	s_waitcnt lgkmcnt(3)
	v_fma_f64 v[40:41], -v[56:57], v[44:45], v[40:41]
	s_lshl_b32 s25, s25, 3
	ds_write_b64 v1, v[68:69] offset:8192
	s_waitcnt lgkmcnt(3)
	v_fma_f64 v[40:41], -v[54:55], v[48:49], v[40:41]
	v_mov_b32_e32 v1, s25
	s_add_i32 s25, s26, s19
	s_waitcnt lgkmcnt(2)
	v_fma_f64 v[40:41], -v[58:59], v[52:53], v[40:41]
	s_lshl_b32 s25, s25, 3
	s_waitcnt lgkmcnt(1)
	v_fma_f64 v[40:41], -v[60:61], v[74:75], v[40:41]
	ds_read2_b64 v[74:77], v1 offset1:1
	v_mov_b32_e32 v1, s25
	s_add_i32 s25, s26, s20
	s_lshl_b32 s25, s25, 3
	ds_read2_b64 v[78:81], v1 offset1:1
	v_mov_b32_e32 v1, s25
	s_add_i32 s25, s26, s21
	s_lshl_b32 s25, s25, 3
	v_mov_b32_e32 v44, s25
	s_add_i32 s25, s12, 0xfffff7c0
	ds_read2_b64 v[82:85], v1 offset1:1
	ds_read2_b64 v[86:89], v44 offset1:1
	v_mov_b32_e32 v1, s25
	ds_read_b64 v[44:45], v1
	s_waitcnt lgkmcnt(4)
	v_fma_f64 v[40:41], -v[62:63], v[76:77], v[40:41]
	s_waitcnt lgkmcnt(3)
	v_fma_f64 v[40:41], -v[64:65], v[80:81], v[40:41]
	;; [unrolled: 2-line block ×3, first 2 shown]
	s_add_i32 s25, s9, 0xffffff00
	s_waitcnt lgkmcnt(1)
	v_fma_f64 v[40:41], -v[68:69], v[88:89], v[40:41]
	v_or_b32_e32 v1, s25, v0
	v_fma_f64 v[38:39], -v[56:57], v[42:43], v[38:39]
	s_add_i32 s27, s26, s25
	s_waitcnt lgkmcnt(0)
	v_mul_f64 v[70:71], v[44:45], v[40:41]
	v_lshlrev_b32_e32 v1, 3, v1
	v_fma_f64 v[38:39], -v[54:55], v[46:47], v[38:39]
	s_lshl_b32 s27, s27, 3
	ds_write_b64 v1, v[70:71] offset:8192
	v_fma_f64 v[38:39], -v[58:59], v[50:51], v[38:39]
	v_mov_b32_e32 v1, s27
	s_add_i32 s27, s12, 0xfffff6b8
	v_fma_f64 v[38:39], -v[60:61], v[72:73], v[38:39]
	ds_read_b64 v[40:41], v1
	v_mov_b32_e32 v1, s27
	v_fma_f64 v[38:39], -v[62:63], v[74:75], v[38:39]
	ds_read_b64 v[42:43], v1
	s_add_i32 s28, s8, -11
	v_fma_f64 v[38:39], -v[64:65], v[78:79], v[38:39]
	s_add_i32 s27, s28, s9
	v_fma_f64 v[38:39], -v[66:67], v[82:83], v[38:39]
	s_lshl_b32 s27, s27, 3
	v_fma_f64 v[38:39], -v[68:69], v[86:87], v[38:39]
	v_mov_b32_e32 v1, s27
	s_add_i32 s27, s28, s13
	s_waitcnt lgkmcnt(1)
	v_fma_f64 v[38:39], -v[70:71], v[40:41], v[38:39]
	s_lshl_b32 s27, s27, 3
	s_waitcnt lgkmcnt(0)
	v_mul_f64 v[72:73], v[42:43], v[38:39]
	v_mov_b32_e32 v42, s27
	s_lshl_b32 s26, s26, 5
	ds_read2_b64 v[38:41], v1 offset1:1
	ds_read2_b64 v[42:45], v42 offset1:1
	v_or_b32_e32 v1, s26, v0
	s_add_i32 s27, s28, s16
	v_lshlrev_b32_e32 v1, 3, v1
	s_lshl_b32 s27, s27, 3
	ds_write_b64 v1, v[72:73] offset:8192
	v_mov_b32_e32 v1, s27
	s_add_i32 s27, s28, s17
	s_waitcnt lgkmcnt(2)
	v_fma_f64 v[36:37], -v[56:57], v[40:41], v[36:37]
	s_lshl_b32 s27, s27, 3
	s_waitcnt lgkmcnt(1)
	v_fma_f64 v[36:37], -v[54:55], v[44:45], v[36:37]
	ds_read2_b64 v[44:47], v1 offset1:1
	v_mov_b32_e32 v1, s27
	s_add_i32 s27, s28, s18
	s_lshl_b32 s27, s27, 3
	ds_read2_b64 v[48:51], v1 offset1:1
	v_mov_b32_e32 v1, s27
	s_add_i32 s27, s28, s19
	s_lshl_b32 s27, s27, 3
	v_mov_b32_e32 v40, s27
	s_add_i32 s27, s28, s20
	s_lshl_b32 s27, s27, 3
	ds_read2_b64 v[76:79], v1 offset1:1
	ds_read2_b64 v[80:83], v40 offset1:1
	v_mov_b32_e32 v1, s27
	s_add_i32 s27, s28, s21
	s_lshl_b32 s27, s27, 3
	v_mov_b32_e32 v40, s27
	s_add_i32 s27, s28, s25
	s_lshl_b32 s27, s27, 3
	s_waitcnt lgkmcnt(3)
	v_fma_f64 v[36:37], -v[58:59], v[46:47], v[36:37]
	ds_read2_b64 v[84:87], v1 offset1:1
	ds_read2_b64 v[88:91], v40 offset1:1
	v_mov_b32_e32 v1, s27
	s_add_i32 s27, s28, s26
	s_waitcnt lgkmcnt(4)
	v_fma_f64 v[36:37], -v[60:61], v[50:51], v[36:37]
	s_lshl_b32 s27, s27, 3
	s_waitcnt lgkmcnt(3)
	v_fma_f64 v[36:37], -v[62:63], v[78:79], v[36:37]
	ds_read2_b64 v[50:53], v1 offset1:1
	v_mov_b32_e32 v1, s27
	s_add_i32 s27, s9, 0xfffffec0
	v_fma_f64 v[34:35], -v[56:57], v[38:39], v[34:35]
	s_waitcnt lgkmcnt(3)
	v_fma_f64 v[36:37], -v[64:65], v[82:83], v[36:37]
	s_add_i32 s29, s28, s27
	v_fma_f64 v[34:35], -v[54:55], v[42:43], v[34:35]
	s_waitcnt lgkmcnt(2)
	v_fma_f64 v[36:37], -v[66:67], v[86:87], v[36:37]
	s_lshl_b32 s29, s29, 3
	v_fma_f64 v[34:35], -v[58:59], v[44:45], v[34:35]
	s_waitcnt lgkmcnt(1)
	v_fma_f64 v[36:37], -v[68:69], v[90:91], v[36:37]
	ds_read2_b64 v[90:93], v1 offset1:1
	v_mov_b32_e32 v1, s29
	v_fma_f64 v[34:35], -v[60:61], v[48:49], v[34:35]
	ds_read2_b64 v[94:97], v1 offset1:1
	s_add_i32 s29, s12, 0xfffff4a8
	v_fma_f64 v[34:35], -v[62:63], v[76:77], v[34:35]
	v_mov_b32_e32 v1, s29
	v_fma_f64 v[34:35], -v[64:65], v[80:81], v[34:35]
	ds_read_b64 v[40:41], v1
	v_fma_f64 v[34:35], -v[66:67], v[84:85], v[34:35]
	s_waitcnt lgkmcnt(3)
	v_fma_f64 v[36:37], -v[70:71], v[52:53], v[36:37]
	v_fma_f64 v[34:35], -v[68:69], v[88:89], v[34:35]
	s_waitcnt lgkmcnt(2)
	v_fma_f64 v[36:37], -v[72:73], v[92:93], v[36:37]
	v_fma_f64 v[34:35], -v[70:71], v[50:51], v[34:35]
	s_add_i32 s33, s8, -13
	s_waitcnt lgkmcnt(1)
	v_mul_f64 v[74:75], v[96:97], v[36:37]
	v_fma_f64 v[34:35], -v[72:73], v[90:91], v[34:35]
	s_add_i32 s29, s33, s9
	v_fma_f64 v[34:35], -v[74:75], v[94:95], v[34:35]
	s_lshl_b32 s29, s29, 3
	s_waitcnt lgkmcnt(0)
	v_mul_f64 v[76:77], v[40:41], v[34:35]
	v_mov_b32_e32 v34, s29
	s_add_i32 s29, s33, s13
	s_lshl_b32 s29, s29, 3
	v_or_b32_e32 v1, s27, v0
	v_mov_b32_e32 v38, s29
	s_add_i32 s29, s33, s16
	v_lshlrev_b32_e32 v1, 3, v1
	s_lshl_b32 s29, s29, 3
	ds_write_b64 v1, v[74:75] offset:8192
	v_mov_b32_e32 v42, s29
	s_add_i32 s29, s33, s17
	ds_read2_b64 v[34:37], v34 offset1:1
	ds_read2_b64 v[38:41], v38 offset1:1
	s_lshl_b32 s29, s29, 3
	v_mov_b32_e32 v46, s29
	s_lshl_b32 s28, s28, 5
	ds_read2_b64 v[42:45], v42 offset1:1
	ds_read2_b64 v[46:49], v46 offset1:1
	v_or_b32_e32 v1, s28, v0
	s_add_i32 s29, s33, s18
	v_lshlrev_b32_e32 v1, 3, v1
	s_waitcnt lgkmcnt(3)
	v_fma_f64 v[32:33], -v[56:57], v[36:37], v[32:33]
	s_lshl_b32 s29, s29, 3
	ds_write_b64 v1, v[76:77] offset:8192
	s_waitcnt lgkmcnt(3)
	v_fma_f64 v[32:33], -v[54:55], v[40:41], v[32:33]
	v_mov_b32_e32 v1, s29
	s_add_i32 s29, s33, s19
	s_waitcnt lgkmcnt(2)
	v_fma_f64 v[32:33], -v[58:59], v[44:45], v[32:33]
	s_lshl_b32 s29, s29, 3
	s_waitcnt lgkmcnt(1)
	v_fma_f64 v[32:33], -v[60:61], v[48:49], v[32:33]
	ds_read2_b64 v[48:51], v1 offset1:1
	v_mov_b32_e32 v1, s29
	s_add_i32 s29, s33, s20
	s_lshl_b32 s29, s29, 3
	ds_read2_b64 v[80:83], v1 offset1:1
	v_mov_b32_e32 v1, s29
	s_add_i32 s29, s33, s21
	s_lshl_b32 s29, s29, 3
	v_mov_b32_e32 v36, s29
	s_add_i32 s29, s33, s25
	s_lshl_b32 s29, s29, 3
	s_waitcnt lgkmcnt(1)
	v_fma_f64 v[32:33], -v[62:63], v[50:51], v[32:33]
	ds_read2_b64 v[50:53], v1 offset1:1
	ds_read2_b64 v[84:87], v36 offset1:1
	v_mov_b32_e32 v1, s29
	s_add_i32 s29, s33, s26
	s_lshl_b32 s29, s29, 3
	v_mov_b32_e32 v36, s29
	ds_read2_b64 v[88:91], v1 offset1:1
	ds_read2_b64 v[92:95], v36 offset1:1
	s_waitcnt lgkmcnt(4)
	v_fma_f64 v[32:33], -v[64:65], v[82:83], v[32:33]
	s_add_i32 s29, s33, s27
	s_waitcnt lgkmcnt(3)
	v_fma_f64 v[32:33], -v[66:67], v[52:53], v[32:33]
	s_lshl_b32 s29, s29, 3
	s_waitcnt lgkmcnt(2)
	v_fma_f64 v[32:33], -v[68:69], v[86:87], v[32:33]
	v_mov_b32_e32 v1, s29
	s_add_i32 s29, s33, s28
	v_fma_f64 v[30:31], -v[56:57], v[34:35], v[30:31]
	s_waitcnt lgkmcnt(1)
	v_fma_f64 v[32:33], -v[70:71], v[90:91], v[32:33]
	s_lshl_b32 s29, s29, 3
	v_fma_f64 v[30:31], -v[54:55], v[38:39], v[30:31]
	s_waitcnt lgkmcnt(0)
	v_fma_f64 v[32:33], -v[72:73], v[94:95], v[32:33]
	ds_read2_b64 v[94:97], v1 offset1:1
	v_mov_b32_e32 v1, s29
	s_add_i32 s29, s9, 0xfffffe80
	v_fma_f64 v[30:31], -v[58:59], v[42:43], v[30:31]
	s_add_i32 s34, s33, s29
	v_fma_f64 v[30:31], -v[60:61], v[46:47], v[30:31]
	s_lshl_b32 s34, s34, 3
	v_fma_f64 v[30:31], -v[62:63], v[48:49], v[30:31]
	ds_read2_b64 v[98:101], v1 offset1:1
	v_mov_b32_e32 v1, s34
	v_fma_f64 v[30:31], -v[64:65], v[80:81], v[30:31]
	ds_read2_b64 v[102:105], v1 offset1:1
	s_add_i32 s34, s12, 0xfffff298
	v_fma_f64 v[30:31], -v[66:67], v[50:51], v[30:31]
	v_mov_b32_e32 v1, s34
	v_fma_f64 v[30:31], -v[68:69], v[84:85], v[30:31]
	ds_read_b64 v[36:37], v1
	v_fma_f64 v[30:31], -v[70:71], v[88:89], v[30:31]
	s_waitcnt lgkmcnt(3)
	v_fma_f64 v[32:33], -v[74:75], v[96:97], v[32:33]
	v_fma_f64 v[30:31], -v[72:73], v[92:93], v[30:31]
	s_waitcnt lgkmcnt(2)
	v_fma_f64 v[32:33], -v[76:77], v[100:101], v[32:33]
	v_or_b32_e32 v1, s29, v0
	v_fma_f64 v[30:31], -v[74:75], v[94:95], v[30:31]
	s_waitcnt lgkmcnt(1)
	v_mul_f64 v[78:79], v[104:105], v[32:33]
	v_lshlrev_b32_e32 v1, 3, v1
	v_fma_f64 v[30:31], -v[76:77], v[98:99], v[30:31]
	s_lshl_b32 s33, s33, 5
	s_add_i32 s35, s8, -15
	ds_write_b64 v1, v[78:79] offset:8192
	v_fma_f64 v[30:31], -v[78:79], v[102:103], v[30:31]
	v_or_b32_e32 v1, s33, v0
	s_add_i32 s34, s35, s9
	s_waitcnt lgkmcnt(1)
	v_mul_f64 v[80:81], v[36:37], v[30:31]
	v_lshlrev_b32_e32 v1, 3, v1
	s_lshl_b32 s34, s34, 3
	ds_write_b64 v1, v[80:81] offset:8192
	v_mov_b32_e32 v1, s34
	s_add_i32 s34, s35, s13
	ds_read2_b64 v[30:33], v1 offset1:1
	s_lshl_b32 s34, s34, 3
	v_mov_b32_e32 v1, s34
	s_add_i32 s34, s35, s16
	s_lshl_b32 s34, s34, 3
	ds_read2_b64 v[34:37], v1 offset1:1
	v_mov_b32_e32 v1, s34
	s_add_i32 s34, s35, s17
	s_lshl_b32 s34, s34, 3
	s_waitcnt lgkmcnt(1)
	v_fma_f64 v[28:29], -v[56:57], v[32:33], v[28:29]
	v_mov_b32_e32 v32, s34
	s_add_i32 s34, s35, s18
	s_lshl_b32 s34, s34, 3
	ds_read2_b64 v[38:41], v1 offset1:1
	ds_read2_b64 v[42:45], v32 offset1:1
	v_mov_b32_e32 v1, s34
	s_add_i32 s34, s35, s19
	s_lshl_b32 s34, s34, 3
	v_mov_b32_e32 v32, s34
	s_add_i32 s34, s35, s20
	s_lshl_b32 s34, s34, 3
	ds_read2_b64 v[46:49], v1 offset1:1
	ds_read2_b64 v[50:53], v32 offset1:1
	v_mov_b32_e32 v1, s34
	s_add_i32 s34, s35, s21
	s_lshl_b32 s34, s34, 3
	ds_read2_b64 v[84:87], v1 offset1:1
	v_mov_b32_e32 v1, s34
	s_add_i32 s34, s35, s25
	s_lshl_b32 s34, s34, 3
	ds_read2_b64 v[88:91], v1 offset1:1
	v_mov_b32_e32 v1, s34
	s_add_i32 s34, s35, s26
	s_waitcnt lgkmcnt(6)
	v_fma_f64 v[28:29], -v[54:55], v[36:37], v[28:29]
	s_lshl_b32 s34, s34, 3
	s_waitcnt lgkmcnt(5)
	v_fma_f64 v[28:29], -v[58:59], v[40:41], v[28:29]
	v_mov_b32_e32 v32, s34
	s_add_i32 s34, s35, s27
	s_waitcnt lgkmcnt(4)
	v_fma_f64 v[28:29], -v[60:61], v[44:45], v[28:29]
	s_lshl_b32 s34, s34, 3
	s_waitcnt lgkmcnt(3)
	v_fma_f64 v[28:29], -v[62:63], v[48:49], v[28:29]
	ds_read2_b64 v[92:95], v1 offset1:1
	ds_read2_b64 v[96:99], v32 offset1:1
	v_mov_b32_e32 v1, s34
	s_add_i32 s34, s35, s28
	s_waitcnt lgkmcnt(4)
	v_fma_f64 v[28:29], -v[64:65], v[52:53], v[28:29]
	s_lshl_b32 s34, s34, 3
	s_waitcnt lgkmcnt(3)
	v_fma_f64 v[28:29], -v[66:67], v[86:87], v[28:29]
	v_mov_b32_e32 v32, s34
	ds_read2_b64 v[100:103], v1 offset1:1
	ds_read2_b64 v[104:107], v32 offset1:1
	s_waitcnt lgkmcnt(4)
	v_fma_f64 v[28:29], -v[68:69], v[90:91], v[28:29]
	s_add_i32 s34, s35, s29
	s_waitcnt lgkmcnt(3)
	v_fma_f64 v[28:29], -v[70:71], v[94:95], v[28:29]
	s_lshl_b32 s34, s34, 3
	s_waitcnt lgkmcnt(2)
	v_fma_f64 v[28:29], -v[72:73], v[98:99], v[28:29]
	v_mov_b32_e32 v1, s34
	s_add_i32 s34, s35, s33
	v_fma_f64 v[26:27], -v[56:57], v[30:31], v[26:27]
	s_waitcnt lgkmcnt(1)
	v_fma_f64 v[28:29], -v[74:75], v[102:103], v[28:29]
	s_lshl_b32 s34, s34, 3
	v_fma_f64 v[26:27], -v[54:55], v[34:35], v[26:27]
	s_waitcnt lgkmcnt(0)
	v_fma_f64 v[28:29], -v[76:77], v[106:107], v[28:29]
	ds_read2_b64 v[106:109], v1 offset1:1
	v_mov_b32_e32 v1, s34
	s_add_i32 s34, s9, 0xfffffe40
	v_fma_f64 v[26:27], -v[58:59], v[38:39], v[26:27]
	s_add_i32 s36, s35, s34
	v_fma_f64 v[26:27], -v[60:61], v[42:43], v[26:27]
	s_lshl_b32 s36, s36, 3
	v_fma_f64 v[26:27], -v[62:63], v[46:47], v[26:27]
	ds_read2_b64 v[110:113], v1 offset1:1
	v_mov_b32_e32 v1, s36
	v_fma_f64 v[26:27], -v[64:65], v[50:51], v[26:27]
	ds_read2_b64 v[114:117], v1 offset1:1
	v_fma_f64 v[26:27], -v[66:67], v[84:85], v[26:27]
	v_fma_f64 v[26:27], -v[68:69], v[88:89], v[26:27]
	s_add_i32 s36, s12, 0xfffff088
	v_fma_f64 v[26:27], -v[70:71], v[92:93], v[26:27]
	s_waitcnt lgkmcnt(2)
	v_fma_f64 v[28:29], -v[78:79], v[108:109], v[28:29]
	v_mov_b32_e32 v1, s36
	v_fma_f64 v[26:27], -v[72:73], v[96:97], v[26:27]
	s_sub_i32 s37, s8, 17
	s_waitcnt lgkmcnt(1)
	v_fma_f64 v[28:29], -v[80:81], v[112:113], v[28:29]
	ds_read_b64 v[32:33], v1
	v_or_b32_e32 v1, s34, v0
	v_fma_f64 v[26:27], -v[74:75], v[100:101], v[26:27]
	s_add_i32 s36, s37, s9
	s_waitcnt lgkmcnt(1)
	v_mul_f64 v[82:83], v[116:117], v[28:29]
	v_lshlrev_b32_e32 v1, 3, v1
	v_fma_f64 v[26:27], -v[76:77], v[104:105], v[26:27]
	s_lshl_b32 s36, s36, 3
	ds_write_b64 v1, v[82:83] offset:8192
	v_fma_f64 v[26:27], -v[78:79], v[106:107], v[26:27]
	v_mov_b32_e32 v1, s36
	s_add_i32 s36, s37, s13
	v_fma_f64 v[26:27], -v[80:81], v[110:111], v[26:27]
	s_lshl_b32 s36, s36, 3
	v_fma_f64 v[26:27], -v[82:83], v[114:115], v[26:27]
	v_mov_b32_e32 v30, s36
	s_lshl_b32 s35, s35, 5
	s_waitcnt lgkmcnt(1)
	v_mul_f64 v[84:85], v[32:33], v[26:27]
	ds_read2_b64 v[26:29], v1 offset1:1
	ds_read2_b64 v[30:33], v30 offset1:1
	v_or_b32_e32 v1, s35, v0
	s_add_i32 s36, s37, s16
	v_lshlrev_b32_e32 v1, 3, v1
	s_lshl_b32 s36, s36, 3
	ds_write_b64 v1, v[84:85] offset:8192
	v_mov_b32_e32 v1, s36
	s_add_i32 s36, s37, s17
	s_waitcnt lgkmcnt(2)
	v_fma_f64 v[24:25], -v[56:57], v[28:29], v[24:25]
	s_lshl_b32 s36, s36, 3
	s_waitcnt lgkmcnt(1)
	v_fma_f64 v[24:25], -v[54:55], v[32:33], v[24:25]
	ds_read2_b64 v[32:35], v1 offset1:1
	v_mov_b32_e32 v1, s36
	s_add_i32 s36, s37, s18
	s_lshl_b32 s36, s36, 3
	ds_read2_b64 v[36:39], v1 offset1:1
	v_mov_b32_e32 v1, s36
	s_add_i32 s36, s37, s19
	s_lshl_b32 s36, s36, 3
	v_mov_b32_e32 v28, s36
	s_add_i32 s36, s37, s20
	s_lshl_b32 s36, s36, 3
	ds_read2_b64 v[40:43], v1 offset1:1
	ds_read2_b64 v[44:47], v28 offset1:1
	v_mov_b32_e32 v1, s36
	s_add_i32 s36, s37, s21
	s_lshl_b32 s36, s36, 3
	s_waitcnt lgkmcnt(3)
	v_fma_f64 v[24:25], -v[58:59], v[34:35], v[24:25]
	v_mov_b32_e32 v28, s36
	ds_read2_b64 v[48:51], v1 offset1:1
	ds_read2_b64 v[88:91], v28 offset1:1
	s_add_i32 s36, s37, s25
	s_waitcnt lgkmcnt(4)
	v_fma_f64 v[24:25], -v[60:61], v[38:39], v[24:25]
	s_lshl_b32 s36, s36, 3
	s_waitcnt lgkmcnt(3)
	v_fma_f64 v[24:25], -v[62:63], v[42:43], v[24:25]
	v_mov_b32_e32 v1, s36
	s_add_i32 s36, s37, s26
	s_waitcnt lgkmcnt(2)
	v_fma_f64 v[24:25], -v[64:65], v[46:47], v[24:25]
	s_lshl_b32 s36, s36, 3
	s_waitcnt lgkmcnt(1)
	v_fma_f64 v[24:25], -v[66:67], v[50:51], v[24:25]
	ds_read2_b64 v[50:53], v1 offset1:1
	v_mov_b32_e32 v1, s36
	s_add_i32 s36, s37, s27
	s_lshl_b32 s36, s36, 3
	s_waitcnt lgkmcnt(1)
	v_fma_f64 v[24:25], -v[68:69], v[90:91], v[24:25]
	ds_read2_b64 v[90:93], v1 offset1:1
	v_mov_b32_e32 v1, s36
	s_add_i32 s36, s37, s28
	s_lshl_b32 s36, s36, 3
	v_mov_b32_e32 v28, s36
	s_add_i32 s36, s37, s29
	s_lshl_b32 s36, s36, 3
	ds_read2_b64 v[94:97], v1 offset1:1
	ds_read2_b64 v[98:101], v28 offset1:1
	v_mov_b32_e32 v1, s36
	s_add_i32 s36, s37, s33
	s_lshl_b32 s36, s36, 3
	v_fma_f64 v[22:23], -v[56:57], v[26:27], v[22:23]
	s_waitcnt lgkmcnt(3)
	v_fma_f64 v[24:25], -v[70:71], v[52:53], v[24:25]
	v_mov_b32_e32 v28, s36
	ds_read2_b64 v[102:105], v1 offset1:1
	ds_read2_b64 v[106:109], v28 offset1:1
	v_fma_f64 v[22:23], -v[54:55], v[30:31], v[22:23]
	s_waitcnt lgkmcnt(4)
	v_fma_f64 v[24:25], -v[72:73], v[92:93], v[24:25]
	s_add_i32 s36, s37, s34
	v_fma_f64 v[22:23], -v[58:59], v[32:33], v[22:23]
	s_waitcnt lgkmcnt(3)
	v_fma_f64 v[24:25], -v[74:75], v[96:97], v[24:25]
	s_lshl_b32 s36, s36, 3
	v_fma_f64 v[22:23], -v[60:61], v[36:37], v[22:23]
	s_waitcnt lgkmcnt(2)
	v_fma_f64 v[24:25], -v[76:77], v[100:101], v[24:25]
	v_mov_b32_e32 v1, s36
	s_add_i32 s36, s37, s35
	v_fma_f64 v[22:23], -v[62:63], v[40:41], v[22:23]
	s_waitcnt lgkmcnt(1)
	v_fma_f64 v[24:25], -v[78:79], v[104:105], v[24:25]
	s_lshl_b32 s36, s36, 3
	v_fma_f64 v[22:23], -v[64:65], v[44:45], v[22:23]
	s_waitcnt lgkmcnt(0)
	v_fma_f64 v[24:25], -v[80:81], v[108:109], v[24:25]
	ds_read2_b64 v[108:111], v1 offset1:1
	v_mov_b32_e32 v1, s36
	s_add_i32 s36, s9, 0xfffffe00
	v_fma_f64 v[22:23], -v[66:67], v[48:49], v[22:23]
	s_add_i32 s38, s37, s36
	v_fma_f64 v[22:23], -v[68:69], v[88:89], v[22:23]
	s_lshl_b32 s38, s38, 3
	v_fma_f64 v[22:23], -v[70:71], v[50:51], v[22:23]
	ds_read2_b64 v[112:115], v1 offset1:1
	v_mov_b32_e32 v1, s38
	v_fma_f64 v[22:23], -v[72:73], v[90:91], v[22:23]
	ds_read2_b64 v[116:119], v1 offset1:1
	s_add_i32 s38, s12, 0xffffee78
	v_fma_f64 v[22:23], -v[74:75], v[94:95], v[22:23]
	v_mov_b32_e32 v1, s38
	v_fma_f64 v[22:23], -v[76:77], v[98:99], v[22:23]
	ds_read_b64 v[28:29], v1
	v_fma_f64 v[22:23], -v[78:79], v[102:103], v[22:23]
	s_waitcnt lgkmcnt(3)
	v_fma_f64 v[24:25], -v[82:83], v[110:111], v[24:25]
	v_fma_f64 v[22:23], -v[80:81], v[106:107], v[22:23]
	s_waitcnt lgkmcnt(2)
	v_fma_f64 v[24:25], -v[84:85], v[114:115], v[24:25]
	v_fma_f64 v[22:23], -v[82:83], v[108:109], v[22:23]
	s_sub_i32 s39, s8, 19
	s_waitcnt lgkmcnt(1)
	v_mul_f64 v[86:87], v[118:119], v[24:25]
	v_fma_f64 v[22:23], -v[84:85], v[112:113], v[22:23]
	s_add_i32 s38, s39, s9
	v_fma_f64 v[22:23], -v[86:87], v[116:117], v[22:23]
	s_lshl_b32 s38, s38, 3
	s_waitcnt lgkmcnt(0)
	v_mul_f64 v[88:89], v[28:29], v[22:23]
	v_mov_b32_e32 v22, s38
	s_add_i32 s38, s39, s13
	s_lshl_b32 s38, s38, 3
	v_or_b32_e32 v1, s36, v0
	v_mov_b32_e32 v26, s38
	s_add_i32 s38, s39, s16
	v_lshlrev_b32_e32 v1, 3, v1
	s_lshl_b32 s38, s38, 3
	ds_write_b64 v1, v[86:87] offset:8192
	v_mov_b32_e32 v30, s38
	s_add_i32 s38, s39, s17
	ds_read2_b64 v[22:25], v22 offset1:1
	ds_read2_b64 v[26:29], v26 offset1:1
	s_lshl_b32 s38, s38, 3
	v_mov_b32_e32 v34, s38
	s_lshl_b32 s37, s37, 5
	ds_read2_b64 v[30:33], v30 offset1:1
	ds_read2_b64 v[34:37], v34 offset1:1
	v_or_b32_e32 v1, s37, v0
	s_add_i32 s38, s39, s18
	v_lshlrev_b32_e32 v1, 3, v1
	s_waitcnt lgkmcnt(3)
	v_fma_f64 v[20:21], -v[56:57], v[24:25], v[20:21]
	s_lshl_b32 s38, s38, 3
	ds_write_b64 v1, v[88:89] offset:8192
	s_waitcnt lgkmcnt(3)
	v_fma_f64 v[20:21], -v[54:55], v[28:29], v[20:21]
	v_mov_b32_e32 v1, s38
	s_add_i32 s38, s39, s19
	s_waitcnt lgkmcnt(2)
	v_fma_f64 v[20:21], -v[58:59], v[32:33], v[20:21]
	s_lshl_b32 s38, s38, 3
	s_waitcnt lgkmcnt(1)
	v_fma_f64 v[20:21], -v[60:61], v[36:37], v[20:21]
	ds_read2_b64 v[36:39], v1 offset1:1
	v_mov_b32_e32 v1, s38
	s_add_i32 s38, s39, s20
	s_lshl_b32 s38, s38, 3
	ds_read2_b64 v[40:43], v1 offset1:1
	v_mov_b32_e32 v1, s38
	s_add_i32 s38, s39, s21
	s_lshl_b32 s38, s38, 3
	v_mov_b32_e32 v24, s38
	s_add_i32 s38, s39, s25
	s_lshl_b32 s38, s38, 3
	ds_read2_b64 v[44:47], v1 offset1:1
	ds_read2_b64 v[48:51], v24 offset1:1
	v_mov_b32_e32 v1, s38
	s_add_i32 s38, s39, s26
	s_lshl_b32 s38, s38, 3
	v_mov_b32_e32 v24, s38
	s_add_i32 s38, s39, s27
	s_waitcnt lgkmcnt(3)
	v_fma_f64 v[20:21], -v[62:63], v[38:39], v[20:21]
	ds_read2_b64 v[92:95], v1 offset1:1
	ds_read2_b64 v[96:99], v24 offset1:1
	s_lshl_b32 s38, s38, 3
	s_waitcnt lgkmcnt(4)
	v_fma_f64 v[20:21], -v[64:65], v[42:43], v[20:21]
	v_mov_b32_e32 v1, s38
	s_add_i32 s38, s39, s28
	s_waitcnt lgkmcnt(3)
	v_fma_f64 v[20:21], -v[66:67], v[46:47], v[20:21]
	s_lshl_b32 s38, s38, 3
	s_waitcnt lgkmcnt(2)
	v_fma_f64 v[20:21], -v[68:69], v[50:51], v[20:21]
	ds_read2_b64 v[50:53], v1 offset1:1
	v_mov_b32_e32 v1, s38
	s_add_i32 s38, s39, s29
	s_waitcnt lgkmcnt(2)
	v_fma_f64 v[20:21], -v[70:71], v[94:95], v[20:21]
	s_lshl_b32 s38, s38, 3
	s_waitcnt lgkmcnt(1)
	v_fma_f64 v[20:21], -v[72:73], v[98:99], v[20:21]
	ds_read2_b64 v[98:101], v1 offset1:1
	v_mov_b32_e32 v1, s38
	s_add_i32 s38, s39, s33
	s_lshl_b32 s38, s38, 3
	v_mov_b32_e32 v24, s38
	s_add_i32 s38, s39, s34
	s_lshl_b32 s38, s38, 3
	v_fma_f64 v[18:19], -v[56:57], v[22:23], v[18:19]
	ds_read2_b64 v[102:105], v1 offset1:1
	ds_read2_b64 v[106:109], v24 offset1:1
	v_mov_b32_e32 v1, s38
	s_add_i32 s38, s39, s35
	v_fma_f64 v[18:19], -v[54:55], v[26:27], v[18:19]
	s_lshl_b32 s38, s38, 3
	v_fma_f64 v[18:19], -v[58:59], v[30:31], v[18:19]
	s_waitcnt lgkmcnt(3)
	v_fma_f64 v[20:21], -v[74:75], v[52:53], v[20:21]
	v_mov_b32_e32 v24, s38
	ds_read2_b64 v[110:113], v1 offset1:1
	ds_read2_b64 v[114:117], v24 offset1:1
	v_fma_f64 v[18:19], -v[60:61], v[34:35], v[18:19]
	s_waitcnt lgkmcnt(4)
	v_fma_f64 v[20:21], -v[76:77], v[100:101], v[20:21]
	s_add_i32 s38, s39, s36
	v_fma_f64 v[18:19], -v[62:63], v[36:37], v[18:19]
	s_waitcnt lgkmcnt(3)
	v_fma_f64 v[20:21], -v[78:79], v[104:105], v[20:21]
	s_lshl_b32 s38, s38, 3
	v_fma_f64 v[18:19], -v[64:65], v[40:41], v[18:19]
	s_waitcnt lgkmcnt(2)
	v_fma_f64 v[20:21], -v[80:81], v[108:109], v[20:21]
	v_mov_b32_e32 v1, s38
	s_add_i32 s38, s39, s37
	v_fma_f64 v[18:19], -v[66:67], v[44:45], v[18:19]
	s_waitcnt lgkmcnt(1)
	v_fma_f64 v[20:21], -v[82:83], v[112:113], v[20:21]
	s_lshl_b32 s38, s38, 3
	v_fma_f64 v[18:19], -v[68:69], v[48:49], v[18:19]
	s_waitcnt lgkmcnt(0)
	v_fma_f64 v[20:21], -v[84:85], v[116:117], v[20:21]
	ds_read2_b64 v[116:119], v1 offset1:1
	v_mov_b32_e32 v1, s38
	s_add_i32 s38, s9, 0xfffffdc0
	v_fma_f64 v[18:19], -v[70:71], v[92:93], v[18:19]
	s_add_i32 s40, s39, s38
	v_fma_f64 v[18:19], -v[72:73], v[96:97], v[18:19]
	s_lshl_b32 s40, s40, 3
	v_fma_f64 v[18:19], -v[74:75], v[50:51], v[18:19]
	ds_read2_b64 v[120:123], v1 offset1:1
	v_mov_b32_e32 v1, s40
	v_fma_f64 v[18:19], -v[76:77], v[98:99], v[18:19]
	ds_read2_b64 v[124:127], v1 offset1:1
	s_add_i32 s40, s12, 0xffffec68
	v_fma_f64 v[18:19], -v[78:79], v[102:103], v[18:19]
	v_mov_b32_e32 v1, s40
	v_fma_f64 v[18:19], -v[80:81], v[106:107], v[18:19]
	ds_read_b64 v[24:25], v1
	v_fma_f64 v[18:19], -v[82:83], v[110:111], v[18:19]
	s_waitcnt lgkmcnt(3)
	v_fma_f64 v[20:21], -v[86:87], v[118:119], v[20:21]
	v_fma_f64 v[18:19], -v[84:85], v[114:115], v[18:19]
	s_waitcnt lgkmcnt(2)
	v_fma_f64 v[20:21], -v[88:89], v[122:123], v[20:21]
	v_or_b32_e32 v1, s38, v0
	v_fma_f64 v[18:19], -v[86:87], v[116:117], v[18:19]
	s_waitcnt lgkmcnt(1)
	v_mul_f64 v[90:91], v[126:127], v[20:21]
	v_lshlrev_b32_e32 v1, 3, v1
	v_fma_f64 v[18:19], -v[88:89], v[120:121], v[18:19]
	s_lshl_b32 s39, s39, 5
	s_sub_i32 s41, s8, 21
	ds_write_b64 v1, v[90:91] offset:8192
	v_fma_f64 v[18:19], -v[90:91], v[124:125], v[18:19]
	v_or_b32_e32 v1, s39, v0
	s_add_i32 s40, s41, s9
	s_waitcnt lgkmcnt(1)
	v_mul_f64 v[92:93], v[24:25], v[18:19]
	v_lshlrev_b32_e32 v1, 3, v1
	s_lshl_b32 s40, s40, 3
	ds_write_b64 v1, v[92:93] offset:8192
	v_mov_b32_e32 v1, s40
	s_add_i32 s40, s41, s13
	ds_read2_b64 v[18:21], v1 offset1:1
	s_lshl_b32 s40, s40, 3
	v_mov_b32_e32 v1, s40
	s_add_i32 s40, s41, s16
	s_lshl_b32 s40, s40, 3
	ds_read2_b64 v[22:25], v1 offset1:1
	v_mov_b32_e32 v1, s40
	s_add_i32 s40, s41, s17
	s_lshl_b32 s40, s40, 3
	s_waitcnt lgkmcnt(1)
	v_fma_f64 v[16:17], -v[56:57], v[20:21], v[16:17]
	v_mov_b32_e32 v20, s40
	s_add_i32 s40, s41, s18
	s_lshl_b32 s40, s40, 3
	ds_read2_b64 v[26:29], v1 offset1:1
	ds_read2_b64 v[30:33], v20 offset1:1
	v_mov_b32_e32 v1, s40
	s_add_i32 s40, s41, s19
	s_lshl_b32 s40, s40, 3
	v_mov_b32_e32 v20, s40
	ds_read2_b64 v[34:37], v1 offset1:1
	ds_read2_b64 v[38:41], v20 offset1:1
	s_waitcnt lgkmcnt(4)
	v_fma_f64 v[16:17], -v[54:55], v[24:25], v[16:17]
	s_add_i32 s40, s41, s20
	s_waitcnt lgkmcnt(3)
	v_fma_f64 v[16:17], -v[58:59], v[28:29], v[16:17]
	s_lshl_b32 s40, s40, 3
	s_waitcnt lgkmcnt(2)
	v_fma_f64 v[16:17], -v[60:61], v[32:33], v[16:17]
	v_mov_b32_e32 v1, s40
	s_add_i32 s40, s41, s21
	s_waitcnt lgkmcnt(1)
	v_fma_f64 v[16:17], -v[62:63], v[36:37], v[16:17]
	s_lshl_b32 s40, s40, 3
	s_waitcnt lgkmcnt(0)
	v_fma_f64 v[16:17], -v[64:65], v[40:41], v[16:17]
	ds_read2_b64 v[40:43], v1 offset1:1
	v_mov_b32_e32 v1, s40
	s_add_i32 s40, s41, s25
	s_lshl_b32 s40, s40, 3
	ds_read2_b64 v[44:47], v1 offset1:1
	v_mov_b32_e32 v1, s40
	s_add_i32 s40, s41, s26
	s_lshl_b32 s40, s40, 3
	v_mov_b32_e32 v20, s40
	s_add_i32 s40, s41, s27
	s_lshl_b32 s40, s40, 3
	ds_read2_b64 v[48:51], v1 offset1:1
	ds_read2_b64 v[96:99], v20 offset1:1
	v_mov_b32_e32 v1, s40
	s_add_i32 s40, s41, s28
	s_lshl_b32 s40, s40, 3
	v_mov_b32_e32 v20, s40
	s_add_i32 s40, s41, s29
	s_waitcnt lgkmcnt(3)
	v_fma_f64 v[16:17], -v[66:67], v[42:43], v[16:17]
	ds_read2_b64 v[100:103], v1 offset1:1
	ds_read2_b64 v[104:107], v20 offset1:1
	s_lshl_b32 s40, s40, 3
	s_waitcnt lgkmcnt(4)
	v_fma_f64 v[16:17], -v[68:69], v[46:47], v[16:17]
	v_mov_b32_e32 v1, s40
	s_add_i32 s40, s41, s33
	s_waitcnt lgkmcnt(3)
	v_fma_f64 v[16:17], -v[70:71], v[50:51], v[16:17]
	s_lshl_b32 s40, s40, 3
	s_waitcnt lgkmcnt(2)
	v_fma_f64 v[16:17], -v[72:73], v[98:99], v[16:17]
	ds_read2_b64 v[50:53], v1 offset1:1
	v_mov_b32_e32 v1, s40
	s_add_i32 s40, s41, s34
	s_waitcnt lgkmcnt(2)
	v_fma_f64 v[16:17], -v[74:75], v[102:103], v[16:17]
	s_lshl_b32 s40, s40, 3
	s_waitcnt lgkmcnt(1)
	v_fma_f64 v[16:17], -v[76:77], v[106:107], v[16:17]
	ds_read2_b64 v[106:109], v1 offset1:1
	v_mov_b32_e32 v1, s40
	s_add_i32 s40, s41, s35
	s_lshl_b32 s40, s40, 3
	v_mov_b32_e32 v20, s40
	s_add_i32 s40, s41, s36
	s_lshl_b32 s40, s40, 3
	v_fma_f64 v[14:15], -v[56:57], v[18:19], v[14:15]
	ds_read2_b64 v[110:113], v1 offset1:1
	ds_read2_b64 v[114:117], v20 offset1:1
	v_mov_b32_e32 v1, s40
	s_add_i32 s40, s41, s37
	v_fma_f64 v[14:15], -v[54:55], v[22:23], v[14:15]
	s_lshl_b32 s40, s40, 3
	v_fma_f64 v[14:15], -v[58:59], v[26:27], v[14:15]
	s_waitcnt lgkmcnt(3)
	v_fma_f64 v[16:17], -v[78:79], v[52:53], v[16:17]
	v_mov_b32_e32 v20, s40
	ds_read2_b64 v[118:121], v1 offset1:1
	ds_read2_b64 v[122:125], v20 offset1:1
	v_fma_f64 v[14:15], -v[60:61], v[30:31], v[14:15]
	s_waitcnt lgkmcnt(4)
	v_fma_f64 v[16:17], -v[80:81], v[108:109], v[16:17]
	s_add_i32 s40, s41, s38
	v_fma_f64 v[14:15], -v[62:63], v[34:35], v[14:15]
	s_waitcnt lgkmcnt(3)
	v_fma_f64 v[16:17], -v[82:83], v[112:113], v[16:17]
	s_lshl_b32 s40, s40, 3
	v_fma_f64 v[14:15], -v[64:65], v[38:39], v[14:15]
	s_waitcnt lgkmcnt(2)
	v_fma_f64 v[16:17], -v[84:85], v[116:117], v[16:17]
	v_mov_b32_e32 v1, s40
	s_add_i32 s40, s41, s39
	v_fma_f64 v[14:15], -v[66:67], v[40:41], v[14:15]
	s_waitcnt lgkmcnt(1)
	v_fma_f64 v[16:17], -v[86:87], v[120:121], v[16:17]
	s_lshl_b32 s40, s40, 3
	v_fma_f64 v[14:15], -v[68:69], v[44:45], v[14:15]
	s_waitcnt lgkmcnt(0)
	v_fma_f64 v[16:17], -v[88:89], v[124:125], v[16:17]
	ds_read2_b64 v[124:127], v1 offset1:1
	v_mov_b32_e32 v1, s40
	s_add_i32 s40, s9, 0xfffffd80
	v_fma_f64 v[14:15], -v[70:71], v[48:49], v[14:15]
	s_add_i32 s42, s41, s40
	v_fma_f64 v[14:15], -v[72:73], v[96:97], v[14:15]
	s_lshl_b32 s42, s42, 3
	v_fma_f64 v[14:15], -v[74:75], v[100:101], v[14:15]
	ds_read2_b64 v[128:131], v1 offset1:1
	v_mov_b32_e32 v1, s42
	v_fma_f64 v[14:15], -v[76:77], v[104:105], v[14:15]
	ds_read2_b64 v[132:135], v1 offset1:1
	v_fma_f64 v[14:15], -v[78:79], v[50:51], v[14:15]
	v_fma_f64 v[14:15], -v[80:81], v[106:107], v[14:15]
	s_add_i32 s42, s12, 0xffffea58
	v_fma_f64 v[14:15], -v[82:83], v[110:111], v[14:15]
	s_waitcnt lgkmcnt(2)
	v_fma_f64 v[16:17], -v[90:91], v[126:127], v[16:17]
	v_mov_b32_e32 v1, s42
	v_fma_f64 v[14:15], -v[84:85], v[114:115], v[14:15]
	s_sub_i32 s43, s8, 23
	s_waitcnt lgkmcnt(1)
	v_fma_f64 v[16:17], -v[92:93], v[130:131], v[16:17]
	ds_read_b64 v[20:21], v1
	v_or_b32_e32 v1, s40, v0
	v_fma_f64 v[14:15], -v[86:87], v[118:119], v[14:15]
	s_add_i32 s42, s43, s9
	s_waitcnt lgkmcnt(1)
	v_mul_f64 v[94:95], v[134:135], v[16:17]
	v_lshlrev_b32_e32 v1, 3, v1
	v_fma_f64 v[14:15], -v[88:89], v[122:123], v[14:15]
	s_lshl_b32 s42, s42, 3
	ds_write_b64 v1, v[94:95] offset:8192
	v_fma_f64 v[14:15], -v[90:91], v[124:125], v[14:15]
	v_mov_b32_e32 v1, s42
	s_add_i32 s42, s43, s13
	v_fma_f64 v[14:15], -v[92:93], v[128:129], v[14:15]
	s_lshl_b32 s42, s42, 3
	v_fma_f64 v[14:15], -v[94:95], v[132:133], v[14:15]
	v_mov_b32_e32 v18, s42
	s_lshl_b32 s41, s41, 5
	s_waitcnt lgkmcnt(1)
	v_mul_f64 v[96:97], v[20:21], v[14:15]
	ds_read2_b64 v[14:17], v1 offset1:1
	ds_read2_b64 v[18:21], v18 offset1:1
	v_or_b32_e32 v1, s41, v0
	s_add_i32 s42, s43, s16
	v_lshlrev_b32_e32 v1, 3, v1
	s_lshl_b32 s42, s42, 3
	ds_write_b64 v1, v[96:97] offset:8192
	v_mov_b32_e32 v1, s42
	s_add_i32 s42, s43, s17
	s_waitcnt lgkmcnt(2)
	v_fma_f64 v[12:13], -v[56:57], v[16:17], v[12:13]
	s_lshl_b32 s42, s42, 3
	s_waitcnt lgkmcnt(1)
	v_fma_f64 v[12:13], -v[54:55], v[20:21], v[12:13]
	ds_read2_b64 v[20:23], v1 offset1:1
	v_mov_b32_e32 v1, s42
	s_add_i32 s42, s43, s18
	s_lshl_b32 s42, s42, 3
	ds_read2_b64 v[24:27], v1 offset1:1
	v_mov_b32_e32 v1, s42
	s_add_i32 s42, s43, s19
	s_lshl_b32 s42, s42, 3
	v_mov_b32_e32 v16, s42
	s_add_i32 s42, s43, s20
	s_lshl_b32 s42, s42, 3
	ds_read2_b64 v[28:31], v1 offset1:1
	ds_read2_b64 v[32:35], v16 offset1:1
	v_mov_b32_e32 v1, s42
	s_add_i32 s42, s43, s21
	s_lshl_b32 s42, s42, 3
	s_waitcnt lgkmcnt(3)
	v_fma_f64 v[12:13], -v[58:59], v[22:23], v[12:13]
	v_mov_b32_e32 v16, s42
	ds_read2_b64 v[36:39], v1 offset1:1
	ds_read2_b64 v[40:43], v16 offset1:1
	s_waitcnt lgkmcnt(4)
	v_fma_f64 v[12:13], -v[60:61], v[26:27], v[12:13]
	s_add_i32 s42, s43, s25
	s_waitcnt lgkmcnt(3)
	v_fma_f64 v[12:13], -v[62:63], v[30:31], v[12:13]
	s_lshl_b32 s42, s42, 3
	s_waitcnt lgkmcnt(2)
	v_fma_f64 v[12:13], -v[64:65], v[34:35], v[12:13]
	v_mov_b32_e32 v1, s42
	s_add_i32 s42, s43, s26
	s_waitcnt lgkmcnt(1)
	v_fma_f64 v[12:13], -v[66:67], v[38:39], v[12:13]
	s_lshl_b32 s42, s42, 3
	s_waitcnt lgkmcnt(0)
	v_fma_f64 v[12:13], -v[68:69], v[42:43], v[12:13]
	ds_read2_b64 v[42:45], v1 offset1:1
	v_mov_b32_e32 v1, s42
	s_add_i32 s42, s43, s27
	s_lshl_b32 s42, s42, 3
	ds_read2_b64 v[46:49], v1 offset1:1
	v_mov_b32_e32 v1, s42
	s_add_i32 s42, s43, s28
	s_lshl_b32 s42, s42, 3
	v_mov_b32_e32 v16, s42
	s_add_i32 s42, s43, s29
	s_lshl_b32 s42, s42, 3
	ds_read2_b64 v[50:53], v1 offset1:1
	ds_read2_b64 v[100:103], v16 offset1:1
	v_mov_b32_e32 v1, s42
	s_add_i32 s42, s43, s33
	s_lshl_b32 s42, s42, 3
	s_waitcnt lgkmcnt(3)
	v_fma_f64 v[12:13], -v[70:71], v[44:45], v[12:13]
	v_mov_b32_e32 v16, s42
	ds_read2_b64 v[104:107], v1 offset1:1
	ds_read2_b64 v[108:111], v16 offset1:1
	s_waitcnt lgkmcnt(4)
	v_fma_f64 v[12:13], -v[72:73], v[48:49], v[12:13]
	s_add_i32 s42, s43, s34
	s_waitcnt lgkmcnt(3)
	v_fma_f64 v[12:13], -v[74:75], v[52:53], v[12:13]
	s_lshl_b32 s42, s42, 3
	s_waitcnt lgkmcnt(2)
	v_fma_f64 v[12:13], -v[76:77], v[102:103], v[12:13]
	v_mov_b32_e32 v1, s42
	s_add_i32 s42, s43, s35
	s_waitcnt lgkmcnt(1)
	v_fma_f64 v[12:13], -v[78:79], v[106:107], v[12:13]
	s_lshl_b32 s42, s42, 3
	s_waitcnt lgkmcnt(0)
	v_fma_f64 v[12:13], -v[80:81], v[110:111], v[12:13]
	ds_read2_b64 v[110:113], v1 offset1:1
	v_mov_b32_e32 v1, s42
	s_add_i32 s42, s43, s36
	s_lshl_b32 s42, s42, 3
	v_fma_f64 v[10:11], -v[56:57], v[14:15], v[10:11]
	ds_read2_b64 v[114:117], v1 offset1:1
	v_mov_b32_e32 v1, s42
	s_add_i32 s42, s43, s37
	v_fma_f64 v[10:11], -v[54:55], v[18:19], v[10:11]
	s_lshl_b32 s42, s42, 3
	v_fma_f64 v[10:11], -v[58:59], v[20:21], v[10:11]
	v_mov_b32_e32 v16, s42
	s_add_i32 s42, s43, s38
	v_fma_f64 v[10:11], -v[60:61], v[24:25], v[10:11]
	s_lshl_b32 s42, s42, 3
	v_fma_f64 v[10:11], -v[62:63], v[28:29], v[10:11]
	ds_read2_b64 v[118:121], v1 offset1:1
	ds_read2_b64 v[122:125], v16 offset1:1
	v_mov_b32_e32 v1, s42
	s_add_i32 s42, s43, s39
	v_fma_f64 v[10:11], -v[64:65], v[32:33], v[10:11]
	s_lshl_b32 s42, s42, 3
	v_fma_f64 v[10:11], -v[66:67], v[36:37], v[10:11]
	s_waitcnt lgkmcnt(3)
	v_fma_f64 v[12:13], -v[82:83], v[112:113], v[12:13]
	v_mov_b32_e32 v16, s42
	ds_read2_b64 v[126:129], v1 offset1:1
	ds_read2_b64 v[130:133], v16 offset1:1
	v_fma_f64 v[10:11], -v[68:69], v[40:41], v[10:11]
	s_waitcnt lgkmcnt(4)
	v_fma_f64 v[12:13], -v[84:85], v[116:117], v[12:13]
	s_add_i32 s42, s43, s40
	v_fma_f64 v[10:11], -v[70:71], v[42:43], v[10:11]
	s_waitcnt lgkmcnt(3)
	v_fma_f64 v[12:13], -v[86:87], v[120:121], v[12:13]
	s_lshl_b32 s42, s42, 3
	v_fma_f64 v[10:11], -v[72:73], v[46:47], v[10:11]
	s_waitcnt lgkmcnt(2)
	v_fma_f64 v[12:13], -v[88:89], v[124:125], v[12:13]
	v_mov_b32_e32 v1, s42
	s_add_i32 s42, s43, s41
	v_fma_f64 v[10:11], -v[74:75], v[50:51], v[10:11]
	s_waitcnt lgkmcnt(1)
	v_fma_f64 v[12:13], -v[90:91], v[128:129], v[12:13]
	s_lshl_b32 s42, s42, 3
	v_fma_f64 v[10:11], -v[76:77], v[100:101], v[10:11]
	s_waitcnt lgkmcnt(0)
	v_fma_f64 v[12:13], -v[92:93], v[132:133], v[12:13]
	ds_read2_b64 v[132:135], v1 offset1:1
	v_mov_b32_e32 v1, s42
	s_add_i32 s42, s9, 0xfffffd40
	v_fma_f64 v[10:11], -v[78:79], v[104:105], v[10:11]
	s_add_i32 s44, s43, s42
	v_fma_f64 v[10:11], -v[80:81], v[108:109], v[10:11]
	s_lshl_b32 s44, s44, 3
	v_fma_f64 v[10:11], -v[82:83], v[110:111], v[10:11]
	ds_read2_b64 v[136:139], v1 offset1:1
	v_mov_b32_e32 v1, s44
	v_fma_f64 v[10:11], -v[84:85], v[114:115], v[10:11]
	ds_read2_b64 v[140:143], v1 offset1:1
	s_add_i32 s44, s12, 0xffffe848
	v_fma_f64 v[10:11], -v[86:87], v[118:119], v[10:11]
	v_mov_b32_e32 v1, s44
	v_fma_f64 v[10:11], -v[88:89], v[122:123], v[10:11]
	ds_read_b64 v[16:17], v1
	v_fma_f64 v[10:11], -v[90:91], v[126:127], v[10:11]
	s_waitcnt lgkmcnt(3)
	v_fma_f64 v[12:13], -v[94:95], v[134:135], v[12:13]
	v_fma_f64 v[10:11], -v[92:93], v[130:131], v[10:11]
	s_waitcnt lgkmcnt(2)
	v_fma_f64 v[12:13], -v[96:97], v[138:139], v[12:13]
	v_fma_f64 v[10:11], -v[94:95], v[132:133], v[10:11]
	s_sub_i32 s44, s8, 25
	s_waitcnt lgkmcnt(1)
	v_mul_f64 v[98:99], v[142:143], v[12:13]
	v_fma_f64 v[10:11], -v[96:97], v[136:137], v[10:11]
	s_add_i32 s45, s44, s9
	v_fma_f64 v[10:11], -v[98:99], v[140:141], v[10:11]
	s_lshl_b32 s45, s45, 3
	s_waitcnt lgkmcnt(0)
	v_mul_f64 v[100:101], v[16:17], v[10:11]
	v_mov_b32_e32 v10, s45
	s_add_i32 s45, s44, s13
	s_lshl_b32 s45, s45, 3
	v_or_b32_e32 v1, s42, v0
	v_mov_b32_e32 v14, s45
	s_add_i32 s45, s44, s16
	v_lshlrev_b32_e32 v1, 3, v1
	s_lshl_b32 s45, s45, 3
	ds_write_b64 v1, v[98:99] offset:8192
	v_mov_b32_e32 v18, s45
	s_add_i32 s45, s44, s17
	ds_read2_b64 v[10:13], v10 offset1:1
	ds_read2_b64 v[14:17], v14 offset1:1
	s_lshl_b32 s45, s45, 3
	v_mov_b32_e32 v22, s45
	s_lshl_b32 s43, s43, 5
	ds_read2_b64 v[18:21], v18 offset1:1
	ds_read2_b64 v[22:25], v22 offset1:1
	v_or_b32_e32 v1, s43, v0
	s_add_i32 s45, s44, s18
	v_lshlrev_b32_e32 v1, 3, v1
	s_waitcnt lgkmcnt(3)
	v_fma_f64 v[8:9], -v[56:57], v[12:13], v[8:9]
	s_lshl_b32 s45, s45, 3
	ds_write_b64 v1, v[100:101] offset:8192
	s_waitcnt lgkmcnt(3)
	v_fma_f64 v[8:9], -v[54:55], v[16:17], v[8:9]
	v_mov_b32_e32 v1, s45
	s_add_i32 s45, s44, s19
	s_waitcnt lgkmcnt(2)
	v_fma_f64 v[8:9], -v[58:59], v[20:21], v[8:9]
	s_lshl_b32 s45, s45, 3
	s_waitcnt lgkmcnt(1)
	v_fma_f64 v[8:9], -v[60:61], v[24:25], v[8:9]
	ds_read2_b64 v[24:27], v1 offset1:1
	v_mov_b32_e32 v1, s45
	s_add_i32 s45, s44, s20
	s_lshl_b32 s45, s45, 3
	ds_read2_b64 v[28:31], v1 offset1:1
	v_mov_b32_e32 v1, s45
	s_add_i32 s45, s44, s21
	s_lshl_b32 s45, s45, 3
	v_mov_b32_e32 v12, s45
	s_add_i32 s45, s44, s25
	s_lshl_b32 s45, s45, 3
	ds_read2_b64 v[32:35], v1 offset1:1
	ds_read2_b64 v[36:39], v12 offset1:1
	v_mov_b32_e32 v1, s45
	s_add_i32 s45, s44, s26
	s_lshl_b32 s45, s45, 3
	s_waitcnt lgkmcnt(3)
	v_fma_f64 v[8:9], -v[62:63], v[26:27], v[8:9]
	v_mov_b32_e32 v12, s45
	ds_read2_b64 v[40:43], v1 offset1:1
	ds_read2_b64 v[44:47], v12 offset1:1
	s_waitcnt lgkmcnt(4)
	v_fma_f64 v[8:9], -v[64:65], v[30:31], v[8:9]
	s_add_i32 s45, s44, s27
	s_waitcnt lgkmcnt(3)
	v_fma_f64 v[8:9], -v[66:67], v[34:35], v[8:9]
	s_lshl_b32 s45, s45, 3
	s_waitcnt lgkmcnt(2)
	v_fma_f64 v[8:9], -v[68:69], v[38:39], v[8:9]
	v_mov_b32_e32 v1, s45
	s_add_i32 s45, s44, s28
	s_waitcnt lgkmcnt(1)
	v_fma_f64 v[8:9], -v[70:71], v[42:43], v[8:9]
	s_lshl_b32 s45, s45, 3
	s_waitcnt lgkmcnt(0)
	v_fma_f64 v[8:9], -v[72:73], v[46:47], v[8:9]
	ds_read2_b64 v[46:49], v1 offset1:1
	v_mov_b32_e32 v1, s45
	s_add_i32 s45, s44, s29
	s_lshl_b32 s45, s45, 3
	ds_read2_b64 v[50:53], v1 offset1:1
	v_mov_b32_e32 v1, s45
	s_add_i32 s45, s44, s33
	s_lshl_b32 s45, s45, 3
	v_mov_b32_e32 v12, s45
	s_add_i32 s45, s44, s34
	s_lshl_b32 s45, s45, 3
	ds_read2_b64 v[104:107], v1 offset1:1
	ds_read2_b64 v[108:111], v12 offset1:1
	v_mov_b32_e32 v1, s45
	s_add_i32 s45, s44, s35
	s_lshl_b32 s45, s45, 3
	s_waitcnt lgkmcnt(3)
	v_fma_f64 v[8:9], -v[74:75], v[48:49], v[8:9]
	v_mov_b32_e32 v12, s45
	ds_read2_b64 v[112:115], v1 offset1:1
	ds_read2_b64 v[116:119], v12 offset1:1
	s_waitcnt lgkmcnt(4)
	v_fma_f64 v[8:9], -v[76:77], v[52:53], v[8:9]
	s_add_i32 s45, s44, s36
	s_waitcnt lgkmcnt(3)
	v_fma_f64 v[8:9], -v[78:79], v[106:107], v[8:9]
	s_lshl_b32 s45, s45, 3
	s_waitcnt lgkmcnt(2)
	v_fma_f64 v[8:9], -v[80:81], v[110:111], v[8:9]
	v_mov_b32_e32 v1, s45
	s_add_i32 s45, s44, s37
	s_waitcnt lgkmcnt(1)
	v_fma_f64 v[8:9], -v[82:83], v[114:115], v[8:9]
	s_lshl_b32 s45, s45, 3
	v_fma_f64 v[6:7], -v[56:57], v[10:11], v[6:7]
	s_waitcnt lgkmcnt(0)
	v_fma_f64 v[8:9], -v[84:85], v[118:119], v[8:9]
	ds_read2_b64 v[118:121], v1 offset1:1
	v_mov_b32_e32 v1, s45
	s_add_i32 s45, s44, s38
	v_fma_f64 v[6:7], -v[54:55], v[14:15], v[6:7]
	s_lshl_b32 s45, s45, 3
	v_fma_f64 v[6:7], -v[58:59], v[18:19], v[6:7]
	ds_read2_b64 v[122:125], v1 offset1:1
	v_mov_b32_e32 v1, s45
	s_add_i32 s45, s44, s39
	v_fma_f64 v[6:7], -v[60:61], v[22:23], v[6:7]
	s_lshl_b32 s45, s45, 3
	v_fma_f64 v[6:7], -v[62:63], v[24:25], v[6:7]
	v_mov_b32_e32 v12, s45
	s_add_i32 s45, s44, s40
	v_fma_f64 v[6:7], -v[64:65], v[28:29], v[6:7]
	s_lshl_b32 s45, s45, 3
	v_fma_f64 v[6:7], -v[66:67], v[32:33], v[6:7]
	ds_read2_b64 v[126:129], v1 offset1:1
	ds_read2_b64 v[130:133], v12 offset1:1
	v_mov_b32_e32 v1, s45
	s_add_i32 s45, s44, s41
	v_fma_f64 v[6:7], -v[68:69], v[36:37], v[6:7]
	s_lshl_b32 s45, s45, 3
	v_fma_f64 v[6:7], -v[70:71], v[40:41], v[6:7]
	s_waitcnt lgkmcnt(3)
	v_fma_f64 v[8:9], -v[86:87], v[120:121], v[8:9]
	v_mov_b32_e32 v12, s45
	ds_read2_b64 v[134:137], v1 offset1:1
	ds_read2_b64 v[138:141], v12 offset1:1
	v_fma_f64 v[6:7], -v[72:73], v[44:45], v[6:7]
	s_waitcnt lgkmcnt(4)
	v_fma_f64 v[8:9], -v[88:89], v[124:125], v[8:9]
	s_add_i32 s45, s44, s42
	v_fma_f64 v[6:7], -v[74:75], v[46:47], v[6:7]
	s_waitcnt lgkmcnt(3)
	v_fma_f64 v[8:9], -v[90:91], v[128:129], v[8:9]
	s_lshl_b32 s45, s45, 3
	v_fma_f64 v[6:7], -v[76:77], v[50:51], v[6:7]
	s_waitcnt lgkmcnt(2)
	v_fma_f64 v[8:9], -v[92:93], v[132:133], v[8:9]
	v_mov_b32_e32 v1, s45
	s_add_i32 s45, s44, s43
	v_fma_f64 v[6:7], -v[78:79], v[104:105], v[6:7]
	s_waitcnt lgkmcnt(1)
	v_fma_f64 v[8:9], -v[94:95], v[136:137], v[8:9]
	s_lshl_b32 s45, s45, 3
	v_fma_f64 v[6:7], -v[80:81], v[108:109], v[6:7]
	s_waitcnt lgkmcnt(0)
	v_fma_f64 v[8:9], -v[96:97], v[140:141], v[8:9]
	ds_read2_b64 v[140:143], v1 offset1:1
	v_mov_b32_e32 v1, s45
	s_add_i32 s45, s9, 0xfffffd00
	v_fma_f64 v[6:7], -v[82:83], v[112:113], v[6:7]
	s_add_i32 s46, s44, s45
	v_fma_f64 v[6:7], -v[84:85], v[116:117], v[6:7]
	s_lshl_b32 s46, s46, 3
	v_fma_f64 v[6:7], -v[86:87], v[118:119], v[6:7]
	ds_read2_b64 v[144:147], v1 offset1:1
	v_mov_b32_e32 v1, s46
	v_fma_f64 v[6:7], -v[88:89], v[122:123], v[6:7]
	ds_read2_b64 v[148:151], v1 offset1:1
	s_add_i32 s46, s12, 0xffffe638
	v_fma_f64 v[6:7], -v[90:91], v[126:127], v[6:7]
	v_mov_b32_e32 v1, s46
	v_fma_f64 v[6:7], -v[92:93], v[130:131], v[6:7]
	ds_read_b64 v[12:13], v1
	v_fma_f64 v[6:7], -v[94:95], v[134:135], v[6:7]
	s_waitcnt lgkmcnt(3)
	v_fma_f64 v[8:9], -v[98:99], v[142:143], v[8:9]
	v_fma_f64 v[6:7], -v[96:97], v[138:139], v[6:7]
	s_waitcnt lgkmcnt(2)
	v_fma_f64 v[8:9], -v[100:101], v[146:147], v[8:9]
	v_or_b32_e32 v1, s45, v0
	v_fma_f64 v[6:7], -v[98:99], v[140:141], v[6:7]
	s_waitcnt lgkmcnt(1)
	v_mul_f64 v[102:103], v[150:151], v[8:9]
	v_lshlrev_b32_e32 v1, 3, v1
	v_fma_f64 v[6:7], -v[100:101], v[144:145], v[6:7]
	s_lshl_b32 s46, s44, 5
	s_sub_i32 s44, s8, 27
	ds_write_b64 v1, v[102:103] offset:8192
	v_fma_f64 v[6:7], -v[102:103], v[148:149], v[6:7]
	v_or_b32_e32 v1, s46, v0
	s_add_i32 s47, s44, s9
	s_waitcnt lgkmcnt(1)
	v_mul_f64 v[104:105], v[12:13], v[6:7]
	v_lshlrev_b32_e32 v1, 3, v1
	s_lshl_b32 s47, s47, 3
	ds_write_b64 v1, v[104:105] offset:8192
	v_mov_b32_e32 v1, s47
	s_add_i32 s13, s44, s13
	ds_read2_b64 v[6:9], v1 offset1:1
	s_lshl_b32 s13, s13, 3
	v_mov_b32_e32 v1, s13
	s_add_i32 s13, s44, s16
	s_lshl_b32 s13, s13, 3
	ds_read2_b64 v[10:13], v1 offset1:1
	v_mov_b32_e32 v1, s13
	s_add_i32 s13, s44, s17
	s_lshl_b32 s13, s13, 3
	s_waitcnt lgkmcnt(1)
	v_fma_f64 v[4:5], -v[56:57], v[8:9], v[4:5]
	v_mov_b32_e32 v8, s13
	s_add_i32 s13, s44, s18
	s_lshl_b32 s13, s13, 3
	ds_read2_b64 v[14:17], v1 offset1:1
	ds_read2_b64 v[18:21], v8 offset1:1
	v_mov_b32_e32 v1, s13
	s_add_i32 s13, s44, s19
	s_lshl_b32 s13, s13, 3
	v_mov_b32_e32 v8, s13
	ds_read2_b64 v[22:25], v1 offset1:1
	ds_read2_b64 v[26:29], v8 offset1:1
	s_waitcnt lgkmcnt(4)
	v_fma_f64 v[4:5], -v[54:55], v[12:13], v[4:5]
	s_add_i32 s13, s44, s20
	s_waitcnt lgkmcnt(3)
	v_fma_f64 v[4:5], -v[58:59], v[16:17], v[4:5]
	s_lshl_b32 s13, s13, 3
	s_waitcnt lgkmcnt(2)
	v_fma_f64 v[4:5], -v[60:61], v[20:21], v[4:5]
	v_mov_b32_e32 v1, s13
	s_add_i32 s13, s44, s21
	s_waitcnt lgkmcnt(1)
	v_fma_f64 v[4:5], -v[62:63], v[24:25], v[4:5]
	s_lshl_b32 s13, s13, 3
	s_waitcnt lgkmcnt(0)
	v_fma_f64 v[4:5], -v[64:65], v[28:29], v[4:5]
	ds_read2_b64 v[28:31], v1 offset1:1
	v_mov_b32_e32 v1, s13
	s_add_i32 s13, s44, s25
	s_lshl_b32 s13, s13, 3
	ds_read2_b64 v[32:35], v1 offset1:1
	v_mov_b32_e32 v1, s13
	s_add_i32 s13, s44, s26
	s_lshl_b32 s13, s13, 3
	v_mov_b32_e32 v8, s13
	s_add_i32 s13, s44, s27
	s_lshl_b32 s13, s13, 3
	ds_read2_b64 v[36:39], v1 offset1:1
	ds_read2_b64 v[40:43], v8 offset1:1
	v_mov_b32_e32 v1, s13
	s_add_i32 s13, s44, s28
	s_lshl_b32 s13, s13, 3
	s_waitcnt lgkmcnt(3)
	v_fma_f64 v[4:5], -v[66:67], v[30:31], v[4:5]
	v_mov_b32_e32 v8, s13
	ds_read2_b64 v[44:47], v1 offset1:1
	ds_read2_b64 v[48:51], v8 offset1:1
	s_waitcnt lgkmcnt(4)
	v_fma_f64 v[4:5], -v[68:69], v[34:35], v[4:5]
	s_add_i32 s13, s44, s29
	s_waitcnt lgkmcnt(3)
	v_fma_f64 v[4:5], -v[70:71], v[38:39], v[4:5]
	s_lshl_b32 s13, s13, 3
	s_waitcnt lgkmcnt(2)
	v_fma_f64 v[4:5], -v[72:73], v[42:43], v[4:5]
	v_mov_b32_e32 v1, s13
	s_add_i32 s13, s44, s33
	s_waitcnt lgkmcnt(1)
	v_fma_f64 v[4:5], -v[74:75], v[46:47], v[4:5]
	s_lshl_b32 s13, s13, 3
	s_waitcnt lgkmcnt(0)
	v_fma_f64 v[4:5], -v[76:77], v[50:51], v[4:5]
	ds_read2_b64 v[50:53], v1 offset1:1
	v_mov_b32_e32 v1, s13
	s_add_i32 s13, s44, s34
	s_lshl_b32 s13, s13, 3
	ds_read2_b64 v[106:109], v1 offset1:1
	v_mov_b32_e32 v1, s13
	s_add_i32 s13, s44, s35
	s_lshl_b32 s13, s13, 3
	v_mov_b32_e32 v8, s13
	s_add_i32 s13, s44, s36
	s_lshl_b32 s13, s13, 3
	ds_read2_b64 v[110:113], v1 offset1:1
	ds_read2_b64 v[114:117], v8 offset1:1
	v_mov_b32_e32 v1, s13
	s_add_i32 s13, s44, s37
	s_lshl_b32 s13, s13, 3
	s_waitcnt lgkmcnt(3)
	v_fma_f64 v[4:5], -v[78:79], v[52:53], v[4:5]
	v_mov_b32_e32 v8, s13
	ds_read2_b64 v[118:121], v1 offset1:1
	ds_read2_b64 v[122:125], v8 offset1:1
	s_waitcnt lgkmcnt(4)
	v_fma_f64 v[4:5], -v[80:81], v[108:109], v[4:5]
	s_add_i32 s13, s44, s38
	v_fma_f64 v[2:3], -v[56:57], v[6:7], v[2:3]
	s_waitcnt lgkmcnt(3)
	v_fma_f64 v[4:5], -v[82:83], v[112:113], v[4:5]
	s_lshl_b32 s13, s13, 3
	v_fma_f64 v[2:3], -v[54:55], v[10:11], v[2:3]
	s_waitcnt lgkmcnt(2)
	v_fma_f64 v[4:5], -v[84:85], v[116:117], v[4:5]
	v_mov_b32_e32 v1, s13
	s_add_i32 s13, s44, s39
	v_fma_f64 v[2:3], -v[58:59], v[14:15], v[2:3]
	s_waitcnt lgkmcnt(1)
	v_fma_f64 v[4:5], -v[86:87], v[120:121], v[4:5]
	s_lshl_b32 s13, s13, 3
	v_fma_f64 v[2:3], -v[60:61], v[18:19], v[2:3]
	s_waitcnt lgkmcnt(0)
	v_fma_f64 v[4:5], -v[88:89], v[124:125], v[4:5]
	ds_read2_b64 v[124:127], v1 offset1:1
	v_mov_b32_e32 v1, s13
	s_add_i32 s13, s44, s40
	v_fma_f64 v[2:3], -v[62:63], v[22:23], v[2:3]
	s_lshl_b32 s13, s13, 3
	v_fma_f64 v[2:3], -v[64:65], v[26:27], v[2:3]
	ds_read2_b64 v[128:131], v1 offset1:1
	v_mov_b32_e32 v1, s13
	s_add_i32 s13, s44, s41
	v_fma_f64 v[2:3], -v[66:67], v[28:29], v[2:3]
	s_lshl_b32 s13, s13, 3
	v_fma_f64 v[2:3], -v[68:69], v[32:33], v[2:3]
	v_mov_b32_e32 v8, s13
	s_add_i32 s13, s44, s42
	v_fma_f64 v[2:3], -v[70:71], v[36:37], v[2:3]
	s_lshl_b32 s13, s13, 3
	v_fma_f64 v[2:3], -v[72:73], v[40:41], v[2:3]
	ds_read2_b64 v[132:135], v1 offset1:1
	ds_read2_b64 v[136:139], v8 offset1:1
	v_mov_b32_e32 v1, s13
	s_add_i32 s13, s44, s43
	v_fma_f64 v[2:3], -v[74:75], v[44:45], v[2:3]
	s_lshl_b32 s13, s13, 3
	v_fma_f64 v[2:3], -v[76:77], v[48:49], v[2:3]
	s_waitcnt lgkmcnt(3)
	v_fma_f64 v[4:5], -v[90:91], v[126:127], v[4:5]
	v_mov_b32_e32 v8, s13
	ds_read2_b64 v[140:143], v1 offset1:1
	ds_read2_b64 v[144:147], v8 offset1:1
	v_fma_f64 v[2:3], -v[78:79], v[50:51], v[2:3]
	s_waitcnt lgkmcnt(4)
	v_fma_f64 v[4:5], -v[92:93], v[130:131], v[4:5]
	s_add_i32 s13, s44, s45
	v_fma_f64 v[2:3], -v[80:81], v[106:107], v[2:3]
	s_waitcnt lgkmcnt(3)
	v_fma_f64 v[4:5], -v[94:95], v[134:135], v[4:5]
	s_lshl_b32 s13, s13, 3
	v_fma_f64 v[2:3], -v[82:83], v[110:111], v[2:3]
	s_waitcnt lgkmcnt(2)
	v_fma_f64 v[4:5], -v[96:97], v[138:139], v[4:5]
	v_mov_b32_e32 v1, s13
	s_add_i32 s13, s44, s46
	v_fma_f64 v[2:3], -v[84:85], v[114:115], v[2:3]
	s_waitcnt lgkmcnt(1)
	v_fma_f64 v[4:5], -v[98:99], v[142:143], v[4:5]
	s_lshl_b32 s13, s13, 3
	s_addk_i32 s9, 0xfcc0
	v_fma_f64 v[2:3], -v[86:87], v[118:119], v[2:3]
	s_waitcnt lgkmcnt(0)
	v_fma_f64 v[4:5], -v[100:101], v[146:147], v[4:5]
	ds_read2_b64 v[146:149], v1 offset1:1
	v_mov_b32_e32 v1, s13
	s_add_i32 s13, s44, s9
	v_fma_f64 v[2:3], -v[88:89], v[122:123], v[2:3]
	s_lshl_b32 s13, s13, 3
	v_fma_f64 v[2:3], -v[90:91], v[124:125], v[2:3]
	ds_read2_b64 v[150:153], v1 offset1:1
	v_mov_b32_e32 v1, s13
	v_fma_f64 v[2:3], -v[92:93], v[128:129], v[2:3]
	ds_read2_b64 v[154:157], v1 offset1:1
	s_addk_i32 s12, 0xe428
	v_fma_f64 v[2:3], -v[94:95], v[132:133], v[2:3]
	v_mov_b32_e32 v1, s12
	v_fma_f64 v[2:3], -v[96:97], v[136:137], v[2:3]
	ds_read_b64 v[8:9], v1
	v_fma_f64 v[2:3], -v[98:99], v[140:141], v[2:3]
	s_waitcnt lgkmcnt(3)
	v_fma_f64 v[4:5], -v[102:103], v[148:149], v[4:5]
	v_fma_f64 v[2:3], -v[100:101], v[144:145], v[2:3]
	s_waitcnt lgkmcnt(2)
	v_fma_f64 v[4:5], -v[104:105], v[152:153], v[4:5]
	v_or_b32_e32 v1, s9, v0
	v_fma_f64 v[2:3], -v[102:103], v[146:147], v[2:3]
	s_waitcnt lgkmcnt(1)
	v_mul_f64 v[4:5], v[156:157], v[4:5]
	v_lshlrev_b32_e32 v1, 3, v1
	v_fma_f64 v[2:3], -v[104:105], v[150:151], v[2:3]
	ds_write_b64 v1, v[4:5] offset:8192
	v_fma_f64 v[2:3], -v[4:5], v[154:155], v[2:3]
	v_lshlrev_b32_e32 v1, 3, v0
	s_waitcnt lgkmcnt(1)
	v_mul_f64 v[2:3], v[8:9], v[2:3]
	v_lshl_or_b32 v1, s44, 8, v1
	s_sub_i32 s8, s8, 28
	ds_write_b64 v1, v[2:3] offset:8192
.LBB102_47:
	s_cmp_lt_i32 s8, 0
	s_cbranch_scc1 .LBB102_60
; %bb.48:
	s_bitcmp1_b32 s8, 0
	s_cselect_b64 s[12:13], -1, 0
	s_and_b64 vcc, exec, s[12:13]
	s_mov_b32 s9, s8
	s_cbranch_vccnz .LBB102_53
; %bb.49:
	v_lshlrev_b32_e32 v1, 3, v0
	v_lshl_or_b32 v1, s8, 8, v1
	ds_read_b64 v[2:3], v1 offset:8192
	s_cmp_le_i32 s31, s8
	s_cbranch_scc1 .LBB102_52
; %bb.50:
	s_lshl_b32 s12, s30, 8
	s_lshl_b32 s9, s8, 3
	s_add_i32 s9, s12, s9
	v_lshl_or_b32 v4, v0, 3, s12
	s_addk_i32 s9, 0xff00
	v_add_u32_e32 v4, 0x1f00, v4
	s_mov_b32 s12, s31
.LBB102_51:                             ; =>This Inner Loop Header: Depth=1
	v_mov_b32_e32 v5, s9
	ds_read_b64 v[6:7], v4
	ds_read_b64 v[8:9], v5
	s_add_i32 s12, s12, -1
	s_addk_i32 s9, 0xff00
	v_add_u32_e32 v4, 0xffffff00, v4
	s_cmp_gt_i32 s12, s8
	s_waitcnt lgkmcnt(0)
	v_fma_f64 v[2:3], -v[6:7], v[8:9], v[2:3]
	s_cbranch_scc1 .LBB102_51
.LBB102_52:
	s_mul_i32 s9, s8, 0x108
	v_mov_b32_e32 v4, s9
	ds_read_b64 v[4:5], v4
	v_add_u32_e32 v1, 0x2000, v1
	s_add_i32 s9, s8, -1
	s_waitcnt lgkmcnt(0)
	v_mul_f64 v[2:3], v[4:5], v[2:3]
	ds_write_b64 v1, v[2:3]
.LBB102_53:
	s_cmp_eq_u32 s8, 0
	s_cbranch_scc1 .LBB102_60
; %bb.54:
	s_lshl_b32 s12, s30, 8
	s_lshl_b32 s8, s9, 3
	s_add_i32 s13, s12, s8
	v_lshl_or_b32 v1, v0, 3, s12
	s_add_i32 s8, s13, 0xffffff00
	v_add_u32_e32 v1, 0x1f00, v1
	s_add_i32 s12, s13, 0xfffffef8
	v_lshlrev_b32_e32 v6, 3, v0
	s_branch .LBB102_56
.LBB102_55:                             ;   in Loop: Header=BB102_56 Depth=1
	s_addk_i32 s13, 0xfef8
	v_mov_b32_e32 v5, s13
	ds_read_b64 v[8:9], v5
	s_add_i32 s13, s9, -2
	s_add_i32 s8, s8, -16
	;; [unrolled: 1-line block ×3, first 2 shown]
	v_add_u32_e32 v4, 0x2000, v7
	s_cmp_lt_i32 s9, 2
	s_waitcnt lgkmcnt(0)
	v_mul_f64 v[2:3], v[8:9], v[2:3]
	s_mov_b32 s9, s13
	ds_write_b64 v4, v[2:3]
	s_cbranch_scc1 .LBB102_60
.LBB102_56:                             ; =>This Loop Header: Depth=1
                                        ;     Child Loop BB102_57 Depth 2
                                        ;     Child Loop BB102_59 Depth 2
	v_lshl_or_b32 v2, s9, 8, v6
	ds_read_b64 v[4:5], v2 offset:8192
	s_cmp_le_i32 s31, s9
	v_mov_b32_e32 v3, v1
	s_mov_b32 s13, s8
	s_mov_b32 s16, s31
	s_cbranch_scc1 .LBB102_58
.LBB102_57:                             ;   Parent Loop BB102_56 Depth=1
                                        ; =>  This Inner Loop Header: Depth=2
	v_mov_b32_e32 v7, s13
	ds_read_b64 v[8:9], v3
	ds_read_b64 v[10:11], v7
	s_add_i32 s16, s16, -1
	s_addk_i32 s13, 0xff00
	v_add_u32_e32 v3, 0xffffff00, v3
	s_cmp_gt_i32 s16, s9
	s_waitcnt lgkmcnt(0)
	v_fma_f64 v[4:5], -v[8:9], v[10:11], v[4:5]
	s_cbranch_scc1 .LBB102_57
.LBB102_58:                             ;   in Loop: Header=BB102_56 Depth=1
	s_mul_i32 s13, s9, 0x108
	v_add_u32_e32 v8, 0x2000, v2
	v_mov_b32_e32 v2, s13
	s_lshl_b32 s16, s9, 8
	ds_read_b64 v[10:11], v2
	s_addk_i32 s16, 0xff00
	v_lshl_or_b32 v7, v0, 3, s16
	ds_read_b64 v[2:3], v7 offset:8192
	s_cmp_lt_i32 s31, s9
	s_waitcnt lgkmcnt(1)
	v_mul_f64 v[4:5], v[10:11], v[4:5]
	ds_write_b64 v8, v[4:5]
	v_mov_b32_e32 v4, v1
	s_mov_b32 s16, s12
	s_mov_b32 s17, s30
	s_cbranch_scc1 .LBB102_55
.LBB102_59:                             ;   Parent Loop BB102_56 Depth=1
                                        ; =>  This Inner Loop Header: Depth=2
	v_mov_b32_e32 v5, s16
	ds_read_b64 v[8:9], v4
	ds_read_b64 v[10:11], v5
	s_add_i32 s17, s17, -1
	s_addk_i32 s16, 0xff00
	v_add_u32_e32 v4, 0xffffff00, v4
	s_cmp_gt_i32 s17, s9
	s_waitcnt lgkmcnt(0)
	v_fma_f64 v[2:3], -v[8:9], v[10:11], v[2:3]
	s_cbranch_scc1 .LBB102_59
	s_branch .LBB102_55
.LBB102_60:
	s_waitcnt lgkmcnt(0)
	; wave barrier
	s_waitcnt lgkmcnt(0)
	s_and_saveexec_b64 s[8:9], s[6:7]
	s_cbranch_execz .LBB102_67
; %bb.61:
	s_cmp_lt_i32 s10, 8
	s_mov_b32 s6, 0
	s_cbranch_scc1 .LBB102_64
; %bb.62:
	v_mad_i64_i32 v[2:3], s[6:7], s22, v0, 0
	v_lshlrev_b64 v[2:3], 3, v[2:3]
	v_mov_b32_e32 v4, s24
	v_add_co_u32_e32 v1, vcc, s11, v2
	v_addc_co_u32_e32 v2, vcc, v4, v3, vcc
	v_mov_b32_e32 v3, 0x2000
	s_lshl_b32 s6, s30, 3
	v_lshl_or_b32 v3, v0, 3, v3
	s_and_b32 s7, s6, 0x1c0
	s_mov_b32 s6, 0
	s_mov_b64 s[8:9], 0
.LBB102_63:                             ; =>This Inner Loop Header: Depth=1
	ds_read2_b64 v[4:7], v3 offset1:32
	ds_read2_b64 v[8:11], v3 offset0:64 offset1:96
	ds_read2_b64 v[12:15], v3 offset0:128 offset1:160
	;; [unrolled: 1-line block ×3, first 2 shown]
	s_add_i32 s6, s6, 8
	v_add_co_u32_e32 v20, vcc, s8, v1
	s_add_u32 s8, s8, 64
	v_mov_b32_e32 v21, s9
	s_addc_u32 s9, s9, 0
	v_add_u32_e32 v3, 0x800, v3
	v_addc_co_u32_e32 v21, vcc, v2, v21, vcc
	s_cmp_lg_u32 s7, s8
	s_waitcnt lgkmcnt(3)
	global_store_dwordx4 v[20:21], v[4:7], off
	s_waitcnt lgkmcnt(2)
	global_store_dwordx4 v[20:21], v[8:11], off offset:16
	s_waitcnt lgkmcnt(1)
	global_store_dwordx4 v[20:21], v[12:15], off offset:32
	;; [unrolled: 2-line block ×3, first 2 shown]
	s_cbranch_scc1 .LBB102_63
.LBB102_64:
	s_and_b32 s8, s30, 7
	s_cmp_eq_u32 s8, 0
	s_mov_b32 s7, 0
	s_cbranch_scc1 .LBB102_67
; %bb.65:
	s_lshl_b64 s[10:11], s[14:15], 3
	v_lshlrev_b32_e32 v2, 3, v0
	v_mov_b32_e32 v0, s11
	v_add_co_u32_e32 v3, vcc, s10, v2
	s_lshl_b64 s[10:11], s[6:7], 3
	s_add_u32 s2, s2, s10
	s_addc_u32 s3, s3, s11
	s_add_u32 s2, s2, s4
	s_addc_u32 s3, s3, s5
	;; [unrolled: 2-line block ×3, first 2 shown]
	v_addc_co_u32_e32 v4, vcc, 0, v0, vcc
	v_pk_mov_b32 v[0:1], s[0:1], s[0:1] op_sel:[0,1]
	v_mad_u64_u32 v[0:1], s[0:1], v3, s22, v[0:1]
	v_mul_lo_u32 v3, v3, s23
	v_mul_lo_u32 v4, v4, s22
	v_lshl_or_b32 v2, s6, 8, v2
	v_add3_u32 v1, v4, v1, v3
	v_add_u32_e32 v2, 0x2000, v2
.LBB102_66:                             ; =>This Inner Loop Header: Depth=1
	ds_read_b64 v[4:5], v2
	s_add_i32 s8, s8, -1
	v_add_u32_e32 v2, 0x100, v2
	s_cmp_lg_u32 s8, 0
	s_waitcnt lgkmcnt(0)
	global_store_dwordx2 v[0:1], v[4:5], off
	v_add_co_u32_e32 v0, vcc, 8, v0
	v_addc_co_u32_e32 v1, vcc, 0, v1, vcc
	s_cbranch_scc1 .LBB102_66
.LBB102_67:
	s_endpgm
	.section	.rodata,"a",@progbits
	.p2align	6, 0x0
	.amdhsa_kernel _ZL38rocblas_trsm_small_left_device_sharedBILi32ELi32ELb0EddPKdPdEv13rocblas_fill_18rocblas_operation_17rocblas_diagonal_iiT3_T4_lilT5_lili
		.amdhsa_group_segment_fixed_size 16384
		.amdhsa_private_segment_fixed_size 0
		.amdhsa_kernarg_size 360
		.amdhsa_user_sgpr_count 6
		.amdhsa_user_sgpr_private_segment_buffer 1
		.amdhsa_user_sgpr_dispatch_ptr 0
		.amdhsa_user_sgpr_queue_ptr 0
		.amdhsa_user_sgpr_kernarg_segment_ptr 1
		.amdhsa_user_sgpr_dispatch_id 0
		.amdhsa_user_sgpr_flat_scratch_init 0
		.amdhsa_user_sgpr_kernarg_preload_length 0
		.amdhsa_user_sgpr_kernarg_preload_offset 0
		.amdhsa_user_sgpr_private_segment_size 0
		.amdhsa_uses_dynamic_stack 0
		.amdhsa_system_sgpr_private_segment_wavefront_offset 0
		.amdhsa_system_sgpr_workgroup_id_x 1
		.amdhsa_system_sgpr_workgroup_id_y 0
		.amdhsa_system_sgpr_workgroup_id_z 1
		.amdhsa_system_sgpr_workgroup_info 0
		.amdhsa_system_vgpr_workitem_id 0
		.amdhsa_next_free_vgpr 178
		.amdhsa_next_free_sgpr 51
		.amdhsa_accum_offset 180
		.amdhsa_reserve_vcc 1
		.amdhsa_reserve_flat_scratch 0
		.amdhsa_float_round_mode_32 0
		.amdhsa_float_round_mode_16_64 0
		.amdhsa_float_denorm_mode_32 3
		.amdhsa_float_denorm_mode_16_64 3
		.amdhsa_dx10_clamp 1
		.amdhsa_ieee_mode 1
		.amdhsa_fp16_overflow 0
		.amdhsa_tg_split 0
		.amdhsa_exception_fp_ieee_invalid_op 0
		.amdhsa_exception_fp_denorm_src 0
		.amdhsa_exception_fp_ieee_div_zero 0
		.amdhsa_exception_fp_ieee_overflow 0
		.amdhsa_exception_fp_ieee_underflow 0
		.amdhsa_exception_fp_ieee_inexact 0
		.amdhsa_exception_int_div_zero 0
	.end_amdhsa_kernel
	.section	.text._ZL38rocblas_trsm_small_left_device_sharedBILi32ELi32ELb0EddPKdPdEv13rocblas_fill_18rocblas_operation_17rocblas_diagonal_iiT3_T4_lilT5_lili,"axG",@progbits,_ZL38rocblas_trsm_small_left_device_sharedBILi32ELi32ELb0EddPKdPdEv13rocblas_fill_18rocblas_operation_17rocblas_diagonal_iiT3_T4_lilT5_lili,comdat
.Lfunc_end102:
	.size	_ZL38rocblas_trsm_small_left_device_sharedBILi32ELi32ELb0EddPKdPdEv13rocblas_fill_18rocblas_operation_17rocblas_diagonal_iiT3_T4_lilT5_lili, .Lfunc_end102-_ZL38rocblas_trsm_small_left_device_sharedBILi32ELi32ELb0EddPKdPdEv13rocblas_fill_18rocblas_operation_17rocblas_diagonal_iiT3_T4_lilT5_lili
                                        ; -- End function
	.section	.AMDGPU.csdata,"",@progbits
; Kernel info:
; codeLenInByte = 39564
; NumSgprs: 55
; NumVgprs: 178
; NumAgprs: 0
; TotalNumVgprs: 178
; ScratchSize: 0
; MemoryBound: 0
; FloatMode: 240
; IeeeMode: 1
; LDSByteSize: 16384 bytes/workgroup (compile time only)
; SGPRBlocks: 6
; VGPRBlocks: 22
; NumSGPRsForWavesPerEU: 55
; NumVGPRsForWavesPerEU: 178
; AccumOffset: 180
; Occupancy: 1
; WaveLimiterHint : 0
; COMPUTE_PGM_RSRC2:SCRATCH_EN: 0
; COMPUTE_PGM_RSRC2:USER_SGPR: 6
; COMPUTE_PGM_RSRC2:TRAP_HANDLER: 0
; COMPUTE_PGM_RSRC2:TGID_X_EN: 1
; COMPUTE_PGM_RSRC2:TGID_Y_EN: 0
; COMPUTE_PGM_RSRC2:TGID_Z_EN: 1
; COMPUTE_PGM_RSRC2:TIDIG_COMP_CNT: 0
; COMPUTE_PGM_RSRC3_GFX90A:ACCUM_OFFSET: 44
; COMPUTE_PGM_RSRC3_GFX90A:TG_SPLIT: 0
	.section	.text._ZL30rocblas_trsm_small_left_deviceILi32ELi32ELb0EddPKdPdEv13rocblas_fill_18rocblas_operation_17rocblas_diagonal_iiT3_T4_lilT5_lili,"axG",@progbits,_ZL30rocblas_trsm_small_left_deviceILi32ELi32ELb0EddPKdPdEv13rocblas_fill_18rocblas_operation_17rocblas_diagonal_iiT3_T4_lilT5_lili,comdat
	.globl	_ZL30rocblas_trsm_small_left_deviceILi32ELi32ELb0EddPKdPdEv13rocblas_fill_18rocblas_operation_17rocblas_diagonal_iiT3_T4_lilT5_lili ; -- Begin function _ZL30rocblas_trsm_small_left_deviceILi32ELi32ELb0EddPKdPdEv13rocblas_fill_18rocblas_operation_17rocblas_diagonal_iiT3_T4_lilT5_lili
	.p2align	8
	.type	_ZL30rocblas_trsm_small_left_deviceILi32ELi32ELb0EddPKdPdEv13rocblas_fill_18rocblas_operation_17rocblas_diagonal_iiT3_T4_lilT5_lili,@function
_ZL30rocblas_trsm_small_left_deviceILi32ELi32ELb0EddPKdPdEv13rocblas_fill_18rocblas_operation_17rocblas_diagonal_iiT3_T4_lilT5_lili: ; @_ZL30rocblas_trsm_small_left_deviceILi32ELi32ELb0EddPKdPdEv13rocblas_fill_18rocblas_operation_17rocblas_diagonal_iiT3_T4_lilT5_lili
; %bb.0:
	s_load_dwordx4 s[12:15], s[4:5], 0x4
	s_load_dwordx4 s[0:3], s[4:5], 0x18
	s_load_dwordx2 s[24:25], s[4:5], 0x28
	s_load_dwordx4 s[8:11], s[4:5], 0x38
	s_load_dwordx2 s[20:21], s[4:5], 0x48
	s_waitcnt lgkmcnt(0)
	s_min_i32 s16, s14, 32
	s_mov_b32 s17, 0
	s_add_i32 s18, s16, -1
	v_cmp_gt_i32_e32 vcc, s16, v0
	s_and_saveexec_b64 s[22:23], vcc
	s_cbranch_execz .LBB103_10
; %bb.1:
	s_load_dword s26, s[4:5], 0x30
	s_mul_i32 s9, s7, s9
	s_mul_hi_u32 s19, s7, s8
	s_add_i32 s9, s19, s9
	s_mul_i32 s8, s7, s8
	s_waitcnt lgkmcnt(0)
	s_ashr_i32 s27, s26, 31
	s_cmp_lt_u32 s18, 3
	v_lshlrev_b32_e32 v1, 3, v0
	s_cbranch_scc1 .LBB103_4
; %bb.2:
	s_lshl_b64 s[28:29], s[8:9], 3
	s_add_u32 s17, s2, s28
	s_addc_u32 s19, s3, s29
	s_lshl_b64 s[28:29], s[24:25], 3
	s_add_u32 s17, s17, s28
	s_addc_u32 s19, s19, s29
	v_mov_b32_e32 v3, s19
	v_add_co_u32_e32 v2, vcc, s17, v1
	s_mul_hi_i32 s36, s26, 24
	s_lshl_b64 s[28:29], s[26:27], 5
	s_lshl_b64 s[30:31], s[26:27], 4
	;; [unrolled: 1-line block ×3, first 2 shown]
	v_addc_co_u32_e32 v3, vcc, 0, v3, vcc
	s_and_b32 s17, s16, -4
	s_mul_i32 s19, s26, 24
	s_mov_b32 s33, 0
	v_mov_b32_e32 v4, s35
	v_mov_b32_e32 v5, s31
	;; [unrolled: 1-line block ×5, first 2 shown]
.LBB103_3:                              ; =>This Inner Loop Header: Depth=1
	v_add_co_u32_e32 v12, vcc, s34, v2
	v_addc_co_u32_e32 v13, vcc, v3, v4, vcc
	v_add_co_u32_e32 v14, vcc, s30, v2
	v_addc_co_u32_e32 v15, vcc, v3, v5, vcc
	v_add_co_u32_e32 v16, vcc, s19, v2
	global_load_dwordx2 v[10:11], v[2:3], off
	v_addc_co_u32_e32 v17, vcc, v3, v6, vcc
	global_load_dwordx2 v[18:19], v[12:13], off
	global_load_dwordx2 v[20:21], v[14:15], off
	;; [unrolled: 1-line block ×3, first 2 shown]
	s_add_i32 s33, s33, 4
	v_add_co_u32_e32 v2, vcc, s28, v2
	v_addc_co_u32_e32 v3, vcc, v3, v7, vcc
	s_cmp_eq_u32 s17, s33
	s_waitcnt vmcnt(2)
	ds_write2_b64 v8, v[10:11], v[18:19] offset1:32
	s_waitcnt vmcnt(0)
	ds_write2_b64 v8, v[20:21], v[22:23] offset0:64 offset1:96
	v_add_u32_e32 v8, 0x400, v8
	s_cbranch_scc0 .LBB103_3
.LBB103_4:
	s_and_b32 s19, s16, 3
	s_cmp_eq_u32 s19, 0
	s_cbranch_scc1 .LBB103_7
; %bb.5:
	s_mul_i32 s28, s27, s17
	s_mul_hi_u32 s29, s26, s17
	s_add_i32 s29, s29, s28
	s_mul_i32 s28, s26, s17
	s_lshl_b64 s[8:9], s[8:9], 3
	s_lshl_b64 s[28:29], s[28:29], 3
	v_lshl_or_b32 v4, s17, 8, v1
	s_add_u32 s17, s8, s28
	s_addc_u32 s28, s9, s29
	s_lshl_b64 s[8:9], s[24:25], 3
	s_add_u32 s8, s17, s8
	s_addc_u32 s9, s28, s9
	s_add_u32 s2, s2, s8
	s_addc_u32 s3, s3, s9
	v_mov_b32_e32 v3, s3
	v_add_co_u32_e32 v2, vcc, s2, v1
	s_lshl_b64 s[2:3], s[26:27], 3
	v_addc_co_u32_e32 v3, vcc, 0, v3, vcc
	v_mov_b32_e32 v1, s3
.LBB103_6:                              ; =>This Inner Loop Header: Depth=1
	global_load_dwordx2 v[6:7], v[2:3], off
	v_add_co_u32_e32 v2, vcc, s2, v2
	s_add_i32 s19, s19, -1
	v_addc_co_u32_e32 v3, vcc, v3, v1, vcc
	s_cmp_lg_u32 s19, 0
	s_waitcnt vmcnt(0)
	ds_write_b64 v4, v[6:7]
	v_add_u32_e32 v4, 0x100, v4
	s_cbranch_scc1 .LBB103_6
.LBB103_7:
	v_mul_u32_u24_e32 v1, 33, v0
	v_mov_b32_e32 v2, 0
	s_cmpk_lg_i32 s13, 0x84
	v_lshlrev_b32_e32 v1, 3, v1
	v_mov_b32_e32 v3, 0x3ff00000
	s_cbranch_scc0 .LBB103_9
; %bb.8:
	ds_read_b64 v[2:3], v1
	s_waitcnt lgkmcnt(0)
	v_div_scale_f64 v[4:5], s[2:3], v[2:3], v[2:3], 1.0
	v_rcp_f64_e32 v[6:7], v[4:5]
	v_div_scale_f64 v[8:9], vcc, 1.0, v[2:3], 1.0
	v_fma_f64 v[10:11], -v[4:5], v[6:7], 1.0
	v_fmac_f64_e32 v[6:7], v[6:7], v[10:11]
	v_fma_f64 v[10:11], -v[4:5], v[6:7], 1.0
	v_fmac_f64_e32 v[6:7], v[6:7], v[10:11]
	v_mul_f64 v[10:11], v[8:9], v[6:7]
	v_fma_f64 v[4:5], -v[4:5], v[10:11], v[8:9]
	v_div_fmas_f64 v[4:5], v[4:5], v[6:7], v[10:11]
	v_div_fixup_f64 v[2:3], v[4:5], v[2:3], 1.0
.LBB103_9:
	ds_write_b64 v1, v[2:3]
.LBB103_10:
	s_or_b64 exec, exec, s[22:23]
	s_load_dword s2, s[4:5], 0x68
	s_lshl_b32 s8, s6, 5
	s_sub_i32 s3, s15, s8
	s_waitcnt lgkmcnt(0)
	; wave barrier
	s_waitcnt lgkmcnt(0)
	s_add_i32 s2, s2, -1
	s_cmp_ge_u32 s6, s2
	s_cselect_b32 s2, s3, 32
	v_cmp_gt_i32_e32 vcc, s2, v0
	s_and_saveexec_b64 s[2:3], vcc
	s_cbranch_execz .LBB103_61
; %bb.11:
	s_load_dwordx2 s[2:3], s[4:5], 0x58
	s_load_dword s6, s[4:5], 0x50
	v_add_u32_e32 v0, s8, v0
	s_waitcnt lgkmcnt(0)
	s_mul_i32 s3, s7, s3
	s_mul_hi_u32 s4, s7, s2
	s_mul_i32 s2, s7, s2
	s_add_i32 s3, s4, s3
	s_lshl_b64 s[2:3], s[2:3], 3
	s_add_u32 s7, s10, s2
	s_addc_u32 s9, s11, s3
	s_lshl_b64 s[4:5], s[20:21], 3
	s_add_u32 s13, s7, s4
	v_mad_i64_i32 v[0:1], s[6:7], s6, v0, 0
	s_addc_u32 s9, s9, s5
	v_lshlrev_b64 v[124:125], 3, v[0:1]
	v_mov_b32_e32 v0, s9
	v_add_co_u32_e32 v122, vcc, s13, v124
	v_addc_co_u32_e32 v123, vcc, v0, v125, vcc
	s_cmpk_eq_i32 s12, 0x6f
	s_mov_b64 s[6:7], -1
	s_cbranch_scc1 .LBB103_35
; %bb.12:
	s_cmp_lt_i32 s14, 32
	s_cselect_b64 s[6:7], -1, 0
	s_cmp_gt_i32 s14, 31
	s_mov_b32 s8, 0
	s_cbranch_scc0 .LBB103_14
; %bb.13:
	global_load_dwordx4 v[4:7], v[122:123], off
	global_load_dwordx4 v[20:23], v[122:123], off offset:16
	global_load_dwordx4 v[16:19], v[122:123], off offset:32
	;; [unrolled: 1-line block ×15, first 2 shown]
	v_mov_b32_e32 v68, 0
	ds_read2_b64 v[64:67], v68 offset1:66
	ds_read_b128 v[70:73], v68 offset:256
	ds_read_b128 v[74:77], v68 offset:512
	;; [unrolled: 1-line block ×6, first 2 shown]
	ds_read2_b64 v[94:97], v68 offset0:132 offset1:198
	ds_read_b128 v[98:101], v68 offset:1280
	ds_read_b128 v[102:105], v68 offset:1296
	;; [unrolled: 1-line block ×14, first 2 shown]
	s_movk_i32 s8, 0x800
	v_add_u32_e64 v69, s8, 0
	ds_read2_b64 v[158:161], v69 offset0:8 offset1:74
	s_movk_i32 s8, 0x1000
	s_waitcnt vmcnt(15)
	v_mul_f64 v[4:5], v[4:5], s[0:1]
	s_waitcnt lgkmcnt(14)
	v_mul_f64 v[4:5], v[64:65], v[4:5]
	v_mul_f64 v[64:65], v[4:5], v[70:71]
	;; [unrolled: 1-line block ×3, first 2 shown]
	v_fma_f64 v[6:7], v[6:7], s[0:1], -v[64:65]
	v_mul_f64 v[74:75], v[4:5], v[78:79]
	v_mul_f64 v[78:79], v[4:5], v[86:87]
	s_waitcnt vmcnt(14)
	v_fma_f64 v[20:21], v[20:21], s[0:1], -v[70:71]
	v_mul_f64 v[6:7], v[72:73], v[6:7]
	v_mul_f64 v[86:87], v[4:5], v[98:99]
	v_fma_f64 v[22:23], v[22:23], s[0:1], -v[74:75]
	s_waitcnt vmcnt(13)
	v_fma_f64 v[16:17], v[16:17], s[0:1], -v[78:79]
	v_fma_f64 v[20:21], -v[6:7], v[76:77], v[20:21]
	v_fma_f64 v[18:19], v[18:19], s[0:1], -v[86:87]
	v_fma_f64 v[22:23], -v[6:7], v[80:81], v[22:23]
	v_fma_f64 v[64:65], -v[6:7], v[88:89], v[16:17]
	v_mul_f64 v[16:17], v[66:67], v[20:21]
	v_fma_f64 v[18:19], -v[6:7], v[100:101], v[18:19]
	v_fma_f64 v[20:21], -v[16:17], v[82:83], v[22:23]
	;; [unrolled: 1-line block ×3, first 2 shown]
	s_waitcnt lgkmcnt(13)
	v_fma_f64 v[64:65], -v[16:17], v[102:103], v[18:19]
	v_mul_f64 v[18:19], v[84:85], v[20:21]
	v_fma_f64 v[20:21], -v[18:19], v[92:93], v[22:23]
	v_fma_f64 v[22:23], -v[18:19], v[104:105], v[64:65]
	ds_read_b128 v[64:67], v68 offset:2304
	ds_read_b128 v[70:73], v68 offset:2320
	s_waitcnt lgkmcnt(13)
	v_mul_f64 v[98:99], v[4:5], v[110:111]
	s_waitcnt lgkmcnt(10)
	v_mul_f64 v[110:111], v[4:5], v[126:127]
	s_waitcnt vmcnt(12)
	v_fma_f64 v[12:13], v[12:13], s[0:1], -v[98:99]
	s_waitcnt lgkmcnt(6)
	v_mul_f64 v[126:127], v[4:5], v[142:143]
	v_fma_f64 v[14:15], v[14:15], s[0:1], -v[110:111]
	v_fma_f64 v[12:13], -v[6:7], v[112:113], v[12:13]
	s_waitcnt vmcnt(11)
	v_fma_f64 v[8:9], v[8:9], s[0:1], -v[126:127]
	v_fma_f64 v[14:15], -v[6:7], v[128:129], v[14:15]
	v_fma_f64 v[12:13], -v[16:17], v[114:115], v[12:13]
	v_mul_f64 v[20:21], v[94:95], v[20:21]
	s_waitcnt lgkmcnt(1)
	v_mul_f64 v[64:65], v[4:5], v[64:65]
	ds_read_b128 v[74:77], v68 offset:2336
	v_fma_f64 v[8:9], -v[6:7], v[144:145], v[8:9]
	v_fma_f64 v[14:15], -v[16:17], v[130:131], v[14:15]
	;; [unrolled: 1-line block ×4, first 2 shown]
	v_fma_f64 v[10:11], v[10:11], s[0:1], -v[64:65]
	v_fma_f64 v[8:9], -v[16:17], v[146:147], v[8:9]
	v_fma_f64 v[14:15], -v[18:19], v[132:133], v[14:15]
	;; [unrolled: 1-line block ×3, first 2 shown]
	v_mul_f64 v[22:23], v[108:109], v[22:23]
	v_fma_f64 v[10:11], -v[6:7], v[66:67], v[10:11]
	ds_read_b128 v[64:67], v68 offset:2352
	v_fma_f64 v[8:9], -v[18:19], v[148:149], v[8:9]
	v_fma_f64 v[14:15], -v[20:21], v[134:135], v[14:15]
	;; [unrolled: 1-line block ×3, first 2 shown]
	s_waitcnt lgkmcnt(2)
	v_fma_f64 v[10:11], -v[16:17], v[70:71], v[10:11]
	v_fma_f64 v[8:9], -v[20:21], v[150:151], v[8:9]
	;; [unrolled: 1-line block ×3, first 2 shown]
	v_mul_f64 v[12:13], v[96:97], v[12:13]
	v_fma_f64 v[10:11], -v[18:19], v[72:73], v[10:11]
	ds_read_b128 v[70:73], v68 offset:2368
	v_fma_f64 v[8:9], -v[22:23], v[152:153], v[8:9]
	v_fma_f64 v[14:15], -v[12:13], v[138:139], v[14:15]
	s_waitcnt lgkmcnt(2)
	v_fma_f64 v[10:11], -v[20:21], v[74:75], v[10:11]
	v_mul_f64 v[14:15], v[140:141], v[14:15]
	v_fma_f64 v[8:9], -v[12:13], v[154:155], v[8:9]
	v_fma_f64 v[10:11], -v[22:23], v[76:77], v[10:11]
	;; [unrolled: 1-line block ×3, first 2 shown]
	s_waitcnt lgkmcnt(1)
	v_fma_f64 v[10:11], -v[12:13], v[64:65], v[10:11]
	v_mul_f64 v[8:9], v[158:159], v[8:9]
	v_fma_f64 v[10:11], -v[14:15], v[66:67], v[10:11]
	ds_read_b128 v[64:67], v68 offset:2560
	s_waitcnt lgkmcnt(1)
	v_fma_f64 v[10:11], -v[8:9], v[70:71], v[10:11]
	v_mul_f64 v[10:11], v[72:73], v[10:11]
	global_store_dwordx4 v[122:123], v[4:7], off
	global_store_dwordx4 v[122:123], v[16:19], off offset:16
	global_store_dwordx4 v[122:123], v[20:23], off offset:32
	;; [unrolled: 1-line block ×4, first 2 shown]
	ds_read_b128 v[70:73], v68 offset:2576
	ds_read_b128 v[74:77], v68 offset:2592
	s_waitcnt lgkmcnt(2)
	v_mul_f64 v[64:65], v[4:5], v[64:65]
	s_waitcnt vmcnt(15)
	v_fma_f64 v[28:29], v[28:29], s[0:1], -v[64:65]
	v_fma_f64 v[28:29], -v[6:7], v[66:67], v[28:29]
	ds_read_b128 v[64:67], v68 offset:2608
	s_waitcnt lgkmcnt(2)
	v_fma_f64 v[28:29], -v[16:17], v[70:71], v[28:29]
	v_fma_f64 v[28:29], -v[18:19], v[72:73], v[28:29]
	ds_read_b128 v[70:73], v68 offset:2624
	s_waitcnt lgkmcnt(2)
	v_fma_f64 v[28:29], -v[20:21], v[74:75], v[28:29]
	v_fma_f64 v[28:29], -v[22:23], v[76:77], v[28:29]
	s_waitcnt lgkmcnt(1)
	v_fma_f64 v[28:29], -v[12:13], v[64:65], v[28:29]
	v_fma_f64 v[28:29], -v[14:15], v[66:67], v[28:29]
	ds_read_b128 v[64:67], v68 offset:2816
	s_waitcnt lgkmcnt(1)
	v_fma_f64 v[28:29], -v[8:9], v[70:71], v[28:29]
	v_fma_f64 v[28:29], -v[10:11], v[72:73], v[28:29]
	ds_read_b128 v[70:73], v68 offset:2832
	ds_read_b128 v[74:77], v68 offset:2848
	s_waitcnt lgkmcnt(2)
	v_mul_f64 v[64:65], v[4:5], v[64:65]
	v_fma_f64 v[30:31], v[30:31], s[0:1], -v[64:65]
	v_fma_f64 v[30:31], -v[6:7], v[66:67], v[30:31]
	ds_read_b128 v[64:67], v68 offset:2864
	s_waitcnt lgkmcnt(2)
	v_fma_f64 v[30:31], -v[16:17], v[70:71], v[30:31]
	v_fma_f64 v[30:31], -v[18:19], v[72:73], v[30:31]
	s_waitcnt lgkmcnt(1)
	v_fma_f64 v[30:31], -v[20:21], v[74:75], v[30:31]
	ds_read_b128 v[70:73], v68 offset:2880
	v_fma_f64 v[30:31], -v[22:23], v[76:77], v[30:31]
	ds_read_b128 v[74:77], v68 offset:2896
	s_waitcnt lgkmcnt(2)
	v_fma_f64 v[30:31], -v[12:13], v[64:65], v[30:31]
	v_fma_f64 v[30:31], -v[14:15], v[66:67], v[30:31]
	ds_read_b128 v[64:67], v68 offset:3072
	s_waitcnt lgkmcnt(2)
	v_fma_f64 v[30:31], -v[8:9], v[70:71], v[30:31]
	v_mul_f64 v[28:29], v[160:161], v[28:29]
	v_fma_f64 v[30:31], -v[10:11], v[72:73], v[30:31]
	ds_read_b128 v[70:73], v68 offset:3088
	s_waitcnt lgkmcnt(2)
	v_fma_f64 v[30:31], -v[28:29], v[74:75], v[30:31]
	v_mul_f64 v[30:31], v[76:77], v[30:31]
	s_waitcnt lgkmcnt(1)
	v_mul_f64 v[64:65], v[4:5], v[64:65]
	ds_read_b128 v[74:77], v68 offset:3104
	s_waitcnt vmcnt(13)
	v_fma_f64 v[32:33], v[32:33], s[0:1], -v[64:65]
	v_fma_f64 v[32:33], -v[6:7], v[66:67], v[32:33]
	ds_read_b128 v[64:67], v68 offset:3120
	s_waitcnt lgkmcnt(2)
	v_fma_f64 v[32:33], -v[16:17], v[70:71], v[32:33]
	v_fma_f64 v[32:33], -v[18:19], v[72:73], v[32:33]
	s_waitcnt lgkmcnt(1)
	v_fma_f64 v[32:33], -v[20:21], v[74:75], v[32:33]
	ds_read_b128 v[70:73], v68 offset:3136
	v_fma_f64 v[32:33], -v[22:23], v[76:77], v[32:33]
	s_waitcnt lgkmcnt(1)
	v_fma_f64 v[32:33], -v[12:13], v[64:65], v[32:33]
	v_fma_f64 v[32:33], -v[14:15], v[66:67], v[32:33]
	ds_read_b128 v[64:67], v68 offset:3152
	s_waitcnt lgkmcnt(1)
	v_fma_f64 v[32:33], -v[8:9], v[70:71], v[32:33]
	v_fma_f64 v[32:33], -v[10:11], v[72:73], v[32:33]
	ds_read_b128 v[70:73], v68 offset:3328
	ds_read_b128 v[78:81], v68 offset:3360
	s_waitcnt lgkmcnt(2)
	v_fma_f64 v[32:33], -v[28:29], v[64:65], v[32:33]
	v_fma_f64 v[32:33], -v[30:31], v[66:67], v[32:33]
	ds_read_b128 v[64:67], v68 offset:3344
	s_waitcnt lgkmcnt(2)
	v_mul_f64 v[70:71], v[4:5], v[70:71]
	v_fma_f64 v[34:35], v[34:35], s[0:1], -v[70:71]
	v_fma_f64 v[34:35], -v[6:7], v[72:73], v[34:35]
	ds_read_b128 v[70:73], v68 offset:3376
	s_waitcnt lgkmcnt(1)
	v_fma_f64 v[34:35], -v[16:17], v[64:65], v[34:35]
	v_fma_f64 v[34:35], -v[18:19], v[66:67], v[34:35]
	ds_read_b128 v[64:67], v68 offset:3392
	v_fma_f64 v[34:35], -v[20:21], v[78:79], v[34:35]
	v_fma_f64 v[34:35], -v[22:23], v[80:81], v[34:35]
	ds_read_b128 v[78:81], v68 offset:3408
	ds_read2_b64 v[74:77], v69 offset0:140 offset1:206
	s_waitcnt lgkmcnt(3)
	v_fma_f64 v[34:35], -v[12:13], v[70:71], v[34:35]
	v_fma_f64 v[34:35], -v[14:15], v[72:73], v[34:35]
	ds_read_b128 v[70:73], v68 offset:3424
	s_waitcnt lgkmcnt(3)
	v_fma_f64 v[34:35], -v[8:9], v[64:65], v[34:35]
	v_fma_f64 v[34:35], -v[10:11], v[66:67], v[34:35]
	ds_read_b128 v[64:67], v68 offset:3584
	s_waitcnt lgkmcnt(3)
	v_fma_f64 v[34:35], -v[28:29], v[78:79], v[34:35]
	s_waitcnt lgkmcnt(2)
	v_mul_f64 v[32:33], v[74:75], v[32:33]
	v_fma_f64 v[34:35], -v[30:31], v[80:81], v[34:35]
	s_waitcnt lgkmcnt(1)
	v_fma_f64 v[34:35], -v[32:33], v[70:71], v[34:35]
	v_mul_f64 v[34:35], v[72:73], v[34:35]
	global_store_dwordx4 v[122:123], v[28:31], off offset:80
	global_store_dwordx4 v[122:123], v[32:35], off offset:96
	ds_read_b128 v[70:73], v68 offset:3600
	ds_read_b128 v[78:81], v68 offset:3616
	s_waitcnt lgkmcnt(2)
	v_mul_f64 v[64:65], v[4:5], v[64:65]
	v_fma_f64 v[40:41], v[40:41], s[0:1], -v[64:65]
	v_fma_f64 v[40:41], -v[6:7], v[66:67], v[40:41]
	ds_read_b128 v[64:67], v68 offset:3632
	s_waitcnt lgkmcnt(2)
	v_fma_f64 v[40:41], -v[16:17], v[70:71], v[40:41]
	v_fma_f64 v[40:41], -v[18:19], v[72:73], v[40:41]
	ds_read_b128 v[70:73], v68 offset:3648
	s_waitcnt lgkmcnt(2)
	v_fma_f64 v[40:41], -v[20:21], v[78:79], v[40:41]
	;; [unrolled: 4-line block ×4, first 2 shown]
	v_fma_f64 v[40:41], -v[10:11], v[72:73], v[40:41]
	s_waitcnt lgkmcnt(1)
	v_fma_f64 v[40:41], -v[28:29], v[78:79], v[40:41]
	ds_read_b128 v[70:73], v68 offset:3840
	v_fma_f64 v[40:41], -v[30:31], v[80:81], v[40:41]
	s_waitcnt lgkmcnt(1)
	v_fma_f64 v[40:41], -v[32:33], v[64:65], v[40:41]
	v_fma_f64 v[40:41], -v[34:35], v[66:67], v[40:41]
	ds_read_b128 v[64:67], v68 offset:3856
	v_mul_f64 v[40:41], v[76:77], v[40:41]
	s_waitcnt lgkmcnt(1)
	v_mul_f64 v[70:71], v[4:5], v[70:71]
	ds_read_b128 v[74:77], v68 offset:3872
	v_fma_f64 v[42:43], v[42:43], s[0:1], -v[70:71]
	v_fma_f64 v[42:43], -v[6:7], v[72:73], v[42:43]
	ds_read_b128 v[70:73], v68 offset:3888
	s_waitcnt lgkmcnt(2)
	v_fma_f64 v[42:43], -v[16:17], v[64:65], v[42:43]
	v_fma_f64 v[42:43], -v[18:19], v[66:67], v[42:43]
	s_waitcnt lgkmcnt(1)
	v_fma_f64 v[42:43], -v[20:21], v[74:75], v[42:43]
	ds_read_b128 v[64:67], v68 offset:3904
	v_fma_f64 v[42:43], -v[22:23], v[76:77], v[42:43]
	s_waitcnt lgkmcnt(1)
	v_fma_f64 v[42:43], -v[12:13], v[70:71], v[42:43]
	v_fma_f64 v[42:43], -v[14:15], v[72:73], v[42:43]
	ds_read_b128 v[70:73], v68 offset:3920
	ds_read_b128 v[74:77], v68 offset:3936
	s_waitcnt lgkmcnt(2)
	v_fma_f64 v[42:43], -v[8:9], v[64:65], v[42:43]
	v_fma_f64 v[42:43], -v[10:11], v[66:67], v[42:43]
	ds_read_b128 v[64:67], v68 offset:3952
	s_waitcnt lgkmcnt(2)
	v_fma_f64 v[42:43], -v[28:29], v[70:71], v[42:43]
	v_fma_f64 v[42:43], -v[30:31], v[72:73], v[42:43]
	s_waitcnt lgkmcnt(1)
	v_fma_f64 v[42:43], -v[32:33], v[74:75], v[42:43]
	v_fma_f64 v[42:43], -v[34:35], v[76:77], v[42:43]
	s_waitcnt lgkmcnt(0)
	v_fma_f64 v[42:43], -v[40:41], v[64:65], v[42:43]
	v_mul_f64 v[42:43], v[66:67], v[42:43]
	ds_read_b128 v[64:67], v68 offset:4096
	global_store_dwordx4 v[122:123], v[40:43], off offset:112
	ds_read_b128 v[70:73], v68 offset:4112
	ds_read_b128 v[74:77], v68 offset:4128
	;; [unrolled: 1-line block ×4, first 2 shown]
	s_waitcnt lgkmcnt(4)
	v_mul_f64 v[64:65], v[4:5], v[64:65]
	s_waitcnt vmcnt(12)
	v_fma_f64 v[44:45], v[44:45], s[0:1], -v[64:65]
	v_fma_f64 v[44:45], -v[6:7], v[66:67], v[44:45]
	s_waitcnt lgkmcnt(3)
	v_fma_f64 v[44:45], -v[16:17], v[70:71], v[44:45]
	v_fma_f64 v[44:45], -v[18:19], v[72:73], v[44:45]
	ds_read_b128 v[64:67], v68 offset:4160
	ds_read_b128 v[70:73], v68 offset:4176
	s_waitcnt lgkmcnt(4)
	v_fma_f64 v[44:45], -v[20:21], v[74:75], v[44:45]
	v_fma_f64 v[44:45], -v[22:23], v[76:77], v[44:45]
	s_waitcnt lgkmcnt(3)
	v_fma_f64 v[44:45], -v[12:13], v[78:79], v[44:45]
	v_fma_f64 v[44:45], -v[14:15], v[80:81], v[44:45]
	s_waitcnt lgkmcnt(1)
	v_fma_f64 v[44:45], -v[8:9], v[64:65], v[44:45]
	ds_read_b128 v[74:77], v68 offset:4192
	v_fma_f64 v[44:45], -v[10:11], v[66:67], v[44:45]
	s_waitcnt lgkmcnt(1)
	v_fma_f64 v[44:45], -v[28:29], v[70:71], v[44:45]
	v_fma_f64 v[44:45], -v[30:31], v[72:73], v[44:45]
	ds_read_b128 v[70:73], v68 offset:4208
	s_waitcnt lgkmcnt(1)
	v_fma_f64 v[44:45], -v[32:33], v[74:75], v[44:45]
	v_fma_f64 v[44:45], -v[34:35], v[76:77], v[44:45]
	ds_read_b128 v[74:77], v68 offset:4352
	v_add_u32_e64 v64, s8, 0
	s_waitcnt lgkmcnt(1)
	v_fma_f64 v[44:45], -v[40:41], v[70:71], v[44:45]
	v_fma_f64 v[44:45], -v[42:43], v[72:73], v[44:45]
	ds_read_b128 v[70:73], v68 offset:4368
	s_waitcnt lgkmcnt(1)
	v_mul_f64 v[66:67], v[4:5], v[74:75]
	v_fma_f64 v[46:47], v[46:47], s[0:1], -v[66:67]
	v_fma_f64 v[46:47], -v[6:7], v[76:77], v[46:47]
	ds_read_b128 v[74:77], v68 offset:4400
	s_waitcnt lgkmcnt(1)
	v_fma_f64 v[46:47], -v[16:17], v[70:71], v[46:47]
	v_fma_f64 v[46:47], -v[18:19], v[72:73], v[46:47]
	ds_read_b128 v[70:73], v68 offset:4416
	v_fma_f64 v[46:47], -v[20:21], v[82:83], v[46:47]
	v_fma_f64 v[46:47], -v[22:23], v[84:85], v[46:47]
	ds_read_b128 v[82:85], v68 offset:4432
	s_waitcnt lgkmcnt(2)
	v_fma_f64 v[46:47], -v[12:13], v[74:75], v[46:47]
	v_fma_f64 v[46:47], -v[14:15], v[76:77], v[46:47]
	ds_read_b128 v[74:77], v68 offset:4448
	s_waitcnt lgkmcnt(2)
	v_fma_f64 v[46:47], -v[8:9], v[70:71], v[46:47]
	v_fma_f64 v[46:47], -v[10:11], v[72:73], v[46:47]
	ds_read_b128 v[70:73], v68 offset:4464
	ds_read2_b64 v[78:81], v64 offset0:16 offset1:82
	s_waitcnt lgkmcnt(3)
	v_fma_f64 v[46:47], -v[28:29], v[82:83], v[46:47]
	v_fma_f64 v[46:47], -v[30:31], v[84:85], v[46:47]
	ds_read_b128 v[82:85], v68 offset:4480
	s_waitcnt lgkmcnt(3)
	v_fma_f64 v[46:47], -v[32:33], v[74:75], v[46:47]
	v_fma_f64 v[46:47], -v[34:35], v[76:77], v[46:47]
	s_waitcnt lgkmcnt(2)
	v_fma_f64 v[46:47], -v[40:41], v[70:71], v[46:47]
	s_waitcnt lgkmcnt(1)
	v_mul_f64 v[44:45], v[78:79], v[44:45]
	v_fma_f64 v[46:47], -v[42:43], v[72:73], v[46:47]
	ds_read_b128 v[70:73], v68 offset:4608
	s_waitcnt lgkmcnt(1)
	v_fma_f64 v[46:47], -v[44:45], v[82:83], v[46:47]
	v_mul_f64 v[46:47], v[84:85], v[46:47]
	global_store_dwordx4 v[122:123], v[44:47], off offset:128
	ds_read_b128 v[74:77], v68 offset:4624
	ds_read_b128 v[82:85], v68 offset:4640
	s_waitcnt lgkmcnt(2)
	v_mul_f64 v[66:67], v[4:5], v[70:71]
	v_fma_f64 v[52:53], v[52:53], s[0:1], -v[66:67]
	v_fma_f64 v[52:53], -v[6:7], v[72:73], v[52:53]
	ds_read_b128 v[70:73], v68 offset:4656
	s_waitcnt lgkmcnt(2)
	v_fma_f64 v[52:53], -v[16:17], v[74:75], v[52:53]
	v_fma_f64 v[52:53], -v[18:19], v[76:77], v[52:53]
	ds_read_b128 v[74:77], v68 offset:4672
	s_waitcnt lgkmcnt(2)
	v_fma_f64 v[52:53], -v[20:21], v[82:83], v[52:53]
	;; [unrolled: 4-line block ×8, first 2 shown]
	v_fma_f64 v[52:53], -v[46:47], v[84:85], v[52:53]
	v_mul_f64 v[52:53], v[80:81], v[52:53]
	s_waitcnt lgkmcnt(1)
	v_mul_f64 v[66:67], v[4:5], v[70:71]
	ds_read_b128 v[78:81], v68 offset:4896
	v_fma_f64 v[54:55], v[54:55], s[0:1], -v[66:67]
	v_fma_f64 v[54:55], -v[6:7], v[72:73], v[54:55]
	ds_read_b128 v[70:73], v68 offset:4912
	s_waitcnt lgkmcnt(2)
	v_fma_f64 v[54:55], -v[16:17], v[74:75], v[54:55]
	v_fma_f64 v[54:55], -v[18:19], v[76:77], v[54:55]
	ds_read_b128 v[74:77], v68 offset:4928
	s_waitcnt lgkmcnt(2)
	v_fma_f64 v[54:55], -v[20:21], v[78:79], v[54:55]
	;; [unrolled: 4-line block ×7, first 2 shown]
	v_fma_f64 v[54:55], -v[42:43], v[76:77], v[54:55]
	s_waitcnt lgkmcnt(1)
	v_fma_f64 v[54:55], -v[44:45], v[78:79], v[54:55]
	v_fma_f64 v[54:55], -v[46:47], v[80:81], v[54:55]
	s_waitcnt lgkmcnt(0)
	v_fma_f64 v[54:55], -v[52:53], v[70:71], v[54:55]
	v_mul_f64 v[54:55], v[72:73], v[54:55]
	ds_read_b128 v[70:73], v68 offset:5120
	global_store_dwordx4 v[122:123], v[52:55], off offset:144
	ds_read_b128 v[74:77], v68 offset:5136
	ds_read_b128 v[78:81], v68 offset:5152
	;; [unrolled: 1-line block ×3, first 2 shown]
	s_movk_i32 s8, 0x1800
	v_add_u32_e64 v69, s8, 0
	s_waitcnt lgkmcnt(3)
	v_mul_f64 v[66:67], v[4:5], v[70:71]
	v_fma_f64 v[60:61], v[60:61], s[0:1], -v[66:67]
	v_fma_f64 v[60:61], -v[6:7], v[72:73], v[60:61]
	s_waitcnt lgkmcnt(2)
	v_fma_f64 v[60:61], -v[16:17], v[74:75], v[60:61]
	v_fma_f64 v[60:61], -v[18:19], v[76:77], v[60:61]
	ds_read_b128 v[70:73], v68 offset:5184
	ds_read_b128 v[74:77], v68 offset:5200
	s_waitcnt lgkmcnt(3)
	v_fma_f64 v[60:61], -v[20:21], v[78:79], v[60:61]
	v_fma_f64 v[60:61], -v[22:23], v[80:81], v[60:61]
	s_waitcnt lgkmcnt(2)
	v_fma_f64 v[60:61], -v[12:13], v[82:83], v[60:61]
	v_fma_f64 v[60:61], -v[14:15], v[84:85], v[60:61]
	ds_read_b128 v[78:81], v68 offset:5216
	s_waitcnt lgkmcnt(2)
	v_fma_f64 v[60:61], -v[8:9], v[70:71], v[60:61]
	v_fma_f64 v[60:61], -v[10:11], v[72:73], v[60:61]
	ds_read_b128 v[70:73], v68 offset:5232
	s_waitcnt lgkmcnt(2)
	v_fma_f64 v[60:61], -v[28:29], v[74:75], v[60:61]
	v_fma_f64 v[60:61], -v[30:31], v[76:77], v[60:61]
	ds_read_b128 v[74:77], v68 offset:5248
	s_waitcnt lgkmcnt(2)
	v_fma_f64 v[60:61], -v[32:33], v[78:79], v[60:61]
	v_fma_f64 v[60:61], -v[34:35], v[80:81], v[60:61]
	s_waitcnt lgkmcnt(1)
	v_fma_f64 v[60:61], -v[40:41], v[70:71], v[60:61]
	v_fma_f64 v[60:61], -v[42:43], v[72:73], v[60:61]
	ds_read_b128 v[70:73], v68 offset:5264
	s_waitcnt lgkmcnt(1)
	v_fma_f64 v[60:61], -v[44:45], v[74:75], v[60:61]
	ds_read2_b64 v[64:67], v64 offset0:148 offset1:214
	v_fma_f64 v[60:61], -v[46:47], v[76:77], v[60:61]
	ds_read_b128 v[74:77], v68 offset:5376
	s_waitcnt lgkmcnt(2)
	v_fma_f64 v[60:61], -v[52:53], v[70:71], v[60:61]
	v_fma_f64 v[60:61], -v[54:55], v[72:73], v[60:61]
	ds_read_b128 v[70:73], v68 offset:5392
	s_waitcnt lgkmcnt(2)
	v_mul_f64 v[60:61], v[64:65], v[60:61]
	s_waitcnt lgkmcnt(1)
	v_mul_f64 v[64:65], v[4:5], v[74:75]
	v_fma_f64 v[74:75], v[62:63], s[0:1], -v[64:65]
	ds_read_b128 v[62:65], v68 offset:5408
	v_fma_f64 v[74:75], -v[6:7], v[76:77], v[74:75]
	s_waitcnt lgkmcnt(1)
	v_fma_f64 v[70:71], -v[16:17], v[70:71], v[74:75]
	ds_read_b128 v[74:77], v68 offset:5424
	v_fma_f64 v[70:71], -v[18:19], v[72:73], v[70:71]
	s_waitcnt lgkmcnt(1)
	v_fma_f64 v[62:63], -v[20:21], v[62:63], v[70:71]
	;; [unrolled: 4-line block ×9, first 2 shown]
	v_fma_f64 v[62:63], -v[54:55], v[76:77], v[62:63]
	ds_read_b128 v[74:77], v68 offset:5632
	s_waitcnt lgkmcnt(1)
	v_fma_f64 v[62:63], -v[60:61], v[70:71], v[62:63]
	v_mul_f64 v[62:63], v[72:73], v[62:63]
	global_store_dwordx4 v[122:123], v[60:63], off offset:160
	ds_read_b128 v[70:73], v68 offset:5648
	ds_read_b128 v[78:81], v68 offset:5664
	s_waitcnt lgkmcnt(2)
	v_mul_f64 v[64:65], v[4:5], v[74:75]
	v_fma_f64 v[56:57], v[56:57], s[0:1], -v[64:65]
	v_fma_f64 v[56:57], -v[6:7], v[76:77], v[56:57]
	ds_read_b128 v[74:77], v68 offset:5680
	s_waitcnt lgkmcnt(2)
	v_fma_f64 v[56:57], -v[16:17], v[70:71], v[56:57]
	v_fma_f64 v[56:57], -v[18:19], v[72:73], v[56:57]
	ds_read_b128 v[70:73], v68 offset:5696
	s_waitcnt lgkmcnt(2)
	v_fma_f64 v[56:57], -v[20:21], v[78:79], v[56:57]
	;; [unrolled: 4-line block ×8, first 2 shown]
	v_fma_f64 v[56:57], -v[46:47], v[80:81], v[56:57]
	s_waitcnt lgkmcnt(1)
	v_fma_f64 v[56:57], -v[52:53], v[74:75], v[56:57]
	v_fma_f64 v[56:57], -v[54:55], v[76:77], v[56:57]
	ds_read_b128 v[74:77], v68 offset:5888
	s_waitcnt lgkmcnt(1)
	v_fma_f64 v[56:57], -v[60:61], v[70:71], v[56:57]
	v_fma_f64 v[56:57], -v[62:63], v[72:73], v[56:57]
	v_mul_f64 v[56:57], v[66:67], v[56:57]
	ds_read_b128 v[64:67], v68 offset:5904
	s_waitcnt lgkmcnt(1)
	v_mul_f64 v[70:71], v[4:5], v[74:75]
	v_fma_f64 v[58:59], v[58:59], s[0:1], -v[70:71]
	ds_read_b128 v[70:73], v68 offset:5920
	v_fma_f64 v[58:59], -v[6:7], v[76:77], v[58:59]
	ds_read_b128 v[74:77], v68 offset:5936
	s_waitcnt lgkmcnt(2)
	v_fma_f64 v[58:59], -v[16:17], v[64:65], v[58:59]
	v_fma_f64 v[58:59], -v[18:19], v[66:67], v[58:59]
	ds_read_b128 v[64:67], v68 offset:5952
	s_waitcnt lgkmcnt(2)
	v_fma_f64 v[58:59], -v[20:21], v[70:71], v[58:59]
	;; [unrolled: 4-line block ×5, first 2 shown]
	v_fma_f64 v[58:59], -v[30:31], v[72:73], v[58:59]
	s_waitcnt lgkmcnt(1)
	v_fma_f64 v[58:59], -v[32:33], v[74:75], v[58:59]
	ds_read_b128 v[70:73], v68 offset:6016
	v_fma_f64 v[58:59], -v[34:35], v[76:77], v[58:59]
	s_waitcnt lgkmcnt(1)
	v_fma_f64 v[58:59], -v[40:41], v[64:65], v[58:59]
	v_fma_f64 v[58:59], -v[42:43], v[66:67], v[58:59]
	ds_read_b128 v[64:67], v68 offset:6032
	ds_read_b128 v[74:77], v68 offset:6048
	s_waitcnt lgkmcnt(2)
	v_fma_f64 v[58:59], -v[44:45], v[70:71], v[58:59]
	v_fma_f64 v[58:59], -v[46:47], v[72:73], v[58:59]
	ds_read_b128 v[70:73], v68 offset:6064
	s_waitcnt lgkmcnt(2)
	v_fma_f64 v[58:59], -v[52:53], v[64:65], v[58:59]
	v_fma_f64 v[58:59], -v[54:55], v[66:67], v[58:59]
	s_waitcnt lgkmcnt(1)
	v_fma_f64 v[58:59], -v[60:61], v[74:75], v[58:59]
	ds_read_b128 v[64:67], v68 offset:6144
	v_fma_f64 v[58:59], -v[62:63], v[76:77], v[58:59]
	s_waitcnt lgkmcnt(1)
	v_fma_f64 v[58:59], -v[56:57], v[70:71], v[58:59]
	v_mul_f64 v[58:59], v[72:73], v[58:59]
	global_store_dwordx4 v[122:123], v[56:59], off offset:176
	ds_read_b128 v[70:73], v68 offset:6160
	ds_read_b128 v[74:77], v68 offset:6176
	;; [unrolled: 1-line block ×3, first 2 shown]
	s_waitcnt lgkmcnt(3)
	v_mul_f64 v[64:65], v[4:5], v[64:65]
	s_waitcnt vmcnt(12)
	v_fma_f64 v[48:49], v[48:49], s[0:1], -v[64:65]
	v_fma_f64 v[48:49], -v[6:7], v[66:67], v[48:49]
	s_waitcnt lgkmcnt(2)
	v_fma_f64 v[48:49], -v[16:17], v[70:71], v[48:49]
	v_fma_f64 v[48:49], -v[18:19], v[72:73], v[48:49]
	ds_read_b128 v[64:67], v68 offset:6208
	ds_read_b128 v[70:73], v68 offset:6224
	s_waitcnt lgkmcnt(3)
	v_fma_f64 v[48:49], -v[20:21], v[74:75], v[48:49]
	v_fma_f64 v[48:49], -v[22:23], v[76:77], v[48:49]
	s_waitcnt lgkmcnt(2)
	v_fma_f64 v[48:49], -v[12:13], v[78:79], v[48:49]
	v_fma_f64 v[48:49], -v[14:15], v[80:81], v[48:49]
	ds_read_b128 v[74:77], v68 offset:6240
	s_waitcnt lgkmcnt(2)
	v_fma_f64 v[48:49], -v[8:9], v[64:65], v[48:49]
	v_fma_f64 v[48:49], -v[10:11], v[66:67], v[48:49]
	ds_read_b128 v[64:67], v68 offset:6256
	;; [unrolled: 4-line block ×6, first 2 shown]
	s_waitcnt lgkmcnt(2)
	v_fma_f64 v[48:49], -v[52:53], v[74:75], v[48:49]
	v_fma_f64 v[48:49], -v[54:55], v[76:77], v[48:49]
	s_waitcnt lgkmcnt(1)
	v_fma_f64 v[48:49], -v[60:61], v[78:79], v[48:49]
	ds_read2_b64 v[64:67], v69 offset0:24 offset1:90
	ds_read_b128 v[74:77], v68 offset:6400
	v_fma_f64 v[48:49], -v[62:63], v[80:81], v[48:49]
	s_waitcnt lgkmcnt(2)
	v_fma_f64 v[48:49], -v[56:57], v[70:71], v[48:49]
	v_fma_f64 v[48:49], -v[58:59], v[72:73], v[48:49]
	ds_read_b128 v[70:73], v68 offset:6416
	s_waitcnt lgkmcnt(2)
	v_mul_f64 v[48:49], v[64:65], v[48:49]
	s_waitcnt lgkmcnt(1)
	v_mul_f64 v[64:65], v[4:5], v[74:75]
	ds_read_b128 v[78:81], v68 offset:6432
	v_fma_f64 v[50:51], v[50:51], s[0:1], -v[64:65]
	v_fma_f64 v[50:51], -v[6:7], v[76:77], v[50:51]
	ds_read_b128 v[74:77], v68 offset:6448
	s_waitcnt lgkmcnt(2)
	v_fma_f64 v[50:51], -v[16:17], v[70:71], v[50:51]
	v_fma_f64 v[50:51], -v[18:19], v[72:73], v[50:51]
	ds_read_b128 v[70:73], v68 offset:6464
	s_waitcnt lgkmcnt(2)
	v_fma_f64 v[50:51], -v[20:21], v[78:79], v[50:51]
	;; [unrolled: 4-line block ×11, first 2 shown]
	v_fma_f64 v[50:51], -v[58:59], v[80:81], v[50:51]
	s_waitcnt lgkmcnt(1)
	v_fma_f64 v[50:51], -v[48:49], v[74:75], v[50:51]
	v_mul_f64 v[50:51], v[76:77], v[50:51]
	global_store_dwordx4 v[122:123], v[48:51], off offset:192
	ds_read_b128 v[74:77], v68 offset:6672
	ds_read_b128 v[78:81], v68 offset:6688
	s_waitcnt lgkmcnt(2)
	v_mul_f64 v[64:65], v[4:5], v[70:71]
	v_fma_f64 v[36:37], v[36:37], s[0:1], -v[64:65]
	v_fma_f64 v[36:37], -v[6:7], v[72:73], v[36:37]
	ds_read_b128 v[70:73], v68 offset:6704
	s_waitcnt lgkmcnt(2)
	v_fma_f64 v[36:37], -v[16:17], v[74:75], v[36:37]
	v_fma_f64 v[36:37], -v[18:19], v[76:77], v[36:37]
	ds_read_b128 v[74:77], v68 offset:6720
	s_waitcnt lgkmcnt(2)
	v_fma_f64 v[36:37], -v[20:21], v[78:79], v[36:37]
	;; [unrolled: 4-line block ×10, first 2 shown]
	v_fma_f64 v[36:37], -v[62:63], v[76:77], v[36:37]
	s_waitcnt lgkmcnt(1)
	v_fma_f64 v[36:37], -v[56:57], v[78:79], v[36:37]
	ds_read_b128 v[74:77], v68 offset:6912
	v_fma_f64 v[36:37], -v[58:59], v[80:81], v[36:37]
	s_waitcnt lgkmcnt(1)
	v_fma_f64 v[36:37], -v[48:49], v[70:71], v[36:37]
	v_fma_f64 v[36:37], -v[50:51], v[72:73], v[36:37]
	v_mul_f64 v[36:37], v[66:67], v[36:37]
	ds_read_b128 v[64:67], v68 offset:6928
	s_waitcnt lgkmcnt(1)
	v_mul_f64 v[70:71], v[4:5], v[74:75]
	v_fma_f64 v[38:39], v[38:39], s[0:1], -v[70:71]
	ds_read_b128 v[70:73], v68 offset:6944
	v_fma_f64 v[38:39], -v[6:7], v[76:77], v[38:39]
	ds_read_b128 v[74:77], v68 offset:6960
	s_waitcnt lgkmcnt(2)
	v_fma_f64 v[38:39], -v[16:17], v[64:65], v[38:39]
	v_fma_f64 v[38:39], -v[18:19], v[66:67], v[38:39]
	ds_read_b128 v[64:67], v68 offset:6976
	s_waitcnt lgkmcnt(2)
	v_fma_f64 v[38:39], -v[20:21], v[70:71], v[38:39]
	;; [unrolled: 4-line block ×11, first 2 shown]
	v_fma_f64 v[38:39], -v[58:59], v[72:73], v[38:39]
	s_waitcnt lgkmcnt(1)
	v_fma_f64 v[38:39], -v[48:49], v[74:75], v[38:39]
	v_fma_f64 v[38:39], -v[50:51], v[76:77], v[38:39]
	s_waitcnt lgkmcnt(0)
	v_fma_f64 v[38:39], -v[36:37], v[64:65], v[38:39]
	v_mul_f64 v[38:39], v[66:67], v[38:39]
	ds_read_b128 v[64:67], v68 offset:7168
	global_store_dwordx4 v[122:123], v[36:39], off offset:208
	ds_read_b128 v[70:73], v68 offset:7184
	ds_read_b128 v[74:77], v68 offset:7200
	ds_read_b128 v[78:81], v68 offset:7216
	s_mov_b32 s8, 32
	s_waitcnt lgkmcnt(3)
	v_mul_f64 v[64:65], v[4:5], v[64:65]
	v_fma_f64 v[24:25], v[24:25], s[0:1], -v[64:65]
	v_fma_f64 v[24:25], -v[6:7], v[66:67], v[24:25]
	s_waitcnt lgkmcnt(2)
	v_fma_f64 v[24:25], -v[16:17], v[70:71], v[24:25]
	v_fma_f64 v[24:25], -v[18:19], v[72:73], v[24:25]
	ds_read_b128 v[64:67], v68 offset:7232
	ds_read_b128 v[70:73], v68 offset:7248
	s_waitcnt lgkmcnt(3)
	v_fma_f64 v[24:25], -v[20:21], v[74:75], v[24:25]
	v_fma_f64 v[24:25], -v[22:23], v[76:77], v[24:25]
	s_waitcnt lgkmcnt(2)
	v_fma_f64 v[24:25], -v[12:13], v[78:79], v[24:25]
	v_fma_f64 v[24:25], -v[14:15], v[80:81], v[24:25]
	ds_read_b128 v[74:77], v68 offset:7264
	s_waitcnt lgkmcnt(2)
	v_fma_f64 v[24:25], -v[8:9], v[64:65], v[24:25]
	v_fma_f64 v[24:25], -v[10:11], v[66:67], v[24:25]
	ds_read_b128 v[64:67], v68 offset:7280
	;; [unrolled: 4-line block ×6, first 2 shown]
	s_waitcnt lgkmcnt(2)
	v_fma_f64 v[24:25], -v[52:53], v[74:75], v[24:25]
	v_fma_f64 v[24:25], -v[54:55], v[76:77], v[24:25]
	s_waitcnt lgkmcnt(1)
	v_fma_f64 v[24:25], -v[60:61], v[64:65], v[24:25]
	ds_read_b128 v[74:77], v68 offset:7360
	v_fma_f64 v[24:25], -v[62:63], v[66:67], v[24:25]
	s_waitcnt lgkmcnt(1)
	v_fma_f64 v[24:25], -v[56:57], v[70:71], v[24:25]
	v_fma_f64 v[24:25], -v[58:59], v[72:73], v[24:25]
	ds_read_b128 v[70:73], v68 offset:7376
	s_waitcnt lgkmcnt(1)
	v_fma_f64 v[24:25], -v[48:49], v[74:75], v[24:25]
	ds_read2_b64 v[64:67], v69 offset0:156 offset1:222
	v_fma_f64 v[24:25], -v[50:51], v[76:77], v[24:25]
	ds_read_b128 v[74:77], v68 offset:7424
	s_waitcnt lgkmcnt(2)
	v_fma_f64 v[24:25], -v[36:37], v[70:71], v[24:25]
	v_fma_f64 v[24:25], -v[38:39], v[72:73], v[24:25]
	ds_read_b128 v[70:73], v68 offset:7440
	s_waitcnt lgkmcnt(2)
	v_mul_f64 v[24:25], v[64:65], v[24:25]
	s_waitcnt lgkmcnt(1)
	v_mul_f64 v[64:65], v[4:5], v[74:75]
	ds_read_b128 v[78:81], v68 offset:7456
	v_fma_f64 v[26:27], v[26:27], s[0:1], -v[64:65]
	v_fma_f64 v[26:27], -v[6:7], v[76:77], v[26:27]
	ds_read_b128 v[74:77], v68 offset:7472
	s_waitcnt lgkmcnt(2)
	v_fma_f64 v[26:27], -v[16:17], v[70:71], v[26:27]
	v_fma_f64 v[26:27], -v[18:19], v[72:73], v[26:27]
	ds_read_b128 v[70:73], v68 offset:7488
	s_waitcnt lgkmcnt(2)
	v_fma_f64 v[26:27], -v[20:21], v[78:79], v[26:27]
	;; [unrolled: 4-line block ×12, first 2 shown]
	v_fma_f64 v[26:27], -v[50:51], v[76:77], v[26:27]
	s_waitcnt lgkmcnt(1)
	v_fma_f64 v[26:27], -v[36:37], v[70:71], v[26:27]
	v_fma_f64 v[26:27], -v[38:39], v[72:73], v[26:27]
	ds_read_b128 v[70:73], v68 offset:7680
	s_waitcnt lgkmcnt(1)
	v_fma_f64 v[26:27], -v[24:25], v[78:79], v[26:27]
	v_mul_f64 v[26:27], v[80:81], v[26:27]
	global_store_dwordx4 v[122:123], v[24:27], off offset:224
	ds_read_b128 v[74:77], v68 offset:7696
	ds_read_b128 v[78:81], v68 offset:7712
	s_waitcnt lgkmcnt(2)
	v_mul_f64 v[64:65], v[4:5], v[70:71]
	v_fma_f64 v[0:1], v[0:1], s[0:1], -v[64:65]
	v_fma_f64 v[0:1], -v[6:7], v[72:73], v[0:1]
	ds_read_b128 v[70:73], v68 offset:7728
	s_waitcnt lgkmcnt(2)
	v_fma_f64 v[0:1], -v[16:17], v[74:75], v[0:1]
	v_fma_f64 v[0:1], -v[18:19], v[76:77], v[0:1]
	ds_read_b128 v[74:77], v68 offset:7744
	s_waitcnt lgkmcnt(2)
	v_fma_f64 v[0:1], -v[20:21], v[78:79], v[0:1]
	;; [unrolled: 4-line block ×12, first 2 shown]
	v_fma_f64 v[0:1], -v[50:51], v[72:73], v[0:1]
	s_waitcnt lgkmcnt(1)
	v_fma_f64 v[0:1], -v[36:37], v[74:75], v[0:1]
	ds_read_b128 v[70:73], v68 offset:7936
	v_fma_f64 v[0:1], -v[38:39], v[76:77], v[0:1]
	s_waitcnt lgkmcnt(1)
	v_fma_f64 v[0:1], -v[24:25], v[78:79], v[0:1]
	v_fma_f64 v[0:1], -v[26:27], v[80:81], v[0:1]
	v_mul_f64 v[0:1], v[66:67], v[0:1]
	ds_read_b128 v[64:67], v68 offset:7952
	s_waitcnt lgkmcnt(1)
	v_mul_f64 v[4:5], v[4:5], v[70:71]
	v_fma_f64 v[70:71], v[2:3], s[0:1], -v[4:5]
	ds_read_b128 v[2:5], v68 offset:7968
	v_fma_f64 v[6:7], -v[6:7], v[72:73], v[70:71]
	ds_read_b128 v[70:73], v68 offset:7984
	s_waitcnt lgkmcnt(2)
	v_fma_f64 v[6:7], -v[16:17], v[64:65], v[6:7]
	v_fma_f64 v[6:7], -v[18:19], v[66:67], v[6:7]
	s_waitcnt lgkmcnt(1)
	v_fma_f64 v[2:3], -v[20:21], v[2:3], v[6:7]
	ds_read_b128 v[16:19], v68 offset:8000
	v_fma_f64 v[2:3], -v[22:23], v[4:5], v[2:3]
	s_waitcnt lgkmcnt(1)
	v_fma_f64 v[6:7], -v[12:13], v[70:71], v[2:3]
	ds_read_b128 v[2:5], v68 offset:8016
	;; [unrolled: 4-line block ×9, first 2 shown]
	v_fma_f64 v[10:11], -v[62:63], v[12:13], v[10:11]
	s_waitcnt lgkmcnt(1)
	v_fma_f64 v[2:3], -v[56:57], v[2:3], v[10:11]
	v_fma_f64 v[10:11], -v[58:59], v[4:5], v[2:3]
	ds_read_b128 v[2:5], v68 offset:8144
	s_waitcnt lgkmcnt(1)
	v_fma_f64 v[6:7], -v[48:49], v[6:7], v[10:11]
	ds_read_b128 v[10:13], v68 offset:8160
	v_fma_f64 v[14:15], -v[50:51], v[8:9], v[6:7]
	ds_read_b128 v[6:9], v68 offset:8176
	s_waitcnt lgkmcnt(2)
	v_fma_f64 v[2:3], -v[36:37], v[2:3], v[14:15]
	v_fma_f64 v[2:3], -v[38:39], v[4:5], v[2:3]
	s_waitcnt lgkmcnt(1)
	v_fma_f64 v[2:3], -v[24:25], v[10:11], v[2:3]
	v_fma_f64 v[2:3], -v[26:27], v[12:13], v[2:3]
	s_waitcnt lgkmcnt(0)
	v_fma_f64 v[2:3], -v[0:1], v[6:7], v[2:3]
	v_mul_f64 v[2:3], v[8:9], v[2:3]
	global_store_dwordx4 v[122:123], v[0:3], off offset:240
.LBB103_14:
	s_cmp_lt_i32 s8, s16
	s_cbranch_scc0 .LBB103_34
; %bb.15:
	s_or_b32 s9, s8, 27
	s_cmp_ge_u32 s9, s16
	s_cbranch_scc1 .LBB103_23
; %bb.16:
	s_lshl_b32 s12, s8, 3
	v_add_co_u32_e32 v58, vcc, s12, v122
	v_addc_co_u32_e32 v59, vcc, 0, v123, vcc
	global_load_dwordx4 v[0:3], v[58:59], off
	global_load_dwordx4 v[4:7], v[58:59], off offset:16
	global_load_dwordx4 v[8:11], v[58:59], off offset:32
	;; [unrolled: 1-line block ×13, first 2 shown]
	s_andn2_b64 vcc, exec, s[6:7]
	s_waitcnt vmcnt(13)
	v_mul_f64 v[0:1], v[0:1], s[0:1]
	v_mul_f64 v[42:43], v[2:3], s[0:1]
	s_waitcnt vmcnt(12)
	v_mul_f64 v[70:71], v[4:5], s[0:1]
	v_mul_f64 v[68:69], v[6:7], s[0:1]
	;; [unrolled: 3-line block ×14, first 2 shown]
	s_cbranch_vccnz .LBB103_18
; %bb.17:
	s_lshl_b32 s13, s9, 5
	s_mov_b64 s[6:7], 0
	s_branch .LBB103_19
.LBB103_18:
	s_mov_b64 s[6:7], -1
                                        ; implicit-def: $sgpr13
.LBB103_19:
	s_andn2_b64 vcc, exec, s[6:7]
	s_cbranch_vccnz .LBB103_22
; %bb.20:
	s_lshl_b32 s13, s9, 5
	s_lshl_b32 s6, s8, 8
	s_mov_b32 s7, 0
	v_pk_mov_b32 v[2:3], v[122:123], v[122:123] op_sel:[0,1]
.LBB103_21:                             ; =>This Inner Loop Header: Depth=1
	global_load_dwordx2 v[12:13], v[2:3], off
	v_mov_b32_e32 v44, s6
	v_add_u32_e32 v45, 0x800, v44
	v_add_u32_e32 v108, 0x1000, v44
	ds_read2_b64 v[4:7], v44 offset1:32
	ds_read2_b64 v[8:11], v44 offset0:64 offset1:96
	ds_read2_b64 v[72:75], v44 offset0:128 offset1:160
	;; [unrolled: 1-line block ×3, first 2 shown]
	v_add_u32_e32 v44, 0x1800, v44
	ds_read2_b64 v[80:83], v45 offset1:32
	ds_read2_b64 v[84:87], v45 offset0:64 offset1:96
	ds_read2_b64 v[88:91], v45 offset0:128 offset1:160
	;; [unrolled: 1-line block ×3, first 2 shown]
	ds_read2_b64 v[96:99], v108 offset1:32
	ds_read2_b64 v[100:103], v108 offset0:64 offset1:96
	ds_read2_b64 v[104:107], v108 offset0:128 offset1:160
	;; [unrolled: 1-line block ×3, first 2 shown]
	ds_read2_b64 v[112:115], v44 offset1:32
	ds_read2_b64 v[116:119], v44 offset0:64 offset1:96
	s_add_i32 s7, s7, 1
	s_add_i32 s6, s6, 8
	v_add_co_u32_e32 v2, vcc, 8, v2
	v_addc_co_u32_e32 v3, vcc, 0, v3, vcc
	s_cmp_lt_u32 s7, s8
	s_waitcnt vmcnt(0) lgkmcnt(13)
	v_fma_f64 v[0:1], -v[12:13], v[4:5], v[0:1]
	v_fma_f64 v[42:43], -v[12:13], v[6:7], v[42:43]
	s_waitcnt lgkmcnt(12)
	v_fma_f64 v[70:71], -v[12:13], v[8:9], v[70:71]
	v_fma_f64 v[68:69], -v[12:13], v[10:11], v[68:69]
	s_waitcnt lgkmcnt(11)
	;; [unrolled: 3-line block ×13, first 2 shown]
	v_fma_f64 v[62:63], -v[12:13], v[116:117], v[62:63]
	v_fma_f64 v[60:61], -v[12:13], v[118:119], v[60:61]
	s_cbranch_scc1 .LBB103_21
.LBB103_22:
	s_mul_i32 s6, s8, 0x108
	v_mov_b32_e32 v73, s6
	s_lshl_b32 s7, s8, 5
	ds_read2_b64 v[2:5], v73 offset1:66
	s_add_i32 s7, s8, s7
	s_lshl_b32 s7, s7, 3
	v_mov_b32_e32 v72, s7
	s_lshl_b32 s7, s8, 8
	s_or_b32 s7, s7, s12
	ds_read_b128 v[74:77], v72 offset:256
	s_or_b32 s15, s7, 0x200
	s_waitcnt lgkmcnt(1)
	v_mul_f64 v[0:1], v[2:3], v[0:1]
	v_mov_b32_e32 v2, s15
	ds_read_b128 v[6:9], v72 offset:768
	ds_read_b128 v[10:13], v2
	s_waitcnt lgkmcnt(2)
	v_fma_f64 v[2:3], -v[0:1], v[74:75], v[42:43]
	v_mul_f64 v[2:3], v[76:77], v[2:3]
	ds_read_b128 v[42:45], v72 offset:6592
	global_store_dwordx4 v[58:59], v[0:3], off
	s_waitcnt lgkmcnt(1)
	v_fma_f64 v[10:11], -v[0:1], v[10:11], v[70:71]
	v_fma_f64 v[10:11], -v[2:3], v[12:13], v[10:11]
	v_mul_f64 v[10:11], v[4:5], v[10:11]
	v_fma_f64 v[4:5], -v[0:1], v[6:7], v[68:69]
	v_fma_f64 v[8:9], -v[2:3], v[8:9], v[4:5]
	ds_read_b128 v[4:7], v72 offset:784
	s_or_b32 s15, s7, 0x400
	v_mov_b32_e32 v78, s15
	ds_read_b128 v[68:71], v72 offset:1280
	ds_read_b128 v[74:77], v78
	s_or_b32 s15, s7, 0x600
	s_waitcnt lgkmcnt(2)
	v_fma_f64 v[4:5], -v[10:11], v[4:5], v[8:9]
	v_mul_f64 v[12:13], v[6:7], v[4:5]
	ds_read_b128 v[4:7], v78 offset:16
	s_waitcnt lgkmcnt(1)
	v_fma_f64 v[8:9], -v[0:1], v[74:75], v[66:67]
	v_fma_f64 v[8:9], -v[2:3], v[76:77], v[8:9]
	ds_read2_b64 v[78:81], v73 offset0:132 offset1:198
	v_fma_f64 v[64:65], -v[0:1], v[68:69], v[64:65]
	s_waitcnt lgkmcnt(1)
	v_fma_f64 v[4:5], -v[10:11], v[4:5], v[8:9]
	v_fma_f64 v[4:5], -v[12:13], v[6:7], v[4:5]
	ds_read_b128 v[6:9], v72 offset:1296
	s_waitcnt lgkmcnt(1)
	v_mul_f64 v[4:5], v[78:79], v[4:5]
	v_fma_f64 v[68:69], -v[2:3], v[70:71], v[64:65]
	ds_read_b128 v[64:67], v72 offset:1312
	v_mov_b32_e32 v78, s15
	s_waitcnt lgkmcnt(1)
	v_fma_f64 v[6:7], -v[10:11], v[6:7], v[68:69]
	ds_read_b128 v[68:71], v78
	ds_read_b128 v[74:77], v78 offset:16
	v_fma_f64 v[6:7], -v[12:13], v[8:9], v[6:7]
	s_waitcnt lgkmcnt(2)
	v_fma_f64 v[6:7], -v[4:5], v[64:65], v[6:7]
	v_mul_f64 v[6:7], v[66:67], v[6:7]
	s_waitcnt lgkmcnt(1)
	v_fma_f64 v[8:9], -v[0:1], v[68:69], v[14:15]
	v_fma_f64 v[8:9], -v[2:3], v[70:71], v[8:9]
	ds_read_b128 v[64:67], v78 offset:32
	s_or_b32 s15, s7, 0x800
	global_store_dwordx4 v[58:59], v[10:13], off offset:16
	global_store_dwordx4 v[58:59], v[4:7], off offset:32
	s_waitcnt lgkmcnt(1)
	v_fma_f64 v[8:9], -v[10:11], v[74:75], v[8:9]
	v_mov_b32_e32 v90, s15
	v_fma_f64 v[8:9], -v[12:13], v[76:77], v[8:9]
	ds_read_b128 v[68:71], v90
	ds_read_b128 v[74:77], v72 offset:1792
	s_waitcnt lgkmcnt(2)
	v_fma_f64 v[8:9], -v[4:5], v[64:65], v[8:9]
	ds_read_b128 v[82:85], v72 offset:1808
	v_fma_f64 v[8:9], -v[6:7], v[66:67], v[8:9]
	v_mul_f64 v[14:15], v[80:81], v[8:9]
	s_waitcnt lgkmcnt(1)
	v_fma_f64 v[8:9], -v[0:1], v[74:75], v[16:17]
	v_fma_f64 v[8:9], -v[2:3], v[76:77], v[8:9]
	v_add_u32_e32 v16, 0x400, v72
	ds_read_b128 v[64:67], v72 offset:1824
	ds_read2_b64 v[74:77], v16 offset0:102 offset1:168
	s_waitcnt lgkmcnt(2)
	v_fma_f64 v[8:9], -v[10:11], v[82:83], v[8:9]
	v_fma_f64 v[8:9], -v[12:13], v[84:85], v[8:9]
	v_add_u32_e32 v16, 0x400, v73
	ds_read2_b64 v[78:81], v16 offset0:103 offset1:136
	ds_read_b128 v[82:85], v72 offset:2304
	s_waitcnt lgkmcnt(3)
	v_fma_f64 v[8:9], -v[4:5], v[64:65], v[8:9]
	v_fma_f64 v[8:9], -v[6:7], v[66:67], v[8:9]
	ds_read_b128 v[64:67], v90 offset:16
	ds_read_b128 v[86:89], v90 offset:32
	s_waitcnt lgkmcnt(4)
	v_fma_f64 v[8:9], -v[14:15], v[74:75], v[8:9]
	s_waitcnt lgkmcnt(3)
	v_mul_f64 v[16:17], v[78:79], v[8:9]
	v_fma_f64 v[8:9], -v[0:1], v[68:69], v[18:19]
	v_fma_f64 v[8:9], -v[2:3], v[70:71], v[8:9]
	s_waitcnt lgkmcnt(1)
	v_fma_f64 v[8:9], -v[10:11], v[64:65], v[8:9]
	v_fma_f64 v[8:9], -v[12:13], v[66:67], v[8:9]
	ds_read_b128 v[64:67], v90 offset:48
	s_waitcnt lgkmcnt(1)
	v_fma_f64 v[8:9], -v[4:5], v[86:87], v[8:9]
	v_fma_f64 v[8:9], -v[6:7], v[88:89], v[8:9]
	s_or_b32 s15, s7, 0xa00
	v_mov_b32_e32 v86, s15
	s_waitcnt lgkmcnt(0)
	v_fma_f64 v[8:9], -v[14:15], v[64:65], v[8:9]
	v_fma_f64 v[8:9], -v[16:17], v[66:67], v[8:9]
	ds_read_b128 v[64:67], v72 offset:2320
	v_mul_f64 v[18:19], v[80:81], v[8:9]
	ds_read_b128 v[78:81], v72 offset:2336
	v_fma_f64 v[8:9], -v[0:1], v[82:83], v[20:21]
	v_fma_f64 v[8:9], -v[2:3], v[84:85], v[8:9]
	s_waitcnt lgkmcnt(1)
	v_fma_f64 v[8:9], -v[10:11], v[64:65], v[8:9]
	ds_read_b128 v[68:71], v86
	v_fma_f64 v[8:9], -v[12:13], v[66:67], v[8:9]
	ds_read_b128 v[64:67], v72 offset:2352
	s_waitcnt lgkmcnt(2)
	v_fma_f64 v[8:9], -v[4:5], v[78:79], v[8:9]
	global_store_dwordx4 v[58:59], v[14:17], off offset:48
	v_fma_f64 v[8:9], -v[6:7], v[80:81], v[8:9]
	v_add_u32_e32 v73, 0x800, v73
	ds_read2_b64 v[78:81], v73 offset0:41 offset1:74
	ds_read_b128 v[82:85], v72 offset:2816
	s_waitcnt lgkmcnt(2)
	v_fma_f64 v[8:9], -v[14:15], v[64:65], v[8:9]
	v_fma_f64 v[8:9], -v[16:17], v[66:67], v[8:9]
	ds_read_b128 v[64:67], v86 offset:16
	v_fma_f64 v[8:9], -v[18:19], v[76:77], v[8:9]
	ds_read_b128 v[74:77], v86 offset:32
	s_waitcnt lgkmcnt(3)
	v_mul_f64 v[20:21], v[78:79], v[8:9]
	v_fma_f64 v[8:9], -v[0:1], v[68:69], v[22:23]
	v_fma_f64 v[8:9], -v[2:3], v[70:71], v[8:9]
	ds_read_b128 v[68:71], v86 offset:48
	s_waitcnt lgkmcnt(2)
	v_fma_f64 v[8:9], -v[10:11], v[64:65], v[8:9]
	v_fma_f64 v[8:9], -v[12:13], v[66:67], v[8:9]
	ds_read_b128 v[64:67], v86 offset:64
	s_waitcnt lgkmcnt(2)
	v_fma_f64 v[8:9], -v[4:5], v[74:75], v[8:9]
	v_fma_f64 v[8:9], -v[6:7], v[76:77], v[8:9]
	s_waitcnt lgkmcnt(1)
	v_fma_f64 v[8:9], -v[14:15], v[68:69], v[8:9]
	v_fma_f64 v[8:9], -v[16:17], v[70:71], v[8:9]
	;; [unrolled: 3-line block ×3, first 2 shown]
	ds_read_b128 v[64:67], v72 offset:2832
	ds_read_b128 v[68:71], v72 offset:2848
	v_mul_f64 v[22:23], v[80:81], v[8:9]
	v_fma_f64 v[8:9], -v[0:1], v[82:83], v[24:25]
	v_fma_f64 v[8:9], -v[2:3], v[84:85], v[8:9]
	ds_read_b128 v[74:77], v72 offset:2864
	s_waitcnt lgkmcnt(2)
	v_fma_f64 v[8:9], -v[10:11], v[64:65], v[8:9]
	v_fma_f64 v[8:9], -v[12:13], v[66:67], v[8:9]
	ds_read_b128 v[64:67], v72 offset:2880
	s_waitcnt lgkmcnt(2)
	v_fma_f64 v[8:9], -v[4:5], v[68:69], v[8:9]
	global_store_dwordx4 v[58:59], v[18:21], off offset:64
	v_fma_f64 v[8:9], -v[6:7], v[70:71], v[8:9]
	v_add_u32_e32 v24, 0x800, v72
	s_waitcnt lgkmcnt(1)
	v_fma_f64 v[8:9], -v[14:15], v[74:75], v[8:9]
	ds_read2_b64 v[68:71], v24 offset0:106 offset1:172
	ds_read2_b64 v[78:81], v73 offset0:107 offset1:140
	v_fma_f64 v[8:9], -v[16:17], v[76:77], v[8:9]
	s_waitcnt lgkmcnt(2)
	v_fma_f64 v[8:9], -v[18:19], v[64:65], v[8:9]
	v_fma_f64 v[8:9], -v[20:21], v[66:67], v[8:9]
	s_or_b32 s15, s7, 0xc00
	s_waitcnt lgkmcnt(1)
	v_fma_f64 v[8:9], -v[22:23], v[68:69], v[8:9]
	v_mov_b32_e32 v68, s15
	ds_read_b128 v[64:67], v68
	s_waitcnt lgkmcnt(1)
	v_mul_f64 v[24:25], v[78:79], v[8:9]
	global_store_dwordx4 v[58:59], v[22:25], off offset:80
	ds_read_b128 v[74:77], v68 offset:16
	ds_read_b128 v[82:85], v68 offset:32
	;; [unrolled: 1-line block ×3, first 2 shown]
	s_or_b32 s7, s7, 0xe00
	s_waitcnt lgkmcnt(3)
	v_fma_f64 v[8:9], -v[0:1], v[64:65], v[26:27]
	v_fma_f64 v[8:9], -v[2:3], v[66:67], v[8:9]
	s_waitcnt lgkmcnt(2)
	v_fma_f64 v[8:9], -v[10:11], v[74:75], v[8:9]
	v_fma_f64 v[8:9], -v[12:13], v[76:77], v[8:9]
	ds_read_b128 v[64:67], v68 offset:64
	ds_read_b128 v[74:77], v68 offset:80
	s_waitcnt lgkmcnt(3)
	v_fma_f64 v[8:9], -v[4:5], v[82:83], v[8:9]
	v_fma_f64 v[8:9], -v[6:7], v[84:85], v[8:9]
	s_waitcnt lgkmcnt(2)
	v_fma_f64 v[8:9], -v[14:15], v[86:87], v[8:9]
	v_fma_f64 v[8:9], -v[16:17], v[88:89], v[8:9]
	;; [unrolled: 3-line block ×3, first 2 shown]
	ds_read_b128 v[64:67], v72 offset:3328
	s_waitcnt lgkmcnt(1)
	v_fma_f64 v[8:9], -v[22:23], v[74:75], v[8:9]
	v_fma_f64 v[8:9], -v[24:25], v[76:77], v[8:9]
	v_mul_f64 v[26:27], v[80:81], v[8:9]
	ds_read_b128 v[74:77], v72 offset:3344
	ds_read_b128 v[78:81], v72 offset:3360
	;; [unrolled: 1-line block ×3, first 2 shown]
	s_waitcnt lgkmcnt(3)
	v_fma_f64 v[8:9], -v[0:1], v[64:65], v[28:29]
	v_fma_f64 v[8:9], -v[2:3], v[66:67], v[8:9]
	s_waitcnt lgkmcnt(2)
	v_fma_f64 v[8:9], -v[10:11], v[74:75], v[8:9]
	v_fma_f64 v[8:9], -v[12:13], v[76:77], v[8:9]
	ds_read_b128 v[64:67], v72 offset:3392
	ds_read_b128 v[74:77], v72 offset:3408
	s_waitcnt lgkmcnt(3)
	v_fma_f64 v[8:9], -v[4:5], v[78:79], v[8:9]
	v_fma_f64 v[8:9], -v[6:7], v[80:81], v[8:9]
	s_waitcnt lgkmcnt(2)
	v_fma_f64 v[8:9], -v[14:15], v[82:83], v[8:9]
	v_fma_f64 v[8:9], -v[16:17], v[84:85], v[8:9]
	s_waitcnt lgkmcnt(1)
	v_fma_f64 v[8:9], -v[18:19], v[64:65], v[8:9]
	ds_read2_b64 v[78:81], v73 offset0:173 offset1:206
	v_fma_f64 v[8:9], -v[20:21], v[66:67], v[8:9]
	s_waitcnt lgkmcnt(1)
	v_fma_f64 v[8:9], -v[22:23], v[74:75], v[8:9]
	v_mov_b32_e32 v73, s7
	v_fma_f64 v[8:9], -v[24:25], v[76:77], v[8:9]
	ds_read_b128 v[64:67], v73
	v_fma_f64 v[8:9], -v[26:27], v[70:71], v[8:9]
	s_waitcnt lgkmcnt(1)
	v_mul_f64 v[28:29], v[78:79], v[8:9]
	global_store_dwordx4 v[58:59], v[26:29], off offset:96
	ds_read_b128 v[68:71], v73 offset:16
	ds_read_b128 v[74:77], v73 offset:32
	;; [unrolled: 1-line block ×3, first 2 shown]
	s_waitcnt lgkmcnt(3)
	v_fma_f64 v[8:9], -v[0:1], v[64:65], v[30:31]
	v_fma_f64 v[8:9], -v[2:3], v[66:67], v[8:9]
	s_waitcnt lgkmcnt(2)
	v_fma_f64 v[8:9], -v[10:11], v[68:69], v[8:9]
	v_fma_f64 v[8:9], -v[12:13], v[70:71], v[8:9]
	ds_read_b128 v[64:67], v73 offset:64
	ds_read_b128 v[68:71], v73 offset:80
	s_waitcnt lgkmcnt(3)
	v_fma_f64 v[8:9], -v[4:5], v[74:75], v[8:9]
	v_fma_f64 v[8:9], -v[6:7], v[76:77], v[8:9]
	s_waitcnt lgkmcnt(2)
	v_fma_f64 v[8:9], -v[14:15], v[82:83], v[8:9]
	v_fma_f64 v[8:9], -v[16:17], v[84:85], v[8:9]
	;; [unrolled: 3-line block ×3, first 2 shown]
	ds_read_b128 v[64:67], v73 offset:96
	s_or_b32 s7, s8, 16
	s_waitcnt lgkmcnt(1)
	v_fma_f64 v[8:9], -v[22:23], v[68:69], v[8:9]
	s_lshl_b32 s15, s7, 8
	v_fma_f64 v[8:9], -v[24:25], v[70:71], v[8:9]
	s_or_b32 s15, s15, s12
	v_mov_b32_e32 v73, s15
	s_waitcnt lgkmcnt(0)
	v_fma_f64 v[8:9], -v[26:27], v[64:65], v[8:9]
	ds_read_b128 v[68:71], v73
	v_fma_f64 v[8:9], -v[28:29], v[66:67], v[8:9]
	ds_read_b128 v[64:67], v72 offset:3840
	v_mul_f64 v[30:31], v[80:81], v[8:9]
	ds_read_b128 v[74:77], v72 offset:3856
	ds_read_b128 v[78:81], v72 offset:3872
	;; [unrolled: 1-line block ×3, first 2 shown]
	s_mulk_i32 s7, 0x108
	s_or_b32 s6, s8, 28
	s_waitcnt lgkmcnt(3)
	v_fma_f64 v[8:9], -v[0:1], v[64:65], v[32:33]
	v_fma_f64 v[8:9], -v[2:3], v[66:67], v[8:9]
	s_waitcnt lgkmcnt(2)
	v_fma_f64 v[8:9], -v[10:11], v[74:75], v[8:9]
	v_fma_f64 v[8:9], -v[12:13], v[76:77], v[8:9]
	ds_read_b128 v[64:67], v72 offset:3904
	ds_read_b128 v[74:77], v72 offset:3920
	s_waitcnt lgkmcnt(3)
	v_fma_f64 v[8:9], -v[4:5], v[78:79], v[8:9]
	v_fma_f64 v[8:9], -v[6:7], v[80:81], v[8:9]
	s_waitcnt lgkmcnt(2)
	v_fma_f64 v[8:9], -v[14:15], v[82:83], v[8:9]
	v_fma_f64 v[8:9], -v[16:17], v[84:85], v[8:9]
	ds_read_b128 v[78:81], v72 offset:3936
	s_waitcnt lgkmcnt(2)
	v_fma_f64 v[8:9], -v[18:19], v[64:65], v[8:9]
	v_fma_f64 v[8:9], -v[20:21], v[66:67], v[8:9]
	ds_read_b128 v[64:67], v72 offset:3952
	s_waitcnt lgkmcnt(2)
	v_fma_f64 v[8:9], -v[22:23], v[74:75], v[8:9]
	v_fma_f64 v[8:9], -v[24:25], v[76:77], v[8:9]
	s_waitcnt lgkmcnt(1)
	v_fma_f64 v[8:9], -v[26:27], v[78:79], v[8:9]
	v_fma_f64 v[8:9], -v[28:29], v[80:81], v[8:9]
	s_waitcnt lgkmcnt(0)
	v_fma_f64 v[8:9], -v[30:31], v[64:65], v[8:9]
	v_mul_f64 v[32:33], v[66:67], v[8:9]
	ds_read_b128 v[64:67], v73 offset:16
	ds_read_b128 v[74:77], v73 offset:32
	v_fma_f64 v[8:9], -v[0:1], v[68:69], v[34:35]
	v_fma_f64 v[8:9], -v[2:3], v[70:71], v[8:9]
	ds_read_b128 v[68:71], v73 offset:48
	s_waitcnt lgkmcnt(2)
	v_fma_f64 v[8:9], -v[10:11], v[64:65], v[8:9]
	v_fma_f64 v[8:9], -v[12:13], v[66:67], v[8:9]
	ds_read_b128 v[64:67], v73 offset:64
	s_waitcnt lgkmcnt(2)
	;; [unrolled: 4-line block ×5, first 2 shown]
	v_fma_f64 v[8:9], -v[22:23], v[74:75], v[8:9]
	v_fma_f64 v[8:9], -v[24:25], v[76:77], v[8:9]
	s_waitcnt lgkmcnt(1)
	v_fma_f64 v[8:9], -v[26:27], v[68:69], v[8:9]
	v_fma_f64 v[8:9], -v[28:29], v[70:71], v[8:9]
	v_mov_b32_e32 v34, s7
	s_waitcnt lgkmcnt(0)
	v_fma_f64 v[8:9], -v[30:31], v[64:65], v[8:9]
	ds_read_b64 v[34:35], v34
	v_fma_f64 v[8:9], -v[32:33], v[66:67], v[8:9]
	ds_read_b128 v[64:67], v72 offset:4352
	global_store_dwordx4 v[58:59], v[30:33], off offset:112
	ds_read_b128 v[68:71], v72 offset:4368
	ds_read_b128 v[74:77], v72 offset:4384
	ds_read_b128 v[78:81], v72 offset:4400
	s_waitcnt lgkmcnt(4)
	v_mul_f64 v[34:35], v[34:35], v[8:9]
	s_or_b32 s7, s8, 18
	s_waitcnt lgkmcnt(3)
	v_fma_f64 v[8:9], -v[0:1], v[64:65], v[36:37]
	v_fma_f64 v[8:9], -v[2:3], v[66:67], v[8:9]
	s_waitcnt lgkmcnt(2)
	v_fma_f64 v[8:9], -v[10:11], v[68:69], v[8:9]
	v_fma_f64 v[8:9], -v[12:13], v[70:71], v[8:9]
	ds_read_b128 v[64:67], v72 offset:4416
	ds_read_b128 v[68:71], v72 offset:4432
	s_waitcnt lgkmcnt(3)
	v_fma_f64 v[8:9], -v[4:5], v[74:75], v[8:9]
	v_fma_f64 v[8:9], -v[6:7], v[76:77], v[8:9]
	s_waitcnt lgkmcnt(2)
	v_fma_f64 v[8:9], -v[14:15], v[78:79], v[8:9]
	v_fma_f64 v[8:9], -v[16:17], v[80:81], v[8:9]
	ds_read_b128 v[74:77], v72 offset:4448
	s_waitcnt lgkmcnt(2)
	v_fma_f64 v[8:9], -v[18:19], v[64:65], v[8:9]
	v_fma_f64 v[8:9], -v[20:21], v[66:67], v[8:9]
	ds_read_b128 v[64:67], v72 offset:4464
	;; [unrolled: 4-line block ×3, first 2 shown]
	s_waitcnt lgkmcnt(2)
	v_fma_f64 v[8:9], -v[26:27], v[74:75], v[8:9]
	v_fma_f64 v[8:9], -v[28:29], v[76:77], v[8:9]
	s_waitcnt lgkmcnt(1)
	v_fma_f64 v[8:9], -v[30:31], v[64:65], v[8:9]
	s_lshl_b32 s15, s7, 8
	v_fma_f64 v[8:9], -v[32:33], v[66:67], v[8:9]
	ds_read_b128 v[64:67], v72 offset:4864
	s_or_b32 s15, s15, s12
	s_waitcnt lgkmcnt(1)
	v_fma_f64 v[8:9], -v[34:35], v[68:69], v[8:9]
	v_mov_b32_e32 v73, s15
	v_mul_f64 v[36:37], v[70:71], v[8:9]
	ds_read_b128 v[68:71], v73
	global_store_dwordx4 v[58:59], v[34:37], off offset:128
	ds_read_b128 v[74:77], v73 offset:16
	ds_read_b128 v[78:81], v73 offset:32
	;; [unrolled: 1-line block ×3, first 2 shown]
	s_mulk_i32 s7, 0x108
	s_waitcnt lgkmcnt(3)
	v_fma_f64 v[8:9], -v[0:1], v[68:69], v[38:39]
	v_fma_f64 v[8:9], -v[2:3], v[70:71], v[8:9]
	s_waitcnt lgkmcnt(2)
	v_fma_f64 v[8:9], -v[10:11], v[74:75], v[8:9]
	v_fma_f64 v[8:9], -v[12:13], v[76:77], v[8:9]
	ds_read_b128 v[68:71], v73 offset:64
	ds_read_b128 v[74:77], v73 offset:80
	s_waitcnt lgkmcnt(3)
	v_fma_f64 v[8:9], -v[4:5], v[78:79], v[8:9]
	v_fma_f64 v[8:9], -v[6:7], v[80:81], v[8:9]
	s_waitcnt lgkmcnt(2)
	v_fma_f64 v[8:9], -v[14:15], v[82:83], v[8:9]
	v_fma_f64 v[8:9], -v[16:17], v[84:85], v[8:9]
	ds_read_b128 v[78:81], v73 offset:96
	s_waitcnt lgkmcnt(2)
	v_fma_f64 v[8:9], -v[18:19], v[68:69], v[8:9]
	v_fma_f64 v[8:9], -v[20:21], v[70:71], v[8:9]
	ds_read_b128 v[68:71], v73 offset:112
	;; [unrolled: 4-line block ×3, first 2 shown]
	s_waitcnt lgkmcnt(2)
	v_fma_f64 v[8:9], -v[26:27], v[78:79], v[8:9]
	v_mov_b32_e32 v38, s7
	v_fma_f64 v[8:9], -v[28:29], v[80:81], v[8:9]
	ds_read_b64 v[38:39], v38
	s_waitcnt lgkmcnt(2)
	v_fma_f64 v[8:9], -v[30:31], v[68:69], v[8:9]
	v_fma_f64 v[8:9], -v[32:33], v[70:71], v[8:9]
	ds_read_b128 v[68:71], v72 offset:4880
	s_waitcnt lgkmcnt(2)
	v_fma_f64 v[8:9], -v[34:35], v[74:75], v[8:9]
	v_fma_f64 v[8:9], -v[36:37], v[76:77], v[8:9]
	ds_read_b128 v[74:77], v72 offset:4896
	s_waitcnt lgkmcnt(2)
	v_mul_f64 v[38:39], v[38:39], v[8:9]
	v_fma_f64 v[8:9], -v[0:1], v[64:65], v[40:41]
	v_fma_f64 v[8:9], -v[2:3], v[66:67], v[8:9]
	ds_read_b128 v[64:67], v72 offset:4912
	s_waitcnt lgkmcnt(2)
	v_fma_f64 v[8:9], -v[10:11], v[68:69], v[8:9]
	v_fma_f64 v[8:9], -v[12:13], v[70:71], v[8:9]
	ds_read_b128 v[68:71], v72 offset:4928
	s_waitcnt lgkmcnt(2)
	v_fma_f64 v[8:9], -v[4:5], v[74:75], v[8:9]
	v_fma_f64 v[8:9], -v[6:7], v[76:77], v[8:9]
	ds_read_b128 v[74:77], v72 offset:4944
	s_waitcnt lgkmcnt(2)
	v_fma_f64 v[8:9], -v[14:15], v[64:65], v[8:9]
	v_fma_f64 v[8:9], -v[16:17], v[66:67], v[8:9]
	ds_read_b128 v[64:67], v72 offset:4960
	s_waitcnt lgkmcnt(2)
	v_fma_f64 v[8:9], -v[18:19], v[68:69], v[8:9]
	v_fma_f64 v[8:9], -v[20:21], v[70:71], v[8:9]
	ds_read_b128 v[68:71], v72 offset:4976
	s_waitcnt lgkmcnt(2)
	v_fma_f64 v[8:9], -v[22:23], v[74:75], v[8:9]
	v_fma_f64 v[8:9], -v[24:25], v[76:77], v[8:9]
	ds_read_b128 v[74:77], v72 offset:4992
	s_waitcnt lgkmcnt(2)
	v_fma_f64 v[8:9], -v[26:27], v[64:65], v[8:9]
	v_fma_f64 v[8:9], -v[28:29], v[66:67], v[8:9]
	ds_read_b128 v[64:67], v72 offset:5008
	s_waitcnt lgkmcnt(2)
	v_fma_f64 v[8:9], -v[30:31], v[68:69], v[8:9]
	v_fma_f64 v[8:9], -v[32:33], v[70:71], v[8:9]
	s_or_b32 s7, s8, 20
	s_waitcnt lgkmcnt(1)
	v_fma_f64 v[8:9], -v[34:35], v[74:75], v[8:9]
	s_lshl_b32 s15, s7, 8
	v_fma_f64 v[8:9], -v[36:37], v[76:77], v[8:9]
	s_or_b32 s15, s15, s12
	s_waitcnt lgkmcnt(0)
	v_fma_f64 v[8:9], -v[38:39], v[64:65], v[8:9]
	v_mov_b32_e32 v73, s15
	ds_read_b128 v[68:71], v72 offset:5376
	v_mul_f64 v[40:41], v[66:67], v[8:9]
	ds_read_b128 v[64:67], v73
	global_store_dwordx4 v[58:59], v[38:41], off offset:144
	ds_read_b128 v[74:77], v73 offset:16
	ds_read_b128 v[78:81], v73 offset:32
	;; [unrolled: 1-line block ×3, first 2 shown]
	s_mulk_i32 s7, 0x108
	s_waitcnt lgkmcnt(3)
	v_fma_f64 v[8:9], -v[0:1], v[64:65], v[46:47]
	v_fma_f64 v[8:9], -v[2:3], v[66:67], v[8:9]
	s_waitcnt lgkmcnt(2)
	v_fma_f64 v[8:9], -v[10:11], v[74:75], v[8:9]
	v_fma_f64 v[8:9], -v[12:13], v[76:77], v[8:9]
	ds_read_b128 v[64:67], v73 offset:64
	s_waitcnt lgkmcnt(2)
	v_fma_f64 v[8:9], -v[4:5], v[78:79], v[8:9]
	v_fma_f64 v[8:9], -v[6:7], v[80:81], v[8:9]
	ds_read_b128 v[74:77], v73 offset:80
	ds_read_b128 v[78:81], v73 offset:96
	s_waitcnt lgkmcnt(3)
	v_fma_f64 v[8:9], -v[14:15], v[82:83], v[8:9]
	v_fma_f64 v[8:9], -v[16:17], v[84:85], v[8:9]
	v_mov_b32_e32 v46, s7
	ds_read_b64 v[46:47], v46
	s_waitcnt lgkmcnt(3)
	v_fma_f64 v[8:9], -v[18:19], v[64:65], v[8:9]
	v_fma_f64 v[8:9], -v[20:21], v[66:67], v[8:9]
	ds_read_b128 v[64:67], v73 offset:112
	s_waitcnt lgkmcnt(3)
	v_fma_f64 v[8:9], -v[22:23], v[74:75], v[8:9]
	v_fma_f64 v[8:9], -v[24:25], v[76:77], v[8:9]
	ds_read_b128 v[74:77], v73 offset:128
	;; [unrolled: 4-line block ×3, first 2 shown]
	s_or_b32 s7, s8, 22
	s_waitcnt lgkmcnt(2)
	v_fma_f64 v[8:9], -v[30:31], v[64:65], v[8:9]
	s_lshl_b32 s15, s7, 8
	v_fma_f64 v[8:9], -v[32:33], v[66:67], v[8:9]
	s_or_b32 s15, s15, s12
	s_waitcnt lgkmcnt(1)
	v_fma_f64 v[8:9], -v[34:35], v[74:75], v[8:9]
	v_mov_b32_e32 v73, s15
	v_fma_f64 v[8:9], -v[36:37], v[76:77], v[8:9]
	ds_read_b128 v[64:67], v73
	ds_read_b128 v[74:77], v72 offset:5392
	s_waitcnt lgkmcnt(2)
	v_fma_f64 v[8:9], -v[38:39], v[78:79], v[8:9]
	v_fma_f64 v[8:9], -v[40:41], v[80:81], v[8:9]
	ds_read_b128 v[78:81], v72 offset:5408
	v_mul_f64 v[46:47], v[46:47], v[8:9]
	v_fma_f64 v[8:9], -v[0:1], v[68:69], v[48:49]
	v_fma_f64 v[8:9], -v[2:3], v[70:71], v[8:9]
	ds_read_b128 v[68:71], v72 offset:5424
	s_waitcnt lgkmcnt(2)
	v_fma_f64 v[8:9], -v[10:11], v[74:75], v[8:9]
	v_fma_f64 v[8:9], -v[12:13], v[76:77], v[8:9]
	ds_read_b128 v[74:77], v72 offset:5440
	s_waitcnt lgkmcnt(2)
	;; [unrolled: 4-line block ×5, first 2 shown]
	v_fma_f64 v[8:9], -v[22:23], v[78:79], v[8:9]
	v_fma_f64 v[8:9], -v[24:25], v[80:81], v[8:9]
	s_waitcnt lgkmcnt(1)
	v_fma_f64 v[8:9], -v[26:27], v[68:69], v[8:9]
	v_fma_f64 v[8:9], -v[28:29], v[70:71], v[8:9]
	ds_read_b128 v[68:71], v72 offset:5504
	ds_read_b128 v[78:81], v72 offset:5520
	s_waitcnt lgkmcnt(2)
	v_fma_f64 v[8:9], -v[30:31], v[74:75], v[8:9]
	v_fma_f64 v[8:9], -v[32:33], v[76:77], v[8:9]
	ds_read_b128 v[74:77], v72 offset:5536
	s_waitcnt lgkmcnt(2)
	v_fma_f64 v[8:9], -v[34:35], v[68:69], v[8:9]
	v_fma_f64 v[8:9], -v[36:37], v[70:71], v[8:9]
	s_waitcnt lgkmcnt(1)
	v_fma_f64 v[8:9], -v[38:39], v[78:79], v[8:9]
	v_fma_f64 v[8:9], -v[40:41], v[80:81], v[8:9]
	ds_read_b128 v[68:71], v73 offset:16
	s_waitcnt lgkmcnt(1)
	v_fma_f64 v[8:9], -v[46:47], v[74:75], v[8:9]
	v_mul_f64 v[48:49], v[76:77], v[8:9]
	ds_read_b128 v[74:77], v73 offset:32
	v_fma_f64 v[8:9], -v[0:1], v[64:65], v[50:51]
	s_mulk_i32 s7, 0x108
	v_fma_f64 v[8:9], -v[2:3], v[66:67], v[8:9]
	ds_read_b128 v[64:67], v73 offset:48
	v_mov_b32_e32 v50, s7
	ds_read_b64 v[50:51], v50
	s_waitcnt lgkmcnt(3)
	v_fma_f64 v[8:9], -v[10:11], v[68:69], v[8:9]
	v_fma_f64 v[8:9], -v[12:13], v[70:71], v[8:9]
	ds_read_b128 v[68:71], v73 offset:64
	s_waitcnt lgkmcnt(3)
	v_fma_f64 v[8:9], -v[4:5], v[74:75], v[8:9]
	v_fma_f64 v[8:9], -v[6:7], v[76:77], v[8:9]
	ds_read_b128 v[74:77], v73 offset:80
	;; [unrolled: 4-line block ×4, first 2 shown]
	s_waitcnt lgkmcnt(2)
	v_fma_f64 v[8:9], -v[22:23], v[74:75], v[8:9]
	v_fma_f64 v[8:9], -v[24:25], v[76:77], v[8:9]
	s_waitcnt lgkmcnt(1)
	v_fma_f64 v[8:9], -v[26:27], v[64:65], v[8:9]
	v_fma_f64 v[8:9], -v[28:29], v[66:67], v[8:9]
	ds_read_b128 v[64:67], v73 offset:128
	ds_read_b128 v[74:77], v73 offset:144
	s_waitcnt lgkmcnt(2)
	v_fma_f64 v[8:9], -v[30:31], v[68:69], v[8:9]
	v_fma_f64 v[8:9], -v[32:33], v[70:71], v[8:9]
	ds_read_b128 v[68:71], v73 offset:160
	s_waitcnt lgkmcnt(2)
	v_fma_f64 v[8:9], -v[34:35], v[64:65], v[8:9]
	v_fma_f64 v[8:9], -v[36:37], v[66:67], v[8:9]
	s_or_b32 s7, s8, 24
	s_waitcnt lgkmcnt(1)
	v_fma_f64 v[8:9], -v[38:39], v[74:75], v[8:9]
	s_lshl_b32 s15, s7, 8
	v_fma_f64 v[8:9], -v[40:41], v[76:77], v[8:9]
	s_or_b32 s15, s15, s12
	global_store_dwordx4 v[58:59], v[46:49], off offset:160
	s_waitcnt lgkmcnt(0)
	v_fma_f64 v[8:9], -v[46:47], v[68:69], v[8:9]
	v_mov_b32_e32 v73, s15
	v_fma_f64 v[8:9], -v[48:49], v[70:71], v[8:9]
	ds_read_b128 v[64:67], v73
	ds_read_b128 v[68:71], v72 offset:5888
	ds_read_b128 v[74:77], v72 offset:5904
	;; [unrolled: 1-line block ×4, first 2 shown]
	v_mul_f64 v[50:51], v[50:51], v[8:9]
	s_mulk_i32 s7, 0x108
	s_waitcnt lgkmcnt(3)
	v_fma_f64 v[8:9], -v[0:1], v[68:69], v[52:53]
	v_fma_f64 v[8:9], -v[2:3], v[70:71], v[8:9]
	s_waitcnt lgkmcnt(2)
	v_fma_f64 v[8:9], -v[10:11], v[74:75], v[8:9]
	v_fma_f64 v[8:9], -v[12:13], v[76:77], v[8:9]
	ds_read_b128 v[68:71], v72 offset:5952
	ds_read_b128 v[74:77], v72 offset:5968
	s_waitcnt lgkmcnt(3)
	v_fma_f64 v[8:9], -v[4:5], v[78:79], v[8:9]
	v_fma_f64 v[8:9], -v[6:7], v[80:81], v[8:9]
	s_waitcnt lgkmcnt(2)
	v_fma_f64 v[8:9], -v[14:15], v[82:83], v[8:9]
	v_fma_f64 v[8:9], -v[16:17], v[84:85], v[8:9]
	ds_read_b128 v[78:81], v72 offset:5984
	s_waitcnt lgkmcnt(2)
	v_fma_f64 v[8:9], -v[18:19], v[68:69], v[8:9]
	v_fma_f64 v[8:9], -v[20:21], v[70:71], v[8:9]
	ds_read_b128 v[68:71], v72 offset:6000
	s_waitcnt lgkmcnt(2)
	v_fma_f64 v[8:9], -v[22:23], v[74:75], v[8:9]
	v_fma_f64 v[8:9], -v[24:25], v[76:77], v[8:9]
	s_waitcnt lgkmcnt(1)
	v_fma_f64 v[8:9], -v[26:27], v[78:79], v[8:9]
	ds_read_b128 v[74:77], v72 offset:6016
	v_fma_f64 v[8:9], -v[28:29], v[80:81], v[8:9]
	s_waitcnt lgkmcnt(1)
	v_fma_f64 v[8:9], -v[30:31], v[68:69], v[8:9]
	v_fma_f64 v[8:9], -v[32:33], v[70:71], v[8:9]
	ds_read_b128 v[68:71], v72 offset:6032
	ds_read_b128 v[78:81], v72 offset:6048
	s_waitcnt lgkmcnt(2)
	v_fma_f64 v[8:9], -v[34:35], v[74:75], v[8:9]
	v_fma_f64 v[8:9], -v[36:37], v[76:77], v[8:9]
	ds_read_b128 v[74:77], v72 offset:6064
	s_waitcnt lgkmcnt(2)
	v_fma_f64 v[8:9], -v[38:39], v[68:69], v[8:9]
	v_fma_f64 v[8:9], -v[40:41], v[70:71], v[8:9]
	s_waitcnt lgkmcnt(1)
	v_fma_f64 v[8:9], -v[46:47], v[78:79], v[8:9]
	v_fma_f64 v[8:9], -v[48:49], v[80:81], v[8:9]
	ds_read_b128 v[68:71], v73 offset:16
	s_waitcnt lgkmcnt(1)
	v_fma_f64 v[8:9], -v[50:51], v[74:75], v[8:9]
	v_mul_f64 v[52:53], v[76:77], v[8:9]
	ds_read_b128 v[74:77], v73 offset:32
	v_fma_f64 v[8:9], -v[0:1], v[64:65], v[54:55]
	v_fma_f64 v[8:9], -v[2:3], v[66:67], v[8:9]
	ds_read_b128 v[64:67], v73 offset:48
	s_waitcnt lgkmcnt(2)
	v_fma_f64 v[8:9], -v[10:11], v[68:69], v[8:9]
	v_fma_f64 v[8:9], -v[12:13], v[70:71], v[8:9]
	ds_read_b128 v[68:71], v73 offset:64
	s_waitcnt lgkmcnt(2)
	;; [unrolled: 4-line block ×4, first 2 shown]
	v_fma_f64 v[8:9], -v[18:19], v[68:69], v[8:9]
	v_fma_f64 v[8:9], -v[20:21], v[70:71], v[8:9]
	s_waitcnt lgkmcnt(1)
	v_fma_f64 v[8:9], -v[22:23], v[74:75], v[8:9]
	ds_read_b128 v[68:71], v73 offset:112
	v_fma_f64 v[8:9], -v[24:25], v[76:77], v[8:9]
	s_waitcnt lgkmcnt(1)
	v_fma_f64 v[8:9], -v[26:27], v[64:65], v[8:9]
	v_fma_f64 v[8:9], -v[28:29], v[66:67], v[8:9]
	ds_read_b128 v[64:67], v73 offset:128
	ds_read_b128 v[74:77], v73 offset:144
	s_waitcnt lgkmcnt(2)
	v_fma_f64 v[8:9], -v[30:31], v[68:69], v[8:9]
	v_fma_f64 v[8:9], -v[32:33], v[70:71], v[8:9]
	ds_read_b128 v[68:71], v73 offset:160
	s_waitcnt lgkmcnt(2)
	v_fma_f64 v[8:9], -v[34:35], v[64:65], v[8:9]
	v_fma_f64 v[8:9], -v[36:37], v[66:67], v[8:9]
	;; [unrolled: 4-line block ×3, first 2 shown]
	s_waitcnt lgkmcnt(1)
	v_fma_f64 v[8:9], -v[46:47], v[68:69], v[8:9]
	v_fma_f64 v[8:9], -v[48:49], v[70:71], v[8:9]
	v_mov_b32_e32 v54, s7
	s_waitcnt lgkmcnt(0)
	v_fma_f64 v[8:9], -v[50:51], v[64:65], v[8:9]
	ds_read_b64 v[54:55], v54
	v_fma_f64 v[8:9], -v[52:53], v[66:67], v[8:9]
	ds_read_b128 v[64:67], v72 offset:6400
	global_store_dwordx4 v[58:59], v[50:53], off offset:176
	ds_read_b128 v[68:71], v72 offset:6416
	ds_read_b128 v[74:77], v72 offset:6432
	;; [unrolled: 1-line block ×3, first 2 shown]
	s_waitcnt lgkmcnt(4)
	v_mul_f64 v[54:55], v[54:55], v[8:9]
	s_or_b32 s7, s8, 26
	s_waitcnt lgkmcnt(3)
	v_fma_f64 v[8:9], -v[0:1], v[64:65], v[56:57]
	v_fma_f64 v[8:9], -v[2:3], v[66:67], v[8:9]
	s_waitcnt lgkmcnt(2)
	v_fma_f64 v[8:9], -v[10:11], v[68:69], v[8:9]
	v_fma_f64 v[8:9], -v[12:13], v[70:71], v[8:9]
	ds_read_b128 v[64:67], v72 offset:6464
	ds_read_b128 v[68:71], v72 offset:6480
	s_waitcnt lgkmcnt(3)
	v_fma_f64 v[8:9], -v[4:5], v[74:75], v[8:9]
	v_fma_f64 v[8:9], -v[6:7], v[76:77], v[8:9]
	s_waitcnt lgkmcnt(2)
	v_fma_f64 v[8:9], -v[14:15], v[78:79], v[8:9]
	v_fma_f64 v[8:9], -v[16:17], v[80:81], v[8:9]
	ds_read_b128 v[74:77], v72 offset:6496
	s_waitcnt lgkmcnt(2)
	v_fma_f64 v[8:9], -v[18:19], v[64:65], v[8:9]
	v_fma_f64 v[8:9], -v[20:21], v[66:67], v[8:9]
	ds_read_b128 v[64:67], v72 offset:6512
	s_waitcnt lgkmcnt(2)
	v_fma_f64 v[8:9], -v[22:23], v[68:69], v[8:9]
	v_fma_f64 v[8:9], -v[24:25], v[70:71], v[8:9]
	s_waitcnt lgkmcnt(1)
	v_fma_f64 v[8:9], -v[26:27], v[74:75], v[8:9]
	ds_read_b128 v[68:71], v72 offset:6528
	v_fma_f64 v[8:9], -v[28:29], v[76:77], v[8:9]
	s_waitcnt lgkmcnt(1)
	v_fma_f64 v[8:9], -v[30:31], v[64:65], v[8:9]
	v_fma_f64 v[8:9], -v[32:33], v[66:67], v[8:9]
	ds_read_b128 v[64:67], v72 offset:6544
	ds_read_b128 v[74:77], v72 offset:6560
	s_waitcnt lgkmcnt(2)
	v_fma_f64 v[8:9], -v[34:35], v[68:69], v[8:9]
	v_fma_f64 v[8:9], -v[36:37], v[70:71], v[8:9]
	ds_read_b128 v[68:71], v72 offset:6576
	s_waitcnt lgkmcnt(2)
	v_fma_f64 v[8:9], -v[38:39], v[64:65], v[8:9]
	v_fma_f64 v[8:9], -v[40:41], v[66:67], v[8:9]
	s_waitcnt lgkmcnt(1)
	v_fma_f64 v[8:9], -v[46:47], v[74:75], v[8:9]
	v_fma_f64 v[8:9], -v[48:49], v[76:77], v[8:9]
	s_waitcnt lgkmcnt(0)
	v_fma_f64 v[8:9], -v[50:51], v[68:69], v[8:9]
	s_lshl_b32 s15, s7, 8
	v_fma_f64 v[8:9], -v[52:53], v[70:71], v[8:9]
	s_or_b32 s12, s15, s12
	v_fma_f64 v[8:9], -v[54:55], v[42:43], v[8:9]
	v_mov_b32_e32 v76, s12
	v_mul_f64 v[56:57], v[44:45], v[8:9]
	ds_read_b128 v[42:45], v76
	global_store_dwordx4 v[58:59], v[54:57], off offset:192
	ds_read_b128 v[64:67], v76 offset:16
	ds_read_b128 v[68:71], v76 offset:32
	;; [unrolled: 1-line block ×3, first 2 shown]
	s_mulk_i32 s7, 0x108
	s_waitcnt lgkmcnt(3)
	v_fma_f64 v[8:9], -v[0:1], v[42:43], v[62:63]
	v_fma_f64 v[8:9], -v[2:3], v[44:45], v[8:9]
	s_waitcnt lgkmcnt(2)
	v_fma_f64 v[8:9], -v[10:11], v[64:65], v[8:9]
	v_fma_f64 v[8:9], -v[12:13], v[66:67], v[8:9]
	ds_read_b128 v[42:45], v76 offset:64
	ds_read_b128 v[62:65], v76 offset:80
	s_waitcnt lgkmcnt(3)
	v_fma_f64 v[8:9], -v[4:5], v[68:69], v[8:9]
	v_fma_f64 v[8:9], -v[6:7], v[70:71], v[8:9]
	s_waitcnt lgkmcnt(2)
	v_fma_f64 v[8:9], -v[14:15], v[72:73], v[8:9]
	v_fma_f64 v[8:9], -v[16:17], v[74:75], v[8:9]
	ds_read_b128 v[66:69], v76 offset:96
	s_waitcnt lgkmcnt(2)
	v_fma_f64 v[8:9], -v[18:19], v[42:43], v[8:9]
	v_fma_f64 v[8:9], -v[20:21], v[44:45], v[8:9]
	ds_read_b128 v[42:45], v76 offset:112
	s_waitcnt lgkmcnt(2)
	v_fma_f64 v[8:9], -v[22:23], v[62:63], v[8:9]
	v_fma_f64 v[8:9], -v[24:25], v[64:65], v[8:9]
	s_waitcnt lgkmcnt(1)
	v_fma_f64 v[8:9], -v[26:27], v[66:67], v[8:9]
	ds_read_b128 v[62:65], v76 offset:128
	v_fma_f64 v[8:9], -v[28:29], v[68:69], v[8:9]
	s_waitcnt lgkmcnt(1)
	v_fma_f64 v[8:9], -v[30:31], v[42:43], v[8:9]
	v_fma_f64 v[8:9], -v[32:33], v[44:45], v[8:9]
	ds_read_b128 v[42:45], v76 offset:144
	ds_read_b128 v[66:69], v76 offset:160
	s_waitcnt lgkmcnt(2)
	v_fma_f64 v[8:9], -v[34:35], v[62:63], v[8:9]
	v_fma_f64 v[8:9], -v[36:37], v[64:65], v[8:9]
	ds_read_b128 v[62:65], v76 offset:176
	s_waitcnt lgkmcnt(2)
	v_fma_f64 v[8:9], -v[38:39], v[42:43], v[8:9]
	v_fma_f64 v[8:9], -v[40:41], v[44:45], v[8:9]
	;; [unrolled: 4-line block ×3, first 2 shown]
	s_waitcnt lgkmcnt(1)
	v_fma_f64 v[8:9], -v[50:51], v[62:63], v[8:9]
	v_mov_b32_e32 v62, s7
	s_add_i32 s7, s13, s8
	v_fma_f64 v[8:9], -v[52:53], v[64:65], v[8:9]
	s_lshl_b32 s7, s7, 3
	ds_read_b64 v[62:63], v62
	s_waitcnt lgkmcnt(1)
	v_fma_f64 v[8:9], -v[54:55], v[42:43], v[8:9]
	v_mov_b32_e32 v74, s7
	v_fma_f64 v[8:9], -v[56:57], v[44:45], v[8:9]
	ds_read_b128 v[42:45], v74
	s_waitcnt lgkmcnt(1)
	v_mul_f64 v[8:9], v[62:63], v[8:9]
	ds_read_b128 v[62:65], v74 offset:16
	ds_read_b128 v[66:69], v74 offset:32
	;; [unrolled: 1-line block ×3, first 2 shown]
	s_mul_i32 s7, s9, 0x108
	s_mov_b32 s8, s6
	s_waitcnt lgkmcnt(3)
	v_fma_f64 v[0:1], -v[0:1], v[42:43], v[60:61]
	v_fma_f64 v[0:1], -v[2:3], v[44:45], v[0:1]
	s_waitcnt lgkmcnt(2)
	v_fma_f64 v[0:1], -v[10:11], v[62:63], v[0:1]
	v_fma_f64 v[0:1], -v[12:13], v[64:65], v[0:1]
	s_waitcnt lgkmcnt(1)
	v_fma_f64 v[4:5], -v[4:5], v[66:67], v[0:1]
	ds_read_b128 v[0:3], v74 offset:64
	v_fma_f64 v[4:5], -v[6:7], v[68:69], v[4:5]
	s_waitcnt lgkmcnt(1)
	v_fma_f64 v[10:11], -v[14:15], v[70:71], v[4:5]
	ds_read_b128 v[4:7], v74 offset:80
	;; [unrolled: 4-line block ×5, first 2 shown]
	v_fma_f64 v[10:11], -v[28:29], v[12:13], v[10:11]
	s_waitcnt lgkmcnt(1)
	v_fma_f64 v[0:1], -v[30:31], v[0:1], v[10:11]
	v_fma_f64 v[10:11], -v[32:33], v[2:3], v[0:1]
	ds_read_b128 v[0:3], v74 offset:144
	s_waitcnt lgkmcnt(1)
	v_fma_f64 v[4:5], -v[34:35], v[4:5], v[10:11]
	ds_read_b128 v[10:13], v74 offset:160
	v_fma_f64 v[14:15], -v[36:37], v[6:7], v[4:5]
	ds_read_b128 v[4:7], v74 offset:176
	s_waitcnt lgkmcnt(2)
	v_fma_f64 v[0:1], -v[38:39], v[0:1], v[14:15]
	v_fma_f64 v[0:1], -v[40:41], v[2:3], v[0:1]
	s_waitcnt lgkmcnt(1)
	v_fma_f64 v[0:1], -v[46:47], v[10:11], v[0:1]
	v_fma_f64 v[0:1], -v[48:49], v[12:13], v[0:1]
	s_waitcnt lgkmcnt(0)
	v_fma_f64 v[4:5], -v[50:51], v[4:5], v[0:1]
	ds_read_b128 v[0:3], v74 offset:192
	ds_read_b64 v[10:11], v74 offset:208
	v_mov_b32_e32 v12, s7
	ds_read_b64 v[12:13], v12
	v_fma_f64 v[4:5], -v[52:53], v[6:7], v[4:5]
	s_waitcnt lgkmcnt(2)
	v_fma_f64 v[0:1], -v[54:55], v[0:1], v[4:5]
	v_fma_f64 v[0:1], -v[56:57], v[2:3], v[0:1]
	s_waitcnt lgkmcnt(1)
	v_fma_f64 v[0:1], -v[8:9], v[10:11], v[0:1]
	s_waitcnt lgkmcnt(0)
	v_mul_f64 v[10:11], v[12:13], v[0:1]
	global_store_dwordx4 v[58:59], v[8:11], off offset:208
.LBB103_23:
	s_cmp_ge_i32 s8, s16
	s_cbranch_scc1 .LBB103_34
; %bb.24:
	s_add_i32 s12, s8, -1
	s_lshl_b32 s13, s8, 8
	s_add_u32 s6, s10, s4
	s_addc_u32 s7, s11, s5
	s_add_u32 s6, s6, s2
	s_addc_u32 s7, s7, s3
	v_mov_b32_e32 v0, s7
	v_add_co_u32_e32 v8, vcc, s6, v124
	v_addc_co_u32_e32 v9, vcc, v0, v125, vcc
	v_add_co_u32_e32 v0, vcc, 56, v8
	v_addc_co_u32_e32 v1, vcc, 0, v9, vcc
	s_mov_b32 s7, 0
	s_mov_b32 s17, s8
	;; [unrolled: 1-line block ×3, first 2 shown]
	s_branch .LBB103_26
.LBB103_25:                             ;   in Loop: Header=BB103_26 Depth=1
	s_mul_i32 s6, s8, 0x108
	v_mov_b32_e32 v6, s6
	ds_read_b64 v[6:7], v6
	s_add_i32 s8, s8, 1
	s_add_i32 s15, s15, 1
	s_addk_i32 s13, 0x100
	v_add_u16_e64 v10, s17, 1
	s_waitcnt lgkmcnt(0)
	v_mul_f64 v[4:5], v[6:7], v[4:5]
	s_cmp_ge_i32 s8, s16
	v_readfirstlane_b32 s17, v10
	global_store_dwordx2 v[2:3], v[4:5], off
	s_cbranch_scc1 .LBB103_34
.LBB103_26:                             ; =>This Loop Header: Depth=1
                                        ;     Child Loop BB103_29 Depth 2
                                        ;     Child Loop BB103_33 Depth 2
	s_ashr_i32 s9, s8, 31
	s_lshl_b64 s[20:21], s[8:9], 3
	v_mov_b32_e32 v3, s21
	v_add_co_u32_e32 v2, vcc, s20, v122
	v_addc_co_u32_e32 v3, vcc, v123, v3, vcc
	global_load_dwordx2 v[4:5], v[2:3], off
	s_cmp_eq_u32 s8, 0
	s_waitcnt vmcnt(0)
	v_mul_f64 v[4:5], v[4:5], s[0:1]
	s_cbranch_scc1 .LBB103_25
; %bb.27:                               ;   in Loop: Header=BB103_26 Depth=1
	s_add_i32 s6, s12, s15
	s_cmp_lt_u32 s6, 7
	s_cbranch_scc1 .LBB103_31
; %bb.28:                               ;   in Loop: Header=BB103_26 Depth=1
	s_and_b32 s6, s8, -8
	s_mov_b32 s9, 0
	v_pk_mov_b32 v[6:7], v[0:1], v[0:1] op_sel:[0,1]
	s_mov_b32 s19, s13
.LBB103_29:                             ;   Parent Loop BB103_26 Depth=1
                                        ; =>  This Inner Loop Header: Depth=2
	global_load_dwordx4 v[10:13], v[6:7], off offset:-56
	global_load_dwordx4 v[14:17], v[6:7], off offset:-40
	;; [unrolled: 1-line block ×4, first 2 shown]
	v_mov_b32_e32 v38, s19
	ds_read_b128 v[26:29], v38
	ds_read_b128 v[30:33], v38 offset:16
	ds_read_b128 v[34:37], v38 offset:32
	;; [unrolled: 1-line block ×3, first 2 shown]
	s_add_i32 s9, s9, 8
	s_add_i32 s19, s19, 64
	v_add_co_u32_e32 v6, vcc, 64, v6
	v_addc_co_u32_e32 v7, vcc, 0, v7, vcc
	s_cmp_lg_u32 s6, s9
	s_waitcnt vmcnt(3) lgkmcnt(3)
	v_fma_f64 v[4:5], -v[10:11], v[26:27], v[4:5]
	v_fma_f64 v[4:5], -v[12:13], v[28:29], v[4:5]
	s_waitcnt vmcnt(2) lgkmcnt(2)
	v_fma_f64 v[4:5], -v[14:15], v[30:31], v[4:5]
	v_fma_f64 v[4:5], -v[16:17], v[32:33], v[4:5]
	;; [unrolled: 3-line block ×4, first 2 shown]
	s_cbranch_scc1 .LBB103_29
; %bb.30:                               ;   in Loop: Header=BB103_26 Depth=1
	s_and_b32 s9, s8, 7
	s_cmp_eq_u32 s9, 0
	s_cbranch_scc0 .LBB103_32
	s_branch .LBB103_25
.LBB103_31:                             ;   in Loop: Header=BB103_26 Depth=1
	s_mov_b32 s6, 0
	s_and_b32 s9, s8, 7
	s_cmp_eq_u32 s9, 0
	s_cbranch_scc1 .LBB103_25
.LBB103_32:                             ;   in Loop: Header=BB103_26 Depth=1
	s_lshl_b64 s[20:21], s[6:7], 3
	v_mov_b32_e32 v7, s21
	v_add_co_u32_e32 v6, vcc, s20, v8
	s_and_b32 s9, s17, 7
	s_lshl_b32 s19, s6, 3
	v_addc_co_u32_e32 v7, vcc, v9, v7, vcc
.LBB103_33:                             ;   Parent Loop BB103_26 Depth=1
                                        ; =>  This Inner Loop Header: Depth=2
	global_load_dwordx2 v[10:11], v[6:7], off
	s_add_i32 s6, s13, s19
	v_mov_b32_e32 v12, s6
	ds_read_b64 v[12:13], v12
	s_add_i32 s19, s19, 8
	v_add_co_u32_e32 v6, vcc, 8, v6
	s_add_i32 s9, s9, -1
	v_addc_co_u32_e32 v7, vcc, 0, v7, vcc
	s_cmp_lg_u32 s9, 0
	s_waitcnt vmcnt(0) lgkmcnt(0)
	v_fma_f64 v[4:5], -v[10:11], v[12:13], v[4:5]
	s_cbranch_scc1 .LBB103_33
	s_branch .LBB103_25
.LBB103_34:
	s_mov_b64 s[6:7], 0
.LBB103_35:
	s_and_b64 vcc, exec, s[6:7]
	s_cbranch_vccz .LBB103_61
; %bb.36:
	s_cmp_gt_i32 s14, 31
	s_mov_b32 s6, s18
	s_cbranch_scc0 .LBB103_38
; %bb.37:
	s_ashr_i32 s19, s18, 31
	s_lshl_b64 s[6:7], s[18:19], 3
	v_mov_b32_e32 v0, s7
	v_add_co_u32_e32 v12, vcc, s6, v122
	v_addc_co_u32_e32 v13, vcc, v123, v0, vcc
	global_load_dwordx2 v[14:15], v[12:13], off
	s_mov_b32 s17, 0
	s_lshl_b64 s[6:7], s[16:17], 3
	v_mov_b32_e32 v0, s7
	v_add_co_u32_e32 v62, vcc, s6, v122
	v_addc_co_u32_e32 v63, vcc, v123, v0, vcc
	global_load_dwordx2 v[60:61], v[62:63], off offset:-16
	global_load_dwordx4 v[4:7], v[62:63], off offset:-32
	global_load_dwordx4 v[8:11], v[62:63], off offset:-48
	;; [unrolled: 1-line block ×15, first 2 shown]
	s_add_i32 s8, s16, -2
	s_lshl_b32 s7, s18, 5
	s_add_i32 s12, s8, s7
	s_mul_i32 s14, s18, 0x108
	s_lshl_b32 s23, s12, 3
	s_add_i32 s13, s14, 0xfffffef8
	v_mov_b32_e32 v68, s23
	s_add_i32 s19, s16, -4
	s_lshl_b32 s6, s16, 5
	s_add_i32 s15, s16, -6
	v_mov_b32_e32 v72, s13
	ds_read2_b64 v[68:71], v68 offset1:1
	ds_read_b64 v[62:63], v72
	s_ashr_i32 s17, s16, 31
	s_add_i32 s20, s19, s7
	s_lshl_b32 s9, s8, 5
	s_add_i32 s8, s6, 0xffffffa0
	s_add_i32 s21, s14, 0xfffffce8
	;; [unrolled: 1-line block ×3, first 2 shown]
	s_lshl_b64 s[12:13], s[16:17], 3
	s_lshl_b32 s17, s20, 3
	s_add_i32 s20, s19, s9
	s_add_i32 s24, s19, s8
	v_mov_b32_e32 v84, s21
	s_lshl_b32 s21, s22, 3
	s_add_i32 s22, s15, s9
	v_mov_b32_e32 v73, s13
	v_mov_b32_e32 v74, s17
	s_lshl_b32 s13, s20, 3
	s_lshl_b32 s17, s24, 3
	;; [unrolled: 1-line block ×3, first 2 shown]
	v_mov_b32_e32 v85, s21
	v_add_co_u32_e32 v126, vcc, s12, v122
	v_mov_b32_e32 v76, s13
	v_mov_b32_e32 v80, s17
	;; [unrolled: 1-line block ×3, first 2 shown]
	v_addc_co_u32_e32 v127, vcc, v123, v73, vcc
	ds_read2_b64 v[72:75], v74 offset1:1
	ds_read2_b64 v[76:79], v76 offset1:1
	;; [unrolled: 1-line block ×3, first 2 shown]
	ds_read_b64 v[92:93], v84
	ds_read2_b64 v[84:87], v85 offset1:1
	ds_read2_b64 v[88:91], v88 offset1:1
	s_add_i32 s12, s15, s8
	s_lshl_b32 s12, s12, 3
	s_lshl_b32 s13, s19, 5
	s_add_i32 s19, s16, -8
	s_add_i32 s21, s16, -10
	;; [unrolled: 1-line block ×5, first 2 shown]
	s_sub_i32 s29, s16, 18
	s_sub_i32 s31, s16, 20
	;; [unrolled: 1-line block ×6, first 2 shown]
	s_waitcnt vmcnt(16)
	v_mul_f64 v[14:15], v[14:15], s[0:1]
	s_waitcnt lgkmcnt(7)
	v_mul_f64 v[128:129], v[70:71], v[14:15]
	global_store_dwordx2 v[12:13], v[128:129], off
	v_mul_f64 v[12:13], v[128:129], v[68:69]
	s_waitcnt lgkmcnt(5)
	v_mul_f64 v[14:15], v[128:129], v[74:75]
	s_waitcnt lgkmcnt(1)
	v_mul_f64 v[70:71], v[128:129], v[86:87]
	s_waitcnt vmcnt(16)
	v_fma_f64 v[12:13], v[60:61], s[0:1], -v[12:13]
	v_mul_f64 v[130:131], v[62:63], v[12:13]
	v_mov_b32_e32 v12, s12
	s_waitcnt vmcnt(15)
	v_fma_f64 v[6:7], v[6:7], s[0:1], -v[14:15]
	ds_read2_b64 v[12:15], v12 offset1:1
	s_add_i32 s12, s15, s13
	s_lshl_b32 s12, s12, 3
	v_mov_b32_e32 v60, s12
	ds_read2_b64 v[60:63], v60 offset1:1
	s_add_i32 s12, s6, 0xffffff60
	v_fma_f64 v[6:7], -v[130:131], v[78:79], v[6:7]
	s_waitcnt vmcnt(14)
	v_fma_f64 v[10:11], v[10:11], s[0:1], -v[70:71]
	s_add_i32 s17, s15, s12
	v_mul_f64 v[6:7], v[82:83], v[6:7]
	s_waitcnt lgkmcnt(2)
	v_fma_f64 v[10:11], -v[130:131], v[90:91], v[10:11]
	s_lshl_b32 s17, s17, 3
	v_mul_f64 v[68:69], v[128:129], v[72:73]
	s_waitcnt lgkmcnt(1)
	v_fma_f64 v[10:11], -v[6:7], v[14:15], v[10:11]
	v_mov_b32_e32 v14, s17
	s_add_i32 s17, s14, 0xfffffad8
	v_fma_f64 v[4:5], v[4:5], s[0:1], -v[68:69]
	ds_read2_b64 v[68:71], v14 offset1:1
	v_mov_b32_e32 v14, s17
	ds_read_b64 v[72:73], v14
	v_mul_f64 v[14:15], v[128:129], v[84:85]
	v_fma_f64 v[8:9], v[8:9], s[0:1], -v[14:15]
	s_add_i32 s17, s19, s7
	v_fma_f64 v[4:5], -v[130:131], v[76:77], v[4:5]
	v_fma_f64 v[8:9], -v[130:131], v[88:89], v[8:9]
	s_lshl_b32 s17, s17, 3
	v_fma_f64 v[4:5], -v[6:7], v[80:81], v[4:5]
	v_fma_f64 v[8:9], -v[6:7], v[12:13], v[8:9]
	v_mov_b32_e32 v12, s17
	s_add_i32 s17, s19, s9
	v_mul_f64 v[4:5], v[92:93], v[4:5]
	s_lshl_b32 s17, s17, 3
	ds_read2_b64 v[12:15], v12 offset1:1
	s_waitcnt lgkmcnt(3)
	v_fma_f64 v[8:9], -v[4:5], v[60:61], v[8:9]
	v_mov_b32_e32 v60, s17
	v_fma_f64 v[10:11], -v[4:5], v[62:63], v[10:11]
	ds_read2_b64 v[60:63], v60 offset1:1
	s_waitcnt lgkmcnt(1)
	v_mul_f64 v[14:15], v[128:129], v[14:15]
	s_add_i32 s17, s19, s8
	s_waitcnt vmcnt(13)
	v_fma_f64 v[14:15], v[66:67], s[0:1], -v[14:15]
	s_lshl_b32 s17, s17, 3
	v_mul_f64 v[10:11], v[70:71], v[10:11]
	s_waitcnt lgkmcnt(0)
	v_fma_f64 v[14:15], -v[130:131], v[62:63], v[14:15]
	v_mov_b32_e32 v62, s17
	s_add_i32 s17, s19, s13
	v_fma_f64 v[8:9], -v[10:11], v[68:69], v[8:9]
	s_lshl_b32 s17, s17, 3
	v_mul_f64 v[8:9], v[72:73], v[8:9]
	v_mov_b32_e32 v63, s17
	s_add_i32 s17, s19, s12
	global_store_dwordx2 v[126:127], v[130:131], off offset:-16
	global_store_dwordx4 v[126:127], v[4:7], off offset:-32
	global_store_dwordx4 v[126:127], v[8:11], off offset:-48
	s_lshl_b32 s17, s17, 3
	s_lshl_b32 s15, s15, 5
	ds_read2_b64 v[66:69], v62 offset1:1
	ds_read2_b64 v[70:73], v63 offset1:1
	v_mov_b32_e32 v62, s17
	s_add_i32 s17, s19, s15
	s_lshl_b32 s17, s17, 3
	v_mov_b32_e32 v63, s17
	s_add_i32 s17, s14, 0xfffff9d0
	ds_read2_b64 v[74:77], v62 offset1:1
	ds_read2_b64 v[78:81], v63 offset1:1
	v_mov_b32_e32 v62, s17
	ds_read_b64 v[62:63], v62
	s_waitcnt lgkmcnt(4)
	v_fma_f64 v[14:15], -v[6:7], v[68:69], v[14:15]
	s_add_i32 s17, s6, 0xffffff20
	s_waitcnt lgkmcnt(3)
	v_fma_f64 v[14:15], -v[4:5], v[72:73], v[14:15]
	v_mul_f64 v[12:13], v[128:129], v[12:13]
	s_add_i32 s20, s19, s17
	s_waitcnt lgkmcnt(2)
	v_fma_f64 v[14:15], -v[10:11], v[76:77], v[14:15]
	v_fma_f64 v[12:13], v[64:65], s[0:1], -v[12:13]
	s_lshl_b32 s20, s20, 3
	s_waitcnt lgkmcnt(1)
	v_fma_f64 v[14:15], -v[8:9], v[80:81], v[14:15]
	v_fma_f64 v[12:13], -v[130:131], v[60:61], v[12:13]
	v_mov_b32_e32 v60, s20
	s_add_i32 s20, s14, 0xfffff8c8
	s_waitcnt lgkmcnt(0)
	v_mul_f64 v[14:15], v[62:63], v[14:15]
	ds_read_b64 v[60:61], v60
	v_mov_b32_e32 v62, s20
	v_fma_f64 v[12:13], -v[6:7], v[66:67], v[12:13]
	ds_read_b64 v[62:63], v62
	v_fma_f64 v[12:13], -v[4:5], v[70:71], v[12:13]
	v_fma_f64 v[12:13], -v[10:11], v[74:75], v[12:13]
	s_add_i32 s20, s21, s7
	v_fma_f64 v[12:13], -v[8:9], v[78:79], v[12:13]
	s_lshl_b32 s20, s20, 3
	s_waitcnt lgkmcnt(1)
	v_fma_f64 v[12:13], -v[14:15], v[60:61], v[12:13]
	v_mov_b32_e32 v60, s20
	s_add_i32 s20, s21, s9
	s_waitcnt lgkmcnt(0)
	v_mul_f64 v[12:13], v[62:63], v[12:13]
	s_lshl_b32 s20, s20, 3
	global_store_dwordx4 v[126:127], v[12:15], off offset:-64
	v_mov_b32_e32 v64, s20
	s_add_i32 s20, s21, s8
	ds_read2_b64 v[60:63], v60 offset1:1
	ds_read2_b64 v[64:67], v64 offset1:1
	s_lshl_b32 s20, s20, 3
	v_mov_b32_e32 v68, s20
	s_add_i32 s20, s21, s13
	s_lshl_b32 s20, s20, 3
	v_mov_b32_e32 v72, s20
	s_add_i32 s20, s21, s12
	ds_read2_b64 v[68:71], v68 offset1:1
	ds_read2_b64 v[72:75], v72 offset1:1
	s_waitcnt lgkmcnt(3)
	v_mul_f64 v[62:63], v[128:129], v[62:63]
	s_lshl_b32 s20, s20, 3
	s_waitcnt vmcnt(16)
	v_fma_f64 v[18:19], v[18:19], s[0:1], -v[62:63]
	v_mov_b32_e32 v62, s20
	s_add_i32 s20, s21, s15
	s_lshl_b32 s20, s20, 3
	s_waitcnt lgkmcnt(2)
	v_fma_f64 v[18:19], -v[130:131], v[66:67], v[18:19]
	v_mov_b32_e32 v63, s20
	s_add_i32 s20, s21, s17
	s_waitcnt lgkmcnt(1)
	v_fma_f64 v[18:19], -v[6:7], v[70:71], v[18:19]
	s_lshl_b32 s20, s20, 3
	s_lshl_b32 s19, s19, 5
	s_waitcnt lgkmcnt(0)
	v_fma_f64 v[18:19], -v[4:5], v[74:75], v[18:19]
	ds_read2_b64 v[74:77], v62 offset1:1
	ds_read2_b64 v[78:81], v63 offset1:1
	v_mov_b32_e32 v62, s20
	s_add_i32 s20, s21, s19
	s_lshl_b32 s20, s20, 3
	v_mov_b32_e32 v63, s20
	s_add_i32 s20, s14, 0xfffff7c0
	ds_read2_b64 v[82:85], v62 offset1:1
	ds_read2_b64 v[86:89], v63 offset1:1
	v_mov_b32_e32 v62, s20
	ds_read_b64 v[62:63], v62
	s_waitcnt lgkmcnt(4)
	v_fma_f64 v[18:19], -v[10:11], v[76:77], v[18:19]
	v_mul_f64 v[60:61], v[128:129], v[60:61]
	s_add_i32 s20, s6, 0xfffffee0
	s_waitcnt lgkmcnt(3)
	v_fma_f64 v[18:19], -v[8:9], v[80:81], v[18:19]
	v_fma_f64 v[16:17], v[16:17], s[0:1], -v[60:61]
	s_add_i32 s22, s21, s20
	s_waitcnt lgkmcnt(2)
	v_fma_f64 v[18:19], -v[14:15], v[84:85], v[18:19]
	v_fma_f64 v[16:17], -v[130:131], v[64:65], v[16:17]
	s_lshl_b32 s22, s22, 3
	s_waitcnt lgkmcnt(1)
	v_fma_f64 v[18:19], -v[12:13], v[88:89], v[18:19]
	v_fma_f64 v[16:17], -v[6:7], v[68:69], v[16:17]
	v_mov_b32_e32 v60, s22
	s_add_i32 s22, s14, 0xfffff6b8
	s_waitcnt lgkmcnt(0)
	v_mul_f64 v[18:19], v[62:63], v[18:19]
	v_fma_f64 v[16:17], -v[4:5], v[72:73], v[16:17]
	ds_read_b64 v[60:61], v60
	v_mov_b32_e32 v62, s22
	v_fma_f64 v[16:17], -v[10:11], v[74:75], v[16:17]
	ds_read_b64 v[62:63], v62
	v_fma_f64 v[16:17], -v[8:9], v[78:79], v[16:17]
	v_fma_f64 v[16:17], -v[14:15], v[82:83], v[16:17]
	s_add_i32 s22, s23, s7
	v_fma_f64 v[16:17], -v[12:13], v[86:87], v[16:17]
	s_lshl_b32 s22, s22, 3
	s_waitcnt lgkmcnt(1)
	v_fma_f64 v[16:17], -v[18:19], v[60:61], v[16:17]
	v_mov_b32_e32 v60, s22
	s_waitcnt lgkmcnt(0)
	v_mul_f64 v[16:17], v[62:63], v[16:17]
	ds_read2_b64 v[60:63], v60 offset1:1
	s_add_i32 s22, s23, s9
	s_lshl_b32 s22, s22, 3
	v_mov_b32_e32 v64, s22
	ds_read2_b64 v[64:67], v64 offset1:1
	s_add_i32 s22, s23, s8
	s_waitcnt lgkmcnt(1)
	v_mul_f64 v[62:63], v[128:129], v[62:63]
	s_lshl_b32 s22, s22, 3
	s_waitcnt vmcnt(15)
	v_fma_f64 v[26:27], v[26:27], s[0:1], -v[62:63]
	v_mov_b32_e32 v62, s22
	s_add_i32 s22, s23, s13
	s_lshl_b32 s22, s22, 3
	v_mov_b32_e32 v63, s22
	s_add_i32 s22, s23, s12
	global_store_dwordx4 v[126:127], v[16:19], off offset:-80
	s_lshl_b32 s22, s22, 3
	ds_read2_b64 v[68:71], v62 offset1:1
	ds_read2_b64 v[72:75], v63 offset1:1
	v_mov_b32_e32 v62, s22
	s_add_i32 s22, s23, s15
	s_lshl_b32 s22, s22, 3
	v_mov_b32_e32 v63, s22
	s_add_i32 s22, s23, s17
	ds_read2_b64 v[76:79], v62 offset1:1
	ds_read2_b64 v[80:83], v63 offset1:1
	s_lshl_b32 s22, s22, 3
	s_waitcnt lgkmcnt(4)
	v_fma_f64 v[26:27], -v[130:131], v[66:67], v[26:27]
	v_mov_b32_e32 v62, s22
	s_add_i32 s22, s23, s19
	s_waitcnt lgkmcnt(3)
	v_fma_f64 v[26:27], -v[6:7], v[70:71], v[26:27]
	s_lshl_b32 s22, s22, 3
	s_waitcnt lgkmcnt(2)
	v_fma_f64 v[26:27], -v[4:5], v[74:75], v[26:27]
	v_mov_b32_e32 v63, s22
	s_add_i32 s22, s23, s20
	s_waitcnt lgkmcnt(1)
	v_fma_f64 v[26:27], -v[10:11], v[78:79], v[26:27]
	s_lshl_b32 s22, s22, 3
	s_lshl_b32 s21, s21, 5
	s_waitcnt lgkmcnt(0)
	v_fma_f64 v[26:27], -v[8:9], v[82:83], v[26:27]
	ds_read2_b64 v[82:85], v62 offset1:1
	ds_read2_b64 v[86:89], v63 offset1:1
	v_mov_b32_e32 v62, s22
	s_add_i32 s22, s23, s21
	s_lshl_b32 s22, s22, 3
	s_addk_i32 s14, 0xf5b0
	v_mov_b32_e32 v63, s22
	ds_read2_b64 v[90:93], v62 offset1:1
	ds_read2_b64 v[94:97], v63 offset1:1
	v_mov_b32_e32 v62, s14
	v_mul_f64 v[60:61], v[128:129], v[60:61]
	ds_read_b64 v[62:63], v62
	v_fma_f64 v[24:25], v[24:25], s[0:1], -v[60:61]
	s_add_i32 s22, s6, 0xfffffea0
	s_waitcnt lgkmcnt(4)
	v_fma_f64 v[26:27], -v[14:15], v[84:85], v[26:27]
	v_fma_f64 v[24:25], -v[130:131], v[64:65], v[24:25]
	s_add_i32 s14, s23, s22
	s_waitcnt lgkmcnt(3)
	v_fma_f64 v[26:27], -v[12:13], v[88:89], v[26:27]
	v_fma_f64 v[24:25], -v[6:7], v[68:69], v[24:25]
	s_lshl_b32 s14, s14, 3
	s_waitcnt lgkmcnt(2)
	v_fma_f64 v[26:27], -v[18:19], v[92:93], v[26:27]
	v_fma_f64 v[24:25], -v[4:5], v[72:73], v[24:25]
	v_mov_b32_e32 v60, s14
	s_mul_i32 s14, s16, 0x108
	s_waitcnt lgkmcnt(1)
	v_fma_f64 v[26:27], -v[16:17], v[96:97], v[26:27]
	v_fma_f64 v[24:25], -v[10:11], v[76:77], v[24:25]
	s_add_i32 s24, s14, 0xfffff3a0
	s_waitcnt lgkmcnt(0)
	v_mul_f64 v[26:27], v[62:63], v[26:27]
	v_fma_f64 v[24:25], -v[8:9], v[80:81], v[24:25]
	v_mov_b32_e32 v62, s24
	v_fma_f64 v[24:25], -v[14:15], v[82:83], v[24:25]
	ds_read_b64 v[60:61], v60
	ds_read_b64 v[62:63], v62
	v_fma_f64 v[24:25], -v[12:13], v[86:87], v[24:25]
	v_fma_f64 v[24:25], -v[18:19], v[90:91], v[24:25]
	s_add_i32 s24, s25, s7
	v_fma_f64 v[24:25], -v[16:17], v[94:95], v[24:25]
	s_lshl_b32 s24, s24, 3
	s_waitcnt lgkmcnt(1)
	v_fma_f64 v[24:25], -v[26:27], v[60:61], v[24:25]
	v_mov_b32_e32 v60, s24
	s_add_i32 s24, s25, s9
	s_lshl_b32 s24, s24, 3
	s_waitcnt lgkmcnt(0)
	v_mul_f64 v[24:25], v[62:63], v[24:25]
	v_mov_b32_e32 v64, s24
	s_add_i32 s24, s25, s8
	global_store_dwordx4 v[126:127], v[24:27], off offset:-96
	s_lshl_b32 s24, s24, 3
	ds_read2_b64 v[60:63], v60 offset1:1
	ds_read2_b64 v[64:67], v64 offset1:1
	v_mov_b32_e32 v68, s24
	s_add_i32 s24, s25, s13
	s_lshl_b32 s24, s24, 3
	v_mov_b32_e32 v72, s24
	ds_read2_b64 v[68:71], v68 offset1:1
	ds_read2_b64 v[72:75], v72 offset1:1
	s_waitcnt lgkmcnt(3)
	v_mul_f64 v[62:63], v[128:129], v[62:63]
	s_add_i32 s24, s25, s12
	s_waitcnt vmcnt(16)
	v_fma_f64 v[30:31], v[30:31], s[0:1], -v[62:63]
	s_lshl_b32 s24, s24, 3
	s_waitcnt lgkmcnt(2)
	v_fma_f64 v[30:31], -v[130:131], v[66:67], v[30:31]
	v_mov_b32_e32 v62, s24
	s_add_i32 s24, s25, s15
	s_waitcnt lgkmcnt(1)
	v_fma_f64 v[30:31], -v[6:7], v[70:71], v[30:31]
	s_lshl_b32 s24, s24, 3
	s_waitcnt lgkmcnt(0)
	v_fma_f64 v[30:31], -v[4:5], v[74:75], v[30:31]
	ds_read2_b64 v[74:77], v62 offset1:1
	v_mov_b32_e32 v62, s24
	s_add_i32 s24, s25, s17
	s_lshl_b32 s24, s24, 3
	ds_read2_b64 v[78:81], v62 offset1:1
	v_mov_b32_e32 v62, s24
	s_add_i32 s24, s25, s19
	s_lshl_b32 s24, s24, 3
	v_mov_b32_e32 v63, s24
	s_add_i32 s24, s25, s20
	s_lshl_b32 s24, s24, 3
	ds_read2_b64 v[82:85], v62 offset1:1
	ds_read2_b64 v[86:89], v63 offset1:1
	v_mov_b32_e32 v62, s24
	s_add_i32 s24, s25, s21
	s_lshl_b32 s24, s24, 3
	s_waitcnt lgkmcnt(3)
	v_fma_f64 v[30:31], -v[10:11], v[76:77], v[30:31]
	v_mov_b32_e32 v63, s24
	ds_read2_b64 v[90:93], v62 offset1:1
	ds_read2_b64 v[94:97], v63 offset1:1
	s_waitcnt lgkmcnt(4)
	v_fma_f64 v[30:31], -v[8:9], v[80:81], v[30:31]
	s_add_i32 s24, s25, s22
	s_waitcnt lgkmcnt(3)
	v_fma_f64 v[30:31], -v[14:15], v[84:85], v[30:31]
	s_lshl_b32 s24, s24, 3
	s_lshl_b32 s23, s23, 5
	v_mul_f64 v[60:61], v[128:129], v[60:61]
	s_waitcnt lgkmcnt(2)
	v_fma_f64 v[30:31], -v[12:13], v[88:89], v[30:31]
	v_mov_b32_e32 v62, s24
	s_add_i32 s24, s25, s23
	v_fma_f64 v[28:29], v[28:29], s[0:1], -v[60:61]
	s_waitcnt lgkmcnt(1)
	v_fma_f64 v[30:31], -v[18:19], v[92:93], v[30:31]
	s_lshl_b32 s24, s24, 3
	v_fma_f64 v[28:29], -v[130:131], v[64:65], v[28:29]
	s_waitcnt lgkmcnt(0)
	v_fma_f64 v[30:31], -v[16:17], v[96:97], v[30:31]
	ds_read2_b64 v[96:99], v62 offset1:1
	v_mov_b32_e32 v62, s24
	s_add_i32 s24, s6, 0xfffffe60
	v_fma_f64 v[28:29], -v[6:7], v[68:69], v[28:29]
	s_add_i32 s26, s25, s24
	v_fma_f64 v[28:29], -v[4:5], v[72:73], v[28:29]
	s_lshl_b32 s26, s26, 3
	v_fma_f64 v[28:29], -v[10:11], v[74:75], v[28:29]
	ds_read2_b64 v[100:103], v62 offset1:1
	v_mov_b32_e32 v62, s26
	v_fma_f64 v[28:29], -v[8:9], v[78:79], v[28:29]
	ds_read2_b64 v[104:107], v62 offset1:1
	s_add_i32 s26, s14, 0xfffff190
	v_fma_f64 v[28:29], -v[14:15], v[82:83], v[28:29]
	v_mov_b32_e32 v62, s26
	v_fma_f64 v[28:29], -v[12:13], v[86:87], v[28:29]
	ds_read_b64 v[62:63], v62
	v_fma_f64 v[28:29], -v[18:19], v[90:91], v[28:29]
	s_waitcnt lgkmcnt(3)
	v_fma_f64 v[30:31], -v[26:27], v[98:99], v[30:31]
	v_fma_f64 v[28:29], -v[16:17], v[94:95], v[28:29]
	s_waitcnt lgkmcnt(2)
	v_fma_f64 v[30:31], -v[24:25], v[102:103], v[30:31]
	v_fma_f64 v[28:29], -v[26:27], v[96:97], v[28:29]
	s_add_i32 s26, s27, s7
	s_waitcnt lgkmcnt(1)
	v_mul_f64 v[30:31], v[106:107], v[30:31]
	v_fma_f64 v[28:29], -v[24:25], v[100:101], v[28:29]
	s_lshl_b32 s26, s26, 3
	v_fma_f64 v[28:29], -v[30:31], v[104:105], v[28:29]
	v_mov_b32_e32 v60, s26
	s_waitcnt lgkmcnt(0)
	v_mul_f64 v[28:29], v[62:63], v[28:29]
	ds_read2_b64 v[60:63], v60 offset1:1
	s_add_i32 s26, s27, s9
	s_lshl_b32 s26, s26, 3
	v_mov_b32_e32 v64, s26
	ds_read2_b64 v[64:67], v64 offset1:1
	s_add_i32 s26, s27, s8
	s_waitcnt lgkmcnt(1)
	v_mul_f64 v[62:63], v[128:129], v[62:63]
	s_lshl_b32 s26, s26, 3
	s_waitcnt vmcnt(15)
	v_fma_f64 v[38:39], v[38:39], s[0:1], -v[62:63]
	v_mov_b32_e32 v62, s26
	s_add_i32 s26, s27, s13
	s_lshl_b32 s26, s26, 3
	v_mov_b32_e32 v63, s26
	s_add_i32 s26, s27, s12
	global_store_dwordx4 v[126:127], v[28:31], off offset:-112
	s_lshl_b32 s26, s26, 3
	ds_read2_b64 v[68:71], v62 offset1:1
	ds_read2_b64 v[72:75], v63 offset1:1
	v_mov_b32_e32 v62, s26
	s_add_i32 s26, s27, s15
	s_lshl_b32 s26, s26, 3
	v_mov_b32_e32 v63, s26
	ds_read2_b64 v[76:79], v62 offset1:1
	ds_read2_b64 v[80:83], v63 offset1:1
	s_waitcnt lgkmcnt(4)
	v_fma_f64 v[38:39], -v[130:131], v[66:67], v[38:39]
	s_add_i32 s26, s27, s17
	s_waitcnt lgkmcnt(3)
	v_fma_f64 v[38:39], -v[6:7], v[70:71], v[38:39]
	s_lshl_b32 s26, s26, 3
	s_waitcnt lgkmcnt(2)
	v_fma_f64 v[38:39], -v[4:5], v[74:75], v[38:39]
	v_mov_b32_e32 v62, s26
	s_add_i32 s26, s27, s19
	s_waitcnt lgkmcnt(1)
	v_fma_f64 v[38:39], -v[10:11], v[78:79], v[38:39]
	s_lshl_b32 s26, s26, 3
	s_waitcnt lgkmcnt(0)
	v_fma_f64 v[38:39], -v[8:9], v[82:83], v[38:39]
	ds_read2_b64 v[82:85], v62 offset1:1
	v_mov_b32_e32 v62, s26
	s_add_i32 s26, s27, s20
	s_lshl_b32 s26, s26, 3
	ds_read2_b64 v[86:89], v62 offset1:1
	v_mov_b32_e32 v62, s26
	s_add_i32 s26, s27, s21
	s_lshl_b32 s26, s26, 3
	v_mov_b32_e32 v63, s26
	s_add_i32 s26, s27, s22
	s_lshl_b32 s26, s26, 3
	ds_read2_b64 v[90:93], v62 offset1:1
	ds_read2_b64 v[94:97], v63 offset1:1
	v_mov_b32_e32 v62, s26
	s_add_i32 s26, s27, s23
	s_lshl_b32 s26, s26, 3
	s_waitcnt lgkmcnt(3)
	v_fma_f64 v[38:39], -v[14:15], v[84:85], v[38:39]
	v_mov_b32_e32 v63, s26
	ds_read2_b64 v[98:101], v62 offset1:1
	ds_read2_b64 v[102:105], v63 offset1:1
	s_waitcnt lgkmcnt(4)
	v_fma_f64 v[38:39], -v[12:13], v[88:89], v[38:39]
	s_add_i32 s26, s27, s24
	s_waitcnt lgkmcnt(3)
	v_fma_f64 v[38:39], -v[18:19], v[92:93], v[38:39]
	s_lshl_b32 s26, s26, 3
	s_lshl_b32 s25, s25, 5
	s_waitcnt lgkmcnt(2)
	v_fma_f64 v[38:39], -v[16:17], v[96:97], v[38:39]
	v_mov_b32_e32 v62, s26
	s_add_i32 s26, s27, s25
	s_waitcnt lgkmcnt(1)
	v_fma_f64 v[38:39], -v[26:27], v[100:101], v[38:39]
	s_lshl_b32 s26, s26, 3
	s_waitcnt lgkmcnt(0)
	v_fma_f64 v[38:39], -v[24:25], v[104:105], v[38:39]
	ds_read2_b64 v[104:107], v62 offset1:1
	v_mov_b32_e32 v62, s26
	s_add_i32 s26, s6, 0xfffffe20
	s_add_i32 s28, s27, s26
	v_mul_f64 v[60:61], v[128:129], v[60:61]
	s_lshl_b32 s28, s28, 3
	v_fma_f64 v[36:37], v[36:37], s[0:1], -v[60:61]
	ds_read2_b64 v[108:111], v62 offset1:1
	v_mov_b32_e32 v62, s28
	s_add_i32 s28, s14, 0xffffef80
	v_fma_f64 v[36:37], -v[130:131], v[64:65], v[36:37]
	ds_read2_b64 v[112:115], v62 offset1:1
	v_mov_b32_e32 v62, s28
	v_fma_f64 v[36:37], -v[6:7], v[68:69], v[36:37]
	s_add_i32 s28, s29, s7
	v_fma_f64 v[36:37], -v[4:5], v[72:73], v[36:37]
	s_lshl_b32 s28, s28, 3
	v_fma_f64 v[36:37], -v[10:11], v[76:77], v[36:37]
	v_mov_b32_e32 v60, s28
	ds_read_b64 v[70:71], v62
	v_fma_f64 v[36:37], -v[8:9], v[80:81], v[36:37]
	s_add_i32 s28, s29, s9
	ds_read2_b64 v[60:63], v60 offset1:1
	v_fma_f64 v[36:37], -v[14:15], v[82:83], v[36:37]
	s_lshl_b32 s28, s28, 3
	v_fma_f64 v[36:37], -v[12:13], v[86:87], v[36:37]
	v_mov_b32_e32 v64, s28
	ds_read2_b64 v[64:67], v64 offset1:1
	v_fma_f64 v[36:37], -v[18:19], v[90:91], v[36:37]
	v_fma_f64 v[36:37], -v[16:17], v[94:95], v[36:37]
	s_add_i32 s28, s29, s8
	v_fma_f64 v[36:37], -v[26:27], v[98:99], v[36:37]
	s_waitcnt lgkmcnt(1)
	v_mul_f64 v[62:63], v[128:129], v[62:63]
	s_lshl_b32 s28, s28, 3
	v_fma_f64 v[38:39], -v[30:31], v[106:107], v[38:39]
	v_fma_f64 v[36:37], -v[24:25], v[102:103], v[36:37]
	s_waitcnt vmcnt(15)
	v_fma_f64 v[42:43], v[42:43], s[0:1], -v[62:63]
	v_mov_b32_e32 v62, s28
	s_add_i32 s28, s29, s13
	v_fma_f64 v[38:39], -v[28:29], v[110:111], v[38:39]
	v_fma_f64 v[36:37], -v[30:31], v[104:105], v[36:37]
	s_lshl_b32 s28, s28, 3
	v_mul_f64 v[38:39], v[114:115], v[38:39]
	v_fma_f64 v[36:37], -v[28:29], v[108:109], v[36:37]
	s_waitcnt lgkmcnt(0)
	v_fma_f64 v[42:43], -v[130:131], v[66:67], v[42:43]
	ds_read2_b64 v[66:69], v62 offset1:1
	v_mov_b32_e32 v62, s28
	s_add_i32 s28, s29, s12
	v_fma_f64 v[36:37], -v[38:39], v[112:113], v[36:37]
	s_lshl_b32 s28, s28, 3
	v_mul_f64 v[36:37], v[70:71], v[36:37]
	ds_read2_b64 v[70:73], v62 offset1:1
	v_mov_b32_e32 v62, s28
	s_add_i32 s28, s29, s15
	s_lshl_b32 s28, s28, 3
	v_mov_b32_e32 v63, s28
	s_add_i32 s28, s29, s17
	global_store_dwordx4 v[126:127], v[36:39], off offset:-128
	s_lshl_b32 s28, s28, 3
	ds_read2_b64 v[74:77], v62 offset1:1
	ds_read2_b64 v[78:81], v63 offset1:1
	v_mov_b32_e32 v62, s28
	s_add_i32 s28, s29, s19
	s_lshl_b32 s28, s28, 3
	s_waitcnt lgkmcnt(3)
	v_fma_f64 v[42:43], -v[6:7], v[68:69], v[42:43]
	v_mov_b32_e32 v63, s28
	ds_read2_b64 v[82:85], v62 offset1:1
	ds_read2_b64 v[86:89], v63 offset1:1
	s_waitcnt lgkmcnt(4)
	v_fma_f64 v[42:43], -v[4:5], v[72:73], v[42:43]
	s_add_i32 s28, s29, s20
	s_waitcnt lgkmcnt(3)
	v_fma_f64 v[42:43], -v[10:11], v[76:77], v[42:43]
	s_lshl_b32 s28, s28, 3
	s_waitcnt lgkmcnt(2)
	v_fma_f64 v[42:43], -v[8:9], v[80:81], v[42:43]
	v_mov_b32_e32 v62, s28
	s_add_i32 s28, s29, s21
	s_waitcnt lgkmcnt(1)
	v_fma_f64 v[42:43], -v[14:15], v[84:85], v[42:43]
	s_lshl_b32 s28, s28, 3
	s_waitcnt lgkmcnt(0)
	v_fma_f64 v[42:43], -v[12:13], v[88:89], v[42:43]
	ds_read2_b64 v[88:91], v62 offset1:1
	v_mov_b32_e32 v62, s28
	s_add_i32 s28, s29, s22
	s_lshl_b32 s28, s28, 3
	ds_read2_b64 v[92:95], v62 offset1:1
	v_mov_b32_e32 v62, s28
	s_add_i32 s28, s29, s23
	s_lshl_b32 s28, s28, 3
	v_mov_b32_e32 v63, s28
	s_add_i32 s28, s29, s24
	s_lshl_b32 s28, s28, 3
	ds_read2_b64 v[96:99], v62 offset1:1
	ds_read2_b64 v[100:103], v63 offset1:1
	v_mov_b32_e32 v62, s28
	s_add_i32 s28, s29, s25
	v_mul_f64 v[60:61], v[128:129], v[60:61]
	s_lshl_b32 s28, s28, 3
	v_fma_f64 v[40:41], v[40:41], s[0:1], -v[60:61]
	s_waitcnt lgkmcnt(3)
	v_fma_f64 v[42:43], -v[18:19], v[90:91], v[42:43]
	v_mov_b32_e32 v63, s28
	ds_read2_b64 v[104:107], v62 offset1:1
	ds_read2_b64 v[108:111], v63 offset1:1
	s_add_i32 s28, s29, s26
	v_fma_f64 v[40:41], -v[130:131], v[64:65], v[40:41]
	s_waitcnt lgkmcnt(4)
	v_fma_f64 v[42:43], -v[16:17], v[94:95], v[42:43]
	s_lshl_b32 s28, s28, 3
	v_fma_f64 v[40:41], -v[6:7], v[66:67], v[40:41]
	s_waitcnt lgkmcnt(3)
	v_fma_f64 v[42:43], -v[26:27], v[98:99], v[42:43]
	v_mov_b32_e32 v62, s28
	s_lshl_b32 s28, s27, 5
	v_fma_f64 v[40:41], -v[4:5], v[70:71], v[40:41]
	s_waitcnt lgkmcnt(2)
	v_fma_f64 v[42:43], -v[24:25], v[102:103], v[42:43]
	s_add_i32 s27, s29, s28
	v_fma_f64 v[40:41], -v[10:11], v[74:75], v[40:41]
	s_waitcnt lgkmcnt(1)
	v_fma_f64 v[42:43], -v[30:31], v[106:107], v[42:43]
	s_lshl_b32 s27, s27, 3
	v_fma_f64 v[40:41], -v[8:9], v[78:79], v[40:41]
	s_waitcnt lgkmcnt(0)
	v_fma_f64 v[42:43], -v[28:29], v[110:111], v[42:43]
	ds_read2_b64 v[110:113], v62 offset1:1
	v_mov_b32_e32 v62, s27
	s_add_i32 s27, s6, 0xfffffde0
	v_fma_f64 v[40:41], -v[14:15], v[82:83], v[40:41]
	s_add_i32 s30, s29, s27
	v_fma_f64 v[40:41], -v[12:13], v[86:87], v[40:41]
	s_lshl_b32 s30, s30, 3
	v_fma_f64 v[40:41], -v[18:19], v[88:89], v[40:41]
	ds_read2_b64 v[114:117], v62 offset1:1
	v_mov_b32_e32 v62, s30
	v_fma_f64 v[40:41], -v[16:17], v[92:93], v[40:41]
	ds_read2_b64 v[118:121], v62 offset1:1
	s_add_i32 s30, s14, 0xffffed70
	v_fma_f64 v[40:41], -v[26:27], v[96:97], v[40:41]
	v_mov_b32_e32 v62, s30
	v_fma_f64 v[40:41], -v[24:25], v[100:101], v[40:41]
	ds_read_b64 v[62:63], v62
	v_fma_f64 v[40:41], -v[30:31], v[104:105], v[40:41]
	s_waitcnt lgkmcnt(3)
	v_fma_f64 v[42:43], -v[38:39], v[112:113], v[42:43]
	v_fma_f64 v[40:41], -v[28:29], v[108:109], v[40:41]
	s_add_i32 s30, s31, s7
	s_waitcnt lgkmcnt(2)
	v_fma_f64 v[42:43], -v[36:37], v[116:117], v[42:43]
	v_fma_f64 v[40:41], -v[38:39], v[110:111], v[40:41]
	s_lshl_b32 s30, s30, 3
	s_waitcnt lgkmcnt(1)
	v_mul_f64 v[42:43], v[120:121], v[42:43]
	v_fma_f64 v[40:41], -v[36:37], v[114:115], v[40:41]
	v_mov_b32_e32 v60, s30
	s_add_i32 s30, s31, s9
	v_fma_f64 v[40:41], -v[42:43], v[118:119], v[40:41]
	s_lshl_b32 s30, s30, 3
	s_waitcnt lgkmcnt(0)
	v_mul_f64 v[40:41], v[62:63], v[40:41]
	v_mov_b32_e32 v61, s30
	s_add_i32 s30, s31, s8
	global_store_dwordx4 v[126:127], v[40:43], off offset:-144
	s_lshl_b32 s30, s30, 3
	ds_read2_b64 v[64:67], v60 offset1:1
	ds_read2_b64 v[60:63], v61 offset1:1
	v_mov_b32_e32 v68, s30
	s_add_i32 s30, s31, s13
	s_lshl_b32 s30, s30, 3
	v_mov_b32_e32 v72, s30
	ds_read2_b64 v[68:71], v68 offset1:1
	ds_read2_b64 v[72:75], v72 offset1:1
	s_waitcnt lgkmcnt(3)
	v_mul_f64 v[66:67], v[128:129], v[66:67]
	s_add_i32 s30, s31, s12
	s_waitcnt vmcnt(16)
	v_fma_f64 v[50:51], v[50:51], s[0:1], -v[66:67]
	s_lshl_b32 s30, s30, 3
	s_waitcnt lgkmcnt(2)
	v_fma_f64 v[50:51], -v[130:131], v[62:63], v[50:51]
	v_mov_b32_e32 v62, s30
	s_add_i32 s30, s31, s15
	s_waitcnt lgkmcnt(1)
	v_fma_f64 v[50:51], -v[6:7], v[70:71], v[50:51]
	s_lshl_b32 s30, s30, 3
	s_waitcnt lgkmcnt(0)
	v_fma_f64 v[50:51], -v[4:5], v[74:75], v[50:51]
	ds_read2_b64 v[74:77], v62 offset1:1
	v_mov_b32_e32 v62, s30
	s_add_i32 s30, s31, s17
	s_lshl_b32 s30, s30, 3
	ds_read2_b64 v[78:81], v62 offset1:1
	v_mov_b32_e32 v62, s30
	s_add_i32 s30, s31, s19
	s_lshl_b32 s30, s30, 3
	v_mov_b32_e32 v63, s30
	s_add_i32 s30, s31, s20
	s_lshl_b32 s30, s30, 3
	ds_read2_b64 v[82:85], v62 offset1:1
	ds_read2_b64 v[86:89], v63 offset1:1
	v_mov_b32_e32 v62, s30
	s_add_i32 s30, s31, s21
	s_lshl_b32 s30, s30, 3
	s_waitcnt lgkmcnt(3)
	v_fma_f64 v[50:51], -v[10:11], v[76:77], v[50:51]
	v_mov_b32_e32 v63, s30
	ds_read2_b64 v[90:93], v62 offset1:1
	ds_read2_b64 v[94:97], v63 offset1:1
	s_waitcnt lgkmcnt(4)
	v_fma_f64 v[50:51], -v[8:9], v[80:81], v[50:51]
	s_add_i32 s30, s31, s22
	s_waitcnt lgkmcnt(3)
	v_fma_f64 v[50:51], -v[14:15], v[84:85], v[50:51]
	s_lshl_b32 s30, s30, 3
	s_waitcnt lgkmcnt(2)
	v_fma_f64 v[50:51], -v[12:13], v[88:89], v[50:51]
	v_mov_b32_e32 v62, s30
	s_add_i32 s30, s31, s23
	s_waitcnt lgkmcnt(1)
	v_fma_f64 v[50:51], -v[18:19], v[92:93], v[50:51]
	s_lshl_b32 s30, s30, 3
	s_waitcnt lgkmcnt(0)
	v_fma_f64 v[50:51], -v[16:17], v[96:97], v[50:51]
	ds_read2_b64 v[96:99], v62 offset1:1
	v_mov_b32_e32 v62, s30
	s_add_i32 s30, s31, s24
	s_lshl_b32 s30, s30, 3
	ds_read2_b64 v[100:103], v62 offset1:1
	v_mov_b32_e32 v62, s30
	s_add_i32 s30, s31, s25
	s_lshl_b32 s30, s30, 3
	v_mov_b32_e32 v63, s30
	s_add_i32 s30, s31, s26
	v_mul_f64 v[64:65], v[128:129], v[64:65]
	s_lshl_b32 s30, s30, 3
	v_fma_f64 v[48:49], v[48:49], s[0:1], -v[64:65]
	ds_read2_b64 v[104:107], v62 offset1:1
	ds_read2_b64 v[108:111], v63 offset1:1
	v_mov_b32_e32 v62, s30
	s_add_i32 s30, s31, s28
	v_fma_f64 v[48:49], -v[130:131], v[60:61], v[48:49]
	s_lshl_b32 s30, s30, 3
	v_fma_f64 v[48:49], -v[6:7], v[68:69], v[48:49]
	s_waitcnt lgkmcnt(3)
	v_fma_f64 v[50:51], -v[26:27], v[98:99], v[50:51]
	v_mov_b32_e32 v63, s30
	ds_read2_b64 v[112:115], v62 offset1:1
	ds_read2_b64 v[116:119], v63 offset1:1
	v_fma_f64 v[48:49], -v[4:5], v[72:73], v[48:49]
	s_waitcnt lgkmcnt(4)
	v_fma_f64 v[50:51], -v[24:25], v[102:103], v[50:51]
	s_add_i32 s30, s31, s27
	v_fma_f64 v[48:49], -v[10:11], v[74:75], v[48:49]
	s_waitcnt lgkmcnt(3)
	v_fma_f64 v[50:51], -v[30:31], v[106:107], v[50:51]
	s_lshl_b32 s30, s30, 3
	s_lshl_b32 s29, s29, 5
	v_fma_f64 v[48:49], -v[8:9], v[78:79], v[48:49]
	s_waitcnt lgkmcnt(2)
	v_fma_f64 v[50:51], -v[28:29], v[110:111], v[50:51]
	v_mov_b32_e32 v62, s30
	s_add_i32 s30, s31, s29
	v_fma_f64 v[48:49], -v[14:15], v[82:83], v[48:49]
	s_waitcnt lgkmcnt(1)
	v_fma_f64 v[50:51], -v[38:39], v[114:115], v[50:51]
	s_lshl_b32 s30, s30, 3
	v_fma_f64 v[48:49], -v[12:13], v[86:87], v[48:49]
	s_waitcnt lgkmcnt(0)
	v_fma_f64 v[50:51], -v[36:37], v[118:119], v[50:51]
	ds_read2_b64 v[118:121], v62 offset1:1
	v_mov_b32_e32 v62, s30
	s_add_i32 s30, s6, 0xfffffda0
	v_fma_f64 v[48:49], -v[18:19], v[90:91], v[48:49]
	s_add_i32 s33, s31, s30
	v_fma_f64 v[48:49], -v[16:17], v[94:95], v[48:49]
	s_lshl_b32 s33, s33, 3
	v_fma_f64 v[48:49], -v[26:27], v[96:97], v[48:49]
	ds_read2_b64 v[132:135], v62 offset1:1
	v_mov_b32_e32 v62, s33
	v_fma_f64 v[48:49], -v[24:25], v[100:101], v[48:49]
	ds_read2_b64 v[136:139], v62 offset1:1
	s_add_i32 s33, s14, 0xffffeb60
	v_fma_f64 v[48:49], -v[30:31], v[104:105], v[48:49]
	v_mov_b32_e32 v62, s33
	v_fma_f64 v[48:49], -v[28:29], v[108:109], v[48:49]
	ds_read_b64 v[62:63], v62
	v_fma_f64 v[48:49], -v[38:39], v[112:113], v[48:49]
	s_waitcnt lgkmcnt(3)
	v_fma_f64 v[50:51], -v[42:43], v[120:121], v[50:51]
	v_fma_f64 v[48:49], -v[36:37], v[116:117], v[48:49]
	s_waitcnt lgkmcnt(2)
	v_fma_f64 v[50:51], -v[40:41], v[134:135], v[50:51]
	v_fma_f64 v[48:49], -v[42:43], v[118:119], v[48:49]
	s_add_i32 s33, s34, s7
	s_waitcnt lgkmcnt(1)
	v_mul_f64 v[50:51], v[138:139], v[50:51]
	v_fma_f64 v[48:49], -v[40:41], v[132:133], v[48:49]
	s_lshl_b32 s33, s33, 3
	v_fma_f64 v[48:49], -v[50:51], v[136:137], v[48:49]
	v_mov_b32_e32 v60, s33
	s_waitcnt lgkmcnt(0)
	v_mul_f64 v[48:49], v[62:63], v[48:49]
	ds_read2_b64 v[60:63], v60 offset1:1
	s_add_i32 s33, s34, s9
	s_lshl_b32 s33, s33, 3
	v_mov_b32_e32 v64, s33
	ds_read2_b64 v[64:67], v64 offset1:1
	s_add_i32 s33, s34, s8
	s_waitcnt lgkmcnt(1)
	v_mul_f64 v[62:63], v[128:129], v[62:63]
	s_lshl_b32 s33, s33, 3
	s_waitcnt vmcnt(15)
	v_fma_f64 v[58:59], v[58:59], s[0:1], -v[62:63]
	v_mov_b32_e32 v62, s33
	s_add_i32 s33, s34, s13
	s_lshl_b32 s33, s33, 3
	v_mov_b32_e32 v63, s33
	s_add_i32 s33, s34, s12
	global_store_dwordx4 v[126:127], v[48:51], off offset:-160
	s_lshl_b32 s33, s33, 3
	ds_read2_b64 v[68:71], v62 offset1:1
	ds_read2_b64 v[72:75], v63 offset1:1
	v_mov_b32_e32 v62, s33
	s_add_i32 s33, s34, s15
	s_lshl_b32 s33, s33, 3
	v_mov_b32_e32 v63, s33
	ds_read2_b64 v[76:79], v62 offset1:1
	ds_read2_b64 v[80:83], v63 offset1:1
	s_waitcnt lgkmcnt(4)
	v_fma_f64 v[58:59], -v[130:131], v[66:67], v[58:59]
	s_add_i32 s33, s34, s17
	s_waitcnt lgkmcnt(3)
	v_fma_f64 v[58:59], -v[6:7], v[70:71], v[58:59]
	s_lshl_b32 s33, s33, 3
	s_waitcnt lgkmcnt(2)
	v_fma_f64 v[58:59], -v[4:5], v[74:75], v[58:59]
	v_mov_b32_e32 v62, s33
	s_add_i32 s33, s34, s19
	s_waitcnt lgkmcnt(1)
	v_fma_f64 v[58:59], -v[10:11], v[78:79], v[58:59]
	s_lshl_b32 s33, s33, 3
	s_waitcnt lgkmcnt(0)
	v_fma_f64 v[58:59], -v[8:9], v[82:83], v[58:59]
	ds_read2_b64 v[82:85], v62 offset1:1
	v_mov_b32_e32 v62, s33
	s_add_i32 s33, s34, s20
	s_lshl_b32 s33, s33, 3
	ds_read2_b64 v[86:89], v62 offset1:1
	v_mov_b32_e32 v62, s33
	s_add_i32 s33, s34, s21
	s_lshl_b32 s33, s33, 3
	v_mov_b32_e32 v63, s33
	s_add_i32 s33, s34, s22
	s_lshl_b32 s33, s33, 3
	ds_read2_b64 v[90:93], v62 offset1:1
	ds_read2_b64 v[94:97], v63 offset1:1
	v_mov_b32_e32 v62, s33
	s_add_i32 s33, s34, s23
	s_lshl_b32 s33, s33, 3
	s_waitcnt lgkmcnt(3)
	v_fma_f64 v[58:59], -v[14:15], v[84:85], v[58:59]
	v_mov_b32_e32 v63, s33
	ds_read2_b64 v[98:101], v62 offset1:1
	ds_read2_b64 v[102:105], v63 offset1:1
	s_waitcnt lgkmcnt(4)
	v_fma_f64 v[58:59], -v[12:13], v[88:89], v[58:59]
	s_add_i32 s33, s34, s24
	s_waitcnt lgkmcnt(3)
	v_fma_f64 v[58:59], -v[18:19], v[92:93], v[58:59]
	s_lshl_b32 s33, s33, 3
	s_waitcnt lgkmcnt(2)
	v_fma_f64 v[58:59], -v[16:17], v[96:97], v[58:59]
	v_mov_b32_e32 v62, s33
	s_add_i32 s33, s34, s25
	s_waitcnt lgkmcnt(1)
	v_fma_f64 v[58:59], -v[26:27], v[100:101], v[58:59]
	s_lshl_b32 s33, s33, 3
	s_waitcnt lgkmcnt(0)
	v_fma_f64 v[58:59], -v[24:25], v[104:105], v[58:59]
	ds_read2_b64 v[104:107], v62 offset1:1
	v_mov_b32_e32 v62, s33
	s_add_i32 s33, s34, s26
	s_lshl_b32 s33, s33, 3
	ds_read2_b64 v[108:111], v62 offset1:1
	v_mov_b32_e32 v62, s33
	s_add_i32 s33, s34, s28
	s_lshl_b32 s33, s33, 3
	v_mov_b32_e32 v63, s33
	s_add_i32 s33, s34, s27
	s_lshl_b32 s33, s33, 3
	ds_read2_b64 v[112:115], v62 offset1:1
	ds_read2_b64 v[116:119], v63 offset1:1
	v_mov_b32_e32 v62, s33
	s_add_i32 s33, s34, s29
	s_lshl_b32 s33, s33, 3
	v_mul_f64 v[60:61], v[128:129], v[60:61]
	v_mov_b32_e32 v63, s33
	s_add_i32 s33, s34, s30
	v_fma_f64 v[56:57], v[56:57], s[0:1], -v[60:61]
	s_waitcnt lgkmcnt(3)
	v_fma_f64 v[58:59], -v[30:31], v[106:107], v[58:59]
	s_lshl_b32 s33, s33, 3
	s_lshl_b32 s31, s31, 5
	v_fma_f64 v[56:57], -v[130:131], v[64:65], v[56:57]
	ds_read2_b64 v[132:135], v62 offset1:1
	ds_read2_b64 v[136:139], v63 offset1:1
	s_waitcnt lgkmcnt(4)
	v_fma_f64 v[58:59], -v[28:29], v[110:111], v[58:59]
	v_mov_b32_e32 v62, s33
	s_add_i32 s33, s34, s31
	v_fma_f64 v[56:57], -v[6:7], v[68:69], v[56:57]
	s_waitcnt lgkmcnt(3)
	v_fma_f64 v[58:59], -v[38:39], v[114:115], v[58:59]
	s_lshl_b32 s33, s33, 3
	v_fma_f64 v[56:57], -v[4:5], v[72:73], v[56:57]
	s_waitcnt lgkmcnt(2)
	v_fma_f64 v[58:59], -v[36:37], v[118:119], v[58:59]
	ds_read2_b64 v[118:121], v62 offset1:1
	v_mov_b32_e32 v62, s33
	s_add_i32 s33, s6, 0xfffffd60
	v_fma_f64 v[56:57], -v[10:11], v[76:77], v[56:57]
	s_add_i32 s35, s34, s33
	v_fma_f64 v[56:57], -v[8:9], v[80:81], v[56:57]
	s_waitcnt lgkmcnt(2)
	v_fma_f64 v[58:59], -v[42:43], v[134:135], v[58:59]
	s_lshl_b32 s35, s35, 3
	v_fma_f64 v[56:57], -v[14:15], v[82:83], v[56:57]
	s_waitcnt lgkmcnt(1)
	v_fma_f64 v[58:59], -v[40:41], v[138:139], v[58:59]
	ds_read2_b64 v[138:141], v62 offset1:1
	v_mov_b32_e32 v62, s35
	s_add_i32 s35, s14, 0xffffe950
	v_fma_f64 v[56:57], -v[12:13], v[86:87], v[56:57]
	ds_read2_b64 v[142:145], v62 offset1:1
	v_mov_b32_e32 v62, s35
	v_fma_f64 v[56:57], -v[18:19], v[90:91], v[56:57]
	s_add_i32 s35, s36, s7
	v_fma_f64 v[56:57], -v[16:17], v[94:95], v[56:57]
	s_lshl_b32 s35, s35, 3
	v_fma_f64 v[56:57], -v[26:27], v[98:99], v[56:57]
	v_mov_b32_e32 v60, s35
	ds_read_b64 v[70:71], v62
	v_fma_f64 v[56:57], -v[24:25], v[102:103], v[56:57]
	s_add_i32 s35, s36, s9
	ds_read2_b64 v[60:63], v60 offset1:1
	v_fma_f64 v[56:57], -v[30:31], v[104:105], v[56:57]
	s_lshl_b32 s35, s35, 3
	v_fma_f64 v[56:57], -v[28:29], v[108:109], v[56:57]
	v_mov_b32_e32 v64, s35
	ds_read2_b64 v[64:67], v64 offset1:1
	v_fma_f64 v[56:57], -v[38:39], v[112:113], v[56:57]
	v_fma_f64 v[56:57], -v[36:37], v[116:117], v[56:57]
	s_add_i32 s35, s36, s8
	v_fma_f64 v[56:57], -v[42:43], v[132:133], v[56:57]
	s_waitcnt lgkmcnt(1)
	v_mul_f64 v[62:63], v[128:129], v[62:63]
	s_lshl_b32 s35, s35, 3
	v_fma_f64 v[58:59], -v[50:51], v[120:121], v[58:59]
	v_fma_f64 v[56:57], -v[40:41], v[136:137], v[56:57]
	s_waitcnt vmcnt(15)
	v_fma_f64 v[54:55], v[54:55], s[0:1], -v[62:63]
	v_mov_b32_e32 v62, s35
	s_add_i32 s35, s36, s13
	v_fma_f64 v[58:59], -v[48:49], v[140:141], v[58:59]
	v_fma_f64 v[56:57], -v[50:51], v[118:119], v[56:57]
	s_lshl_b32 s35, s35, 3
	v_mul_f64 v[58:59], v[144:145], v[58:59]
	v_fma_f64 v[56:57], -v[48:49], v[138:139], v[56:57]
	s_waitcnt lgkmcnt(0)
	v_fma_f64 v[54:55], -v[130:131], v[66:67], v[54:55]
	ds_read2_b64 v[66:69], v62 offset1:1
	v_mov_b32_e32 v62, s35
	s_add_i32 s35, s36, s12
	v_fma_f64 v[56:57], -v[58:59], v[142:143], v[56:57]
	s_lshl_b32 s35, s35, 3
	v_mul_f64 v[56:57], v[70:71], v[56:57]
	ds_read2_b64 v[70:73], v62 offset1:1
	v_mov_b32_e32 v62, s35
	s_add_i32 s35, s36, s15
	s_lshl_b32 s35, s35, 3
	v_mov_b32_e32 v63, s35
	s_add_i32 s35, s36, s17
	global_store_dwordx4 v[126:127], v[56:59], off offset:-176
	s_lshl_b32 s35, s35, 3
	ds_read2_b64 v[74:77], v62 offset1:1
	ds_read2_b64 v[78:81], v63 offset1:1
	v_mov_b32_e32 v62, s35
	s_add_i32 s35, s36, s19
	s_lshl_b32 s35, s35, 3
	s_waitcnt lgkmcnt(3)
	v_fma_f64 v[54:55], -v[6:7], v[68:69], v[54:55]
	v_mov_b32_e32 v63, s35
	ds_read2_b64 v[82:85], v62 offset1:1
	ds_read2_b64 v[86:89], v63 offset1:1
	s_waitcnt lgkmcnt(4)
	v_fma_f64 v[54:55], -v[4:5], v[72:73], v[54:55]
	s_add_i32 s35, s36, s20
	s_waitcnt lgkmcnt(3)
	v_fma_f64 v[54:55], -v[10:11], v[76:77], v[54:55]
	s_lshl_b32 s35, s35, 3
	s_waitcnt lgkmcnt(2)
	v_fma_f64 v[54:55], -v[8:9], v[80:81], v[54:55]
	v_mov_b32_e32 v62, s35
	s_add_i32 s35, s36, s21
	s_waitcnt lgkmcnt(1)
	v_fma_f64 v[54:55], -v[14:15], v[84:85], v[54:55]
	s_lshl_b32 s35, s35, 3
	s_waitcnt lgkmcnt(0)
	v_fma_f64 v[54:55], -v[12:13], v[88:89], v[54:55]
	ds_read2_b64 v[88:91], v62 offset1:1
	v_mov_b32_e32 v62, s35
	s_add_i32 s35, s36, s22
	s_lshl_b32 s35, s35, 3
	ds_read2_b64 v[92:95], v62 offset1:1
	v_mov_b32_e32 v62, s35
	s_add_i32 s35, s36, s23
	s_lshl_b32 s35, s35, 3
	v_mov_b32_e32 v63, s35
	s_add_i32 s35, s36, s24
	s_lshl_b32 s35, s35, 3
	ds_read2_b64 v[96:99], v62 offset1:1
	ds_read2_b64 v[100:103], v63 offset1:1
	v_mov_b32_e32 v62, s35
	s_add_i32 s35, s36, s25
	s_lshl_b32 s35, s35, 3
	s_waitcnt lgkmcnt(3)
	v_fma_f64 v[54:55], -v[18:19], v[90:91], v[54:55]
	v_mov_b32_e32 v63, s35
	ds_read2_b64 v[104:107], v62 offset1:1
	ds_read2_b64 v[108:111], v63 offset1:1
	s_waitcnt lgkmcnt(4)
	v_fma_f64 v[54:55], -v[16:17], v[94:95], v[54:55]
	s_add_i32 s35, s36, s26
	s_waitcnt lgkmcnt(3)
	v_fma_f64 v[54:55], -v[26:27], v[98:99], v[54:55]
	s_lshl_b32 s35, s35, 3
	s_waitcnt lgkmcnt(2)
	v_fma_f64 v[54:55], -v[24:25], v[102:103], v[54:55]
	v_mov_b32_e32 v62, s35
	s_add_i32 s35, s36, s28
	s_waitcnt lgkmcnt(1)
	v_fma_f64 v[54:55], -v[30:31], v[106:107], v[54:55]
	s_lshl_b32 s35, s35, 3
	s_waitcnt lgkmcnt(0)
	v_fma_f64 v[54:55], -v[28:29], v[110:111], v[54:55]
	ds_read2_b64 v[110:113], v62 offset1:1
	v_mov_b32_e32 v62, s35
	s_add_i32 s35, s36, s27
	v_mul_f64 v[60:61], v[128:129], v[60:61]
	s_lshl_b32 s35, s35, 3
	v_fma_f64 v[52:53], v[52:53], s[0:1], -v[60:61]
	ds_read2_b64 v[114:117], v62 offset1:1
	v_mov_b32_e32 v62, s35
	s_add_i32 s35, s36, s29
	v_fma_f64 v[52:53], -v[130:131], v[64:65], v[52:53]
	s_lshl_b32 s35, s35, 3
	v_fma_f64 v[52:53], -v[6:7], v[66:67], v[52:53]
	v_mov_b32_e32 v63, s35
	s_add_i32 s35, s36, s30
	v_fma_f64 v[52:53], -v[4:5], v[70:71], v[52:53]
	s_lshl_b32 s35, s35, 3
	v_fma_f64 v[52:53], -v[10:11], v[74:75], v[52:53]
	ds_read2_b64 v[118:121], v62 offset1:1
	ds_read2_b64 v[132:135], v63 offset1:1
	v_mov_b32_e32 v62, s35
	s_add_i32 s35, s36, s31
	v_fma_f64 v[52:53], -v[8:9], v[78:79], v[52:53]
	s_lshl_b32 s35, s35, 3
	v_fma_f64 v[52:53], -v[14:15], v[82:83], v[52:53]
	s_waitcnt lgkmcnt(3)
	v_fma_f64 v[54:55], -v[38:39], v[112:113], v[54:55]
	v_mov_b32_e32 v63, s35
	ds_read2_b64 v[136:139], v62 offset1:1
	ds_read2_b64 v[140:143], v63 offset1:1
	s_add_i32 s35, s36, s33
	v_fma_f64 v[52:53], -v[12:13], v[86:87], v[52:53]
	s_waitcnt lgkmcnt(4)
	v_fma_f64 v[54:55], -v[36:37], v[116:117], v[54:55]
	s_lshl_b32 s35, s35, 3
	v_fma_f64 v[52:53], -v[18:19], v[88:89], v[52:53]
	s_waitcnt lgkmcnt(3)
	v_fma_f64 v[54:55], -v[42:43], v[120:121], v[54:55]
	v_mov_b32_e32 v62, s35
	s_lshl_b32 s35, s34, 5
	v_fma_f64 v[52:53], -v[16:17], v[92:93], v[52:53]
	s_waitcnt lgkmcnt(2)
	v_fma_f64 v[54:55], -v[40:41], v[134:135], v[54:55]
	s_add_i32 s34, s36, s35
	v_fma_f64 v[52:53], -v[26:27], v[96:97], v[52:53]
	s_waitcnt lgkmcnt(1)
	v_fma_f64 v[54:55], -v[50:51], v[138:139], v[54:55]
	s_lshl_b32 s34, s34, 3
	v_fma_f64 v[52:53], -v[24:25], v[100:101], v[52:53]
	s_waitcnt lgkmcnt(0)
	v_fma_f64 v[54:55], -v[48:49], v[142:143], v[54:55]
	ds_read2_b64 v[142:145], v62 offset1:1
	v_mov_b32_e32 v62, s34
	s_add_i32 s34, s6, 0xfffffd20
	v_fma_f64 v[52:53], -v[30:31], v[104:105], v[52:53]
	s_add_i32 s37, s36, s34
	v_fma_f64 v[52:53], -v[28:29], v[108:109], v[52:53]
	s_lshl_b32 s37, s37, 3
	v_fma_f64 v[52:53], -v[38:39], v[110:111], v[52:53]
	ds_read2_b64 v[146:149], v62 offset1:1
	v_mov_b32_e32 v62, s37
	v_fma_f64 v[52:53], -v[36:37], v[114:115], v[52:53]
	ds_read2_b64 v[150:153], v62 offset1:1
	s_add_i32 s37, s14, 0xffffe740
	v_fma_f64 v[52:53], -v[42:43], v[118:119], v[52:53]
	v_mov_b32_e32 v62, s37
	v_fma_f64 v[52:53], -v[40:41], v[132:133], v[52:53]
	ds_read_b64 v[62:63], v62
	v_fma_f64 v[52:53], -v[50:51], v[136:137], v[52:53]
	s_waitcnt lgkmcnt(3)
	v_fma_f64 v[54:55], -v[58:59], v[144:145], v[54:55]
	v_fma_f64 v[52:53], -v[48:49], v[140:141], v[52:53]
	s_add_i32 s37, s38, s7
	s_waitcnt lgkmcnt(2)
	v_fma_f64 v[54:55], -v[56:57], v[148:149], v[54:55]
	v_fma_f64 v[52:53], -v[58:59], v[142:143], v[52:53]
	s_lshl_b32 s37, s37, 3
	s_waitcnt lgkmcnt(1)
	v_mul_f64 v[54:55], v[152:153], v[54:55]
	v_fma_f64 v[52:53], -v[56:57], v[146:147], v[52:53]
	v_mov_b32_e32 v60, s37
	s_add_i32 s37, s38, s9
	v_fma_f64 v[52:53], -v[54:55], v[150:151], v[52:53]
	s_lshl_b32 s37, s37, 3
	s_waitcnt lgkmcnt(0)
	v_mul_f64 v[52:53], v[62:63], v[52:53]
	v_mov_b32_e32 v61, s37
	s_add_i32 s37, s38, s8
	global_store_dwordx4 v[126:127], v[52:55], off offset:-192
	s_lshl_b32 s37, s37, 3
	ds_read2_b64 v[64:67], v60 offset1:1
	ds_read2_b64 v[60:63], v61 offset1:1
	v_mov_b32_e32 v68, s37
	s_add_i32 s37, s38, s13
	s_lshl_b32 s37, s37, 3
	v_mov_b32_e32 v72, s37
	ds_read2_b64 v[68:71], v68 offset1:1
	ds_read2_b64 v[72:75], v72 offset1:1
	s_waitcnt lgkmcnt(3)
	v_mul_f64 v[66:67], v[128:129], v[66:67]
	s_add_i32 s37, s38, s12
	s_waitcnt vmcnt(16)
	v_fma_f64 v[46:47], v[46:47], s[0:1], -v[66:67]
	s_lshl_b32 s37, s37, 3
	s_waitcnt lgkmcnt(2)
	v_fma_f64 v[46:47], -v[130:131], v[62:63], v[46:47]
	v_mov_b32_e32 v62, s37
	s_add_i32 s37, s38, s15
	s_waitcnt lgkmcnt(1)
	v_fma_f64 v[46:47], -v[6:7], v[70:71], v[46:47]
	s_lshl_b32 s37, s37, 3
	s_waitcnt lgkmcnt(0)
	v_fma_f64 v[46:47], -v[4:5], v[74:75], v[46:47]
	ds_read2_b64 v[74:77], v62 offset1:1
	v_mov_b32_e32 v62, s37
	s_add_i32 s37, s38, s17
	s_lshl_b32 s37, s37, 3
	ds_read2_b64 v[78:81], v62 offset1:1
	v_mov_b32_e32 v62, s37
	s_add_i32 s37, s38, s19
	s_lshl_b32 s37, s37, 3
	v_mov_b32_e32 v63, s37
	s_add_i32 s37, s38, s20
	s_lshl_b32 s37, s37, 3
	ds_read2_b64 v[82:85], v62 offset1:1
	ds_read2_b64 v[86:89], v63 offset1:1
	v_mov_b32_e32 v62, s37
	s_add_i32 s37, s38, s21
	s_lshl_b32 s37, s37, 3
	s_waitcnt lgkmcnt(3)
	v_fma_f64 v[46:47], -v[10:11], v[76:77], v[46:47]
	v_mov_b32_e32 v63, s37
	ds_read2_b64 v[90:93], v62 offset1:1
	ds_read2_b64 v[94:97], v63 offset1:1
	s_waitcnt lgkmcnt(4)
	v_fma_f64 v[46:47], -v[8:9], v[80:81], v[46:47]
	s_add_i32 s37, s38, s22
	s_waitcnt lgkmcnt(3)
	v_fma_f64 v[46:47], -v[14:15], v[84:85], v[46:47]
	s_lshl_b32 s37, s37, 3
	s_waitcnt lgkmcnt(2)
	v_fma_f64 v[46:47], -v[12:13], v[88:89], v[46:47]
	v_mov_b32_e32 v62, s37
	s_add_i32 s37, s38, s23
	s_waitcnt lgkmcnt(1)
	v_fma_f64 v[46:47], -v[18:19], v[92:93], v[46:47]
	s_lshl_b32 s37, s37, 3
	s_waitcnt lgkmcnt(0)
	v_fma_f64 v[46:47], -v[16:17], v[96:97], v[46:47]
	ds_read2_b64 v[96:99], v62 offset1:1
	v_mov_b32_e32 v62, s37
	s_add_i32 s37, s38, s24
	s_lshl_b32 s37, s37, 3
	ds_read2_b64 v[100:103], v62 offset1:1
	v_mov_b32_e32 v62, s37
	s_add_i32 s37, s38, s25
	s_lshl_b32 s37, s37, 3
	v_mov_b32_e32 v63, s37
	s_add_i32 s37, s38, s26
	s_lshl_b32 s37, s37, 3
	ds_read2_b64 v[104:107], v62 offset1:1
	ds_read2_b64 v[108:111], v63 offset1:1
	v_mov_b32_e32 v62, s37
	s_add_i32 s37, s38, s28
	s_lshl_b32 s37, s37, 3
	s_waitcnt lgkmcnt(3)
	v_fma_f64 v[46:47], -v[26:27], v[98:99], v[46:47]
	v_mov_b32_e32 v63, s37
	ds_read2_b64 v[112:115], v62 offset1:1
	ds_read2_b64 v[116:119], v63 offset1:1
	s_waitcnt lgkmcnt(4)
	v_fma_f64 v[46:47], -v[24:25], v[102:103], v[46:47]
	s_add_i32 s37, s38, s27
	s_waitcnt lgkmcnt(3)
	v_fma_f64 v[46:47], -v[30:31], v[106:107], v[46:47]
	s_lshl_b32 s37, s37, 3
	s_waitcnt lgkmcnt(2)
	v_fma_f64 v[46:47], -v[28:29], v[110:111], v[46:47]
	v_mov_b32_e32 v62, s37
	s_add_i32 s37, s38, s29
	v_mul_f64 v[64:65], v[128:129], v[64:65]
	s_waitcnt lgkmcnt(1)
	v_fma_f64 v[46:47], -v[38:39], v[114:115], v[46:47]
	s_lshl_b32 s37, s37, 3
	v_fma_f64 v[44:45], v[44:45], s[0:1], -v[64:65]
	s_waitcnt lgkmcnt(0)
	v_fma_f64 v[46:47], -v[36:37], v[118:119], v[46:47]
	ds_read2_b64 v[118:121], v62 offset1:1
	v_mov_b32_e32 v62, s37
	s_add_i32 s37, s38, s30
	v_fma_f64 v[44:45], -v[130:131], v[60:61], v[44:45]
	s_lshl_b32 s37, s37, 3
	v_fma_f64 v[44:45], -v[6:7], v[68:69], v[44:45]
	ds_read2_b64 v[132:135], v62 offset1:1
	v_mov_b32_e32 v62, s37
	s_add_i32 s37, s38, s31
	v_fma_f64 v[44:45], -v[4:5], v[72:73], v[44:45]
	s_lshl_b32 s37, s37, 3
	v_fma_f64 v[44:45], -v[10:11], v[74:75], v[44:45]
	v_mov_b32_e32 v63, s37
	s_add_i32 s37, s38, s33
	v_fma_f64 v[44:45], -v[8:9], v[78:79], v[44:45]
	s_lshl_b32 s37, s37, 3
	v_fma_f64 v[44:45], -v[14:15], v[82:83], v[44:45]
	ds_read2_b64 v[136:139], v62 offset1:1
	ds_read2_b64 v[140:143], v63 offset1:1
	v_mov_b32_e32 v62, s37
	s_add_i32 s37, s38, s35
	v_fma_f64 v[44:45], -v[12:13], v[86:87], v[44:45]
	s_lshl_b32 s37, s37, 3
	v_fma_f64 v[44:45], -v[18:19], v[90:91], v[44:45]
	s_waitcnt lgkmcnt(3)
	v_fma_f64 v[46:47], -v[42:43], v[120:121], v[46:47]
	v_mov_b32_e32 v63, s37
	ds_read2_b64 v[144:147], v62 offset1:1
	ds_read2_b64 v[148:151], v63 offset1:1
	v_fma_f64 v[44:45], -v[16:17], v[94:95], v[44:45]
	s_waitcnt lgkmcnt(4)
	v_fma_f64 v[46:47], -v[40:41], v[134:135], v[46:47]
	s_add_i32 s37, s38, s34
	v_fma_f64 v[44:45], -v[26:27], v[96:97], v[44:45]
	s_waitcnt lgkmcnt(3)
	v_fma_f64 v[46:47], -v[50:51], v[138:139], v[46:47]
	s_lshl_b32 s37, s37, 3
	s_lshl_b32 s36, s36, 5
	v_fma_f64 v[44:45], -v[24:25], v[100:101], v[44:45]
	s_waitcnt lgkmcnt(2)
	v_fma_f64 v[46:47], -v[48:49], v[142:143], v[46:47]
	v_mov_b32_e32 v62, s37
	s_add_i32 s37, s38, s36
	v_fma_f64 v[44:45], -v[30:31], v[104:105], v[44:45]
	s_waitcnt lgkmcnt(1)
	v_fma_f64 v[46:47], -v[58:59], v[146:147], v[46:47]
	s_lshl_b32 s37, s37, 3
	v_fma_f64 v[44:45], -v[28:29], v[108:109], v[44:45]
	s_waitcnt lgkmcnt(0)
	v_fma_f64 v[46:47], -v[56:57], v[150:151], v[46:47]
	ds_read2_b64 v[150:153], v62 offset1:1
	v_mov_b32_e32 v62, s37
	s_add_i32 s37, s6, 0xfffffce0
	v_fma_f64 v[44:45], -v[38:39], v[112:113], v[44:45]
	s_add_i32 s39, s38, s37
	v_fma_f64 v[44:45], -v[36:37], v[116:117], v[44:45]
	s_lshl_b32 s39, s39, 3
	v_fma_f64 v[44:45], -v[42:43], v[118:119], v[44:45]
	ds_read2_b64 v[154:157], v62 offset1:1
	v_mov_b32_e32 v62, s39
	v_fma_f64 v[44:45], -v[40:41], v[132:133], v[44:45]
	ds_read2_b64 v[158:161], v62 offset1:1
	s_add_i32 s39, s14, 0xffffe530
	v_fma_f64 v[44:45], -v[50:51], v[136:137], v[44:45]
	v_mov_b32_e32 v62, s39
	v_fma_f64 v[44:45], -v[48:49], v[140:141], v[44:45]
	ds_read_b64 v[62:63], v62
	v_fma_f64 v[44:45], -v[58:59], v[144:145], v[44:45]
	s_waitcnt lgkmcnt(3)
	v_fma_f64 v[46:47], -v[54:55], v[152:153], v[46:47]
	v_fma_f64 v[44:45], -v[56:57], v[148:149], v[44:45]
	s_waitcnt lgkmcnt(2)
	v_fma_f64 v[46:47], -v[52:53], v[156:157], v[46:47]
	v_fma_f64 v[44:45], -v[54:55], v[150:151], v[44:45]
	s_add_i32 s39, s41, s7
	s_waitcnt lgkmcnt(1)
	v_mul_f64 v[46:47], v[160:161], v[46:47]
	v_fma_f64 v[44:45], -v[52:53], v[154:155], v[44:45]
	s_lshl_b32 s39, s39, 3
	v_fma_f64 v[44:45], -v[46:47], v[158:159], v[44:45]
	v_mov_b32_e32 v60, s39
	s_waitcnt lgkmcnt(0)
	v_mul_f64 v[44:45], v[62:63], v[44:45]
	ds_read2_b64 v[60:63], v60 offset1:1
	s_add_i32 s39, s41, s9
	s_lshl_b32 s39, s39, 3
	v_mov_b32_e32 v64, s39
	ds_read2_b64 v[64:67], v64 offset1:1
	s_add_i32 s39, s41, s8
	s_waitcnt lgkmcnt(1)
	v_mul_f64 v[62:63], v[128:129], v[62:63]
	s_lshl_b32 s39, s39, 3
	s_waitcnt vmcnt(15)
	v_fma_f64 v[34:35], v[34:35], s[0:1], -v[62:63]
	v_mov_b32_e32 v62, s39
	s_add_i32 s39, s41, s13
	s_lshl_b32 s39, s39, 3
	v_mov_b32_e32 v63, s39
	s_add_i32 s39, s41, s12
	global_store_dwordx4 v[126:127], v[44:47], off offset:-208
	s_lshl_b32 s39, s39, 3
	ds_read2_b64 v[68:71], v62 offset1:1
	ds_read2_b64 v[72:75], v63 offset1:1
	v_mov_b32_e32 v62, s39
	s_add_i32 s39, s41, s15
	s_lshl_b32 s39, s39, 3
	v_mov_b32_e32 v63, s39
	ds_read2_b64 v[76:79], v62 offset1:1
	ds_read2_b64 v[80:83], v63 offset1:1
	s_waitcnt lgkmcnt(4)
	v_fma_f64 v[34:35], -v[130:131], v[66:67], v[34:35]
	s_add_i32 s39, s41, s17
	s_waitcnt lgkmcnt(3)
	v_fma_f64 v[34:35], -v[6:7], v[70:71], v[34:35]
	s_lshl_b32 s39, s39, 3
	s_waitcnt lgkmcnt(2)
	v_fma_f64 v[34:35], -v[4:5], v[74:75], v[34:35]
	v_mov_b32_e32 v62, s39
	s_add_i32 s39, s41, s19
	s_waitcnt lgkmcnt(1)
	v_fma_f64 v[34:35], -v[10:11], v[78:79], v[34:35]
	s_lshl_b32 s39, s39, 3
	s_waitcnt lgkmcnt(0)
	v_fma_f64 v[34:35], -v[8:9], v[82:83], v[34:35]
	ds_read2_b64 v[82:85], v62 offset1:1
	v_mov_b32_e32 v62, s39
	s_add_i32 s39, s41, s20
	s_lshl_b32 s39, s39, 3
	ds_read2_b64 v[86:89], v62 offset1:1
	v_mov_b32_e32 v62, s39
	s_add_i32 s39, s41, s21
	s_lshl_b32 s39, s39, 3
	v_mov_b32_e32 v63, s39
	s_add_i32 s39, s41, s22
	s_lshl_b32 s39, s39, 3
	ds_read2_b64 v[90:93], v62 offset1:1
	ds_read2_b64 v[94:97], v63 offset1:1
	v_mov_b32_e32 v62, s39
	s_add_i32 s39, s41, s23
	s_lshl_b32 s39, s39, 3
	s_waitcnt lgkmcnt(3)
	v_fma_f64 v[34:35], -v[14:15], v[84:85], v[34:35]
	v_mov_b32_e32 v63, s39
	ds_read2_b64 v[98:101], v62 offset1:1
	ds_read2_b64 v[102:105], v63 offset1:1
	s_waitcnt lgkmcnt(4)
	v_fma_f64 v[34:35], -v[12:13], v[88:89], v[34:35]
	s_add_i32 s39, s41, s24
	s_waitcnt lgkmcnt(3)
	v_fma_f64 v[34:35], -v[18:19], v[92:93], v[34:35]
	s_lshl_b32 s39, s39, 3
	s_waitcnt lgkmcnt(2)
	v_fma_f64 v[34:35], -v[16:17], v[96:97], v[34:35]
	v_mov_b32_e32 v62, s39
	s_add_i32 s39, s41, s25
	s_waitcnt lgkmcnt(1)
	v_fma_f64 v[34:35], -v[26:27], v[100:101], v[34:35]
	s_lshl_b32 s39, s39, 3
	s_waitcnt lgkmcnt(0)
	v_fma_f64 v[34:35], -v[24:25], v[104:105], v[34:35]
	ds_read2_b64 v[104:107], v62 offset1:1
	v_mov_b32_e32 v62, s39
	s_add_i32 s39, s41, s26
	s_lshl_b32 s39, s39, 3
	ds_read2_b64 v[108:111], v62 offset1:1
	v_mov_b32_e32 v62, s39
	s_add_i32 s39, s41, s28
	s_lshl_b32 s39, s39, 3
	v_mov_b32_e32 v63, s39
	s_add_i32 s39, s41, s27
	s_lshl_b32 s39, s39, 3
	ds_read2_b64 v[112:115], v62 offset1:1
	ds_read2_b64 v[116:119], v63 offset1:1
	v_mov_b32_e32 v62, s39
	s_add_i32 s39, s41, s29
	s_lshl_b32 s39, s39, 3
	v_mov_b32_e32 v63, s39
	s_add_i32 s39, s41, s30
	s_waitcnt lgkmcnt(3)
	v_fma_f64 v[34:35], -v[30:31], v[106:107], v[34:35]
	ds_read2_b64 v[132:135], v62 offset1:1
	ds_read2_b64 v[136:139], v63 offset1:1
	s_lshl_b32 s39, s39, 3
	s_waitcnt lgkmcnt(4)
	v_fma_f64 v[34:35], -v[28:29], v[110:111], v[34:35]
	v_mov_b32_e32 v62, s39
	s_add_i32 s39, s41, s31
	s_waitcnt lgkmcnt(3)
	v_fma_f64 v[34:35], -v[38:39], v[114:115], v[34:35]
	s_lshl_b32 s39, s39, 3
	s_waitcnt lgkmcnt(2)
	v_fma_f64 v[34:35], -v[36:37], v[118:119], v[34:35]
	ds_read2_b64 v[118:121], v62 offset1:1
	v_mov_b32_e32 v62, s39
	s_add_i32 s39, s41, s33
	s_waitcnt lgkmcnt(2)
	v_fma_f64 v[34:35], -v[42:43], v[134:135], v[34:35]
	s_lshl_b32 s39, s39, 3
	s_waitcnt lgkmcnt(1)
	v_fma_f64 v[34:35], -v[40:41], v[138:139], v[34:35]
	ds_read2_b64 v[138:141], v62 offset1:1
	v_mov_b32_e32 v62, s39
	s_add_i32 s39, s41, s35
	s_lshl_b32 s39, s39, 3
	v_mul_f64 v[60:61], v[128:129], v[60:61]
	v_mov_b32_e32 v63, s39
	s_add_i32 s39, s41, s34
	v_fma_f64 v[32:33], v[32:33], s[0:1], -v[60:61]
	s_lshl_b32 s39, s39, 3
	v_fma_f64 v[32:33], -v[130:131], v[64:65], v[32:33]
	ds_read2_b64 v[142:145], v62 offset1:1
	ds_read2_b64 v[146:149], v63 offset1:1
	v_mov_b32_e32 v62, s39
	s_add_i32 s39, s41, s36
	v_fma_f64 v[32:33], -v[6:7], v[68:69], v[32:33]
	s_lshl_b32 s39, s39, 3
	v_fma_f64 v[32:33], -v[4:5], v[72:73], v[32:33]
	s_waitcnt lgkmcnt(3)
	v_fma_f64 v[34:35], -v[50:51], v[120:121], v[34:35]
	v_mov_b32_e32 v63, s39
	ds_read2_b64 v[150:153], v62 offset1:1
	ds_read2_b64 v[154:157], v63 offset1:1
	v_fma_f64 v[32:33], -v[10:11], v[76:77], v[32:33]
	s_waitcnt lgkmcnt(4)
	v_fma_f64 v[34:35], -v[48:49], v[140:141], v[34:35]
	s_add_i32 s39, s41, s37
	v_fma_f64 v[32:33], -v[8:9], v[80:81], v[32:33]
	s_waitcnt lgkmcnt(3)
	v_fma_f64 v[34:35], -v[58:59], v[144:145], v[34:35]
	s_lshl_b32 s39, s39, 3
	s_lshl_b32 s38, s38, 5
	v_fma_f64 v[32:33], -v[14:15], v[82:83], v[32:33]
	s_waitcnt lgkmcnt(2)
	v_fma_f64 v[34:35], -v[56:57], v[148:149], v[34:35]
	v_mov_b32_e32 v62, s39
	s_add_i32 s39, s41, s38
	v_fma_f64 v[32:33], -v[12:13], v[86:87], v[32:33]
	s_waitcnt lgkmcnt(1)
	v_fma_f64 v[34:35], -v[54:55], v[152:153], v[34:35]
	s_lshl_b32 s39, s39, 3
	v_fma_f64 v[32:33], -v[18:19], v[90:91], v[32:33]
	s_waitcnt lgkmcnt(0)
	v_fma_f64 v[34:35], -v[52:53], v[156:157], v[34:35]
	ds_read2_b64 v[156:159], v62 offset1:1
	v_mov_b32_e32 v62, s39
	s_add_i32 s39, s6, 0xfffffca0
	v_fma_f64 v[32:33], -v[16:17], v[94:95], v[32:33]
	s_add_i32 s40, s41, s39
	v_fma_f64 v[32:33], -v[26:27], v[98:99], v[32:33]
	s_lshl_b32 s40, s40, 3
	v_fma_f64 v[32:33], -v[24:25], v[102:103], v[32:33]
	ds_read2_b64 v[160:163], v62 offset1:1
	v_mov_b32_e32 v62, s40
	s_add_i32 s40, s14, 0xffffe320
	v_fma_f64 v[32:33], -v[30:31], v[104:105], v[32:33]
	ds_read2_b64 v[164:167], v62 offset1:1
	v_mov_b32_e32 v62, s40
	v_fma_f64 v[32:33], -v[28:29], v[108:109], v[32:33]
	s_sub_i32 s40, s16, 30
	v_fma_f64 v[32:33], -v[38:39], v[112:113], v[32:33]
	s_add_i32 s42, s40, s7
	v_fma_f64 v[32:33], -v[36:37], v[116:117], v[32:33]
	s_lshl_b32 s42, s42, 3
	v_fma_f64 v[32:33], -v[42:43], v[132:133], v[32:33]
	v_mov_b32_e32 v60, s42
	ds_read_b64 v[70:71], v62
	v_fma_f64 v[32:33], -v[40:41], v[136:137], v[32:33]
	s_add_i32 s42, s40, s9
	ds_read2_b64 v[60:63], v60 offset1:1
	v_fma_f64 v[32:33], -v[50:51], v[118:119], v[32:33]
	s_lshl_b32 s42, s42, 3
	v_fma_f64 v[32:33], -v[48:49], v[138:139], v[32:33]
	v_mov_b32_e32 v64, s42
	ds_read2_b64 v[64:67], v64 offset1:1
	v_fma_f64 v[32:33], -v[58:59], v[142:143], v[32:33]
	v_fma_f64 v[32:33], -v[56:57], v[146:147], v[32:33]
	s_add_i32 s42, s40, s8
	v_fma_f64 v[32:33], -v[54:55], v[150:151], v[32:33]
	s_waitcnt lgkmcnt(1)
	v_mul_f64 v[62:63], v[128:129], v[62:63]
	s_lshl_b32 s42, s42, 3
	v_fma_f64 v[34:35], -v[46:47], v[158:159], v[34:35]
	v_fma_f64 v[32:33], -v[52:53], v[154:155], v[32:33]
	s_waitcnt vmcnt(15)
	v_fma_f64 v[22:23], v[22:23], s[0:1], -v[62:63]
	v_mov_b32_e32 v62, s42
	s_add_i32 s42, s40, s13
	v_fma_f64 v[34:35], -v[44:45], v[162:163], v[34:35]
	v_fma_f64 v[32:33], -v[46:47], v[156:157], v[32:33]
	s_lshl_b32 s42, s42, 3
	v_mul_f64 v[34:35], v[166:167], v[34:35]
	v_fma_f64 v[32:33], -v[44:45], v[160:161], v[32:33]
	s_waitcnt lgkmcnt(0)
	v_fma_f64 v[22:23], -v[130:131], v[66:67], v[22:23]
	ds_read2_b64 v[66:69], v62 offset1:1
	v_mov_b32_e32 v62, s42
	s_add_i32 s42, s40, s12
	v_fma_f64 v[32:33], -v[34:35], v[164:165], v[32:33]
	s_lshl_b32 s42, s42, 3
	v_mul_f64 v[32:33], v[70:71], v[32:33]
	ds_read2_b64 v[70:73], v62 offset1:1
	v_mov_b32_e32 v62, s42
	s_add_i32 s42, s40, s15
	s_lshl_b32 s42, s42, 3
	v_mov_b32_e32 v63, s42
	s_add_i32 s42, s40, s17
	global_store_dwordx4 v[126:127], v[32:35], off offset:-224
	s_lshl_b32 s42, s42, 3
	ds_read2_b64 v[74:77], v62 offset1:1
	ds_read2_b64 v[78:81], v63 offset1:1
	v_mov_b32_e32 v62, s42
	s_add_i32 s42, s40, s19
	s_lshl_b32 s42, s42, 3
	s_waitcnt lgkmcnt(3)
	v_fma_f64 v[22:23], -v[6:7], v[68:69], v[22:23]
	v_mov_b32_e32 v63, s42
	ds_read2_b64 v[82:85], v62 offset1:1
	ds_read2_b64 v[86:89], v63 offset1:1
	s_waitcnt lgkmcnt(4)
	v_fma_f64 v[22:23], -v[4:5], v[72:73], v[22:23]
	s_add_i32 s42, s40, s20
	s_waitcnt lgkmcnt(3)
	v_fma_f64 v[22:23], -v[10:11], v[76:77], v[22:23]
	s_lshl_b32 s42, s42, 3
	s_waitcnt lgkmcnt(2)
	v_fma_f64 v[22:23], -v[8:9], v[80:81], v[22:23]
	v_mov_b32_e32 v62, s42
	s_add_i32 s42, s40, s21
	s_waitcnt lgkmcnt(1)
	v_fma_f64 v[22:23], -v[14:15], v[84:85], v[22:23]
	s_lshl_b32 s42, s42, 3
	s_waitcnt lgkmcnt(0)
	v_fma_f64 v[22:23], -v[12:13], v[88:89], v[22:23]
	ds_read2_b64 v[88:91], v62 offset1:1
	v_mov_b32_e32 v62, s42
	s_add_i32 s42, s40, s22
	s_lshl_b32 s42, s42, 3
	ds_read2_b64 v[92:95], v62 offset1:1
	v_mov_b32_e32 v62, s42
	s_add_i32 s42, s40, s23
	s_lshl_b32 s42, s42, 3
	v_mov_b32_e32 v63, s42
	s_add_i32 s42, s40, s24
	s_lshl_b32 s42, s42, 3
	ds_read2_b64 v[96:99], v62 offset1:1
	ds_read2_b64 v[100:103], v63 offset1:1
	v_mov_b32_e32 v62, s42
	s_add_i32 s42, s40, s25
	s_lshl_b32 s42, s42, 3
	s_waitcnt lgkmcnt(3)
	v_fma_f64 v[22:23], -v[18:19], v[90:91], v[22:23]
	v_mov_b32_e32 v63, s42
	ds_read2_b64 v[104:107], v62 offset1:1
	ds_read2_b64 v[108:111], v63 offset1:1
	s_waitcnt lgkmcnt(4)
	v_fma_f64 v[22:23], -v[16:17], v[94:95], v[22:23]
	s_add_i32 s42, s40, s26
	s_waitcnt lgkmcnt(3)
	v_fma_f64 v[22:23], -v[26:27], v[98:99], v[22:23]
	s_lshl_b32 s42, s42, 3
	s_waitcnt lgkmcnt(2)
	v_fma_f64 v[22:23], -v[24:25], v[102:103], v[22:23]
	v_mov_b32_e32 v62, s42
	s_add_i32 s42, s40, s28
	s_waitcnt lgkmcnt(1)
	v_fma_f64 v[22:23], -v[30:31], v[106:107], v[22:23]
	s_lshl_b32 s42, s42, 3
	s_waitcnt lgkmcnt(0)
	v_fma_f64 v[22:23], -v[28:29], v[110:111], v[22:23]
	ds_read2_b64 v[110:113], v62 offset1:1
	v_mov_b32_e32 v62, s42
	s_add_i32 s42, s40, s27
	s_lshl_b32 s42, s42, 3
	ds_read2_b64 v[114:117], v62 offset1:1
	v_mov_b32_e32 v62, s42
	s_add_i32 s42, s40, s29
	s_lshl_b32 s42, s42, 3
	v_mov_b32_e32 v63, s42
	s_add_i32 s42, s40, s30
	s_lshl_b32 s42, s42, 3
	ds_read2_b64 v[118:121], v62 offset1:1
	ds_read2_b64 v[132:135], v63 offset1:1
	v_mov_b32_e32 v62, s42
	s_add_i32 s42, s40, s31
	s_lshl_b32 s42, s42, 3
	v_mul_f64 v[60:61], v[128:129], v[60:61]
	s_waitcnt lgkmcnt(3)
	v_fma_f64 v[22:23], -v[38:39], v[112:113], v[22:23]
	v_mov_b32_e32 v63, s42
	ds_read2_b64 v[136:139], v62 offset1:1
	ds_read2_b64 v[140:143], v63 offset1:1
	v_fma_f64 v[20:21], v[20:21], s[0:1], -v[60:61]
	s_waitcnt lgkmcnt(4)
	v_fma_f64 v[22:23], -v[36:37], v[116:117], v[22:23]
	s_add_i32 s42, s40, s33
	v_fma_f64 v[20:21], -v[130:131], v[64:65], v[20:21]
	s_waitcnt lgkmcnt(3)
	v_fma_f64 v[22:23], -v[42:43], v[120:121], v[22:23]
	s_lshl_b32 s42, s42, 3
	v_fma_f64 v[20:21], -v[6:7], v[66:67], v[20:21]
	s_waitcnt lgkmcnt(2)
	v_fma_f64 v[22:23], -v[40:41], v[134:135], v[22:23]
	v_mov_b32_e32 v62, s42
	s_add_i32 s42, s40, s35
	v_fma_f64 v[20:21], -v[4:5], v[70:71], v[20:21]
	s_waitcnt lgkmcnt(1)
	v_fma_f64 v[22:23], -v[50:51], v[138:139], v[22:23]
	s_lshl_b32 s42, s42, 3
	v_fma_f64 v[20:21], -v[10:11], v[74:75], v[20:21]
	s_waitcnt lgkmcnt(0)
	v_fma_f64 v[22:23], -v[48:49], v[142:143], v[22:23]
	ds_read2_b64 v[142:145], v62 offset1:1
	v_mov_b32_e32 v62, s42
	s_add_i32 s42, s40, s34
	v_fma_f64 v[20:21], -v[8:9], v[78:79], v[20:21]
	s_lshl_b32 s42, s42, 3
	v_fma_f64 v[20:21], -v[14:15], v[82:83], v[20:21]
	ds_read2_b64 v[146:149], v62 offset1:1
	v_mov_b32_e32 v62, s42
	s_add_i32 s42, s40, s36
	v_fma_f64 v[20:21], -v[12:13], v[86:87], v[20:21]
	s_lshl_b32 s42, s42, 3
	v_fma_f64 v[20:21], -v[18:19], v[88:89], v[20:21]
	v_mov_b32_e32 v63, s42
	s_add_i32 s42, s40, s37
	v_fma_f64 v[20:21], -v[16:17], v[92:93], v[20:21]
	s_lshl_b32 s42, s42, 3
	v_fma_f64 v[20:21], -v[26:27], v[96:97], v[20:21]
	ds_read2_b64 v[150:153], v62 offset1:1
	ds_read2_b64 v[154:157], v63 offset1:1
	v_mov_b32_e32 v62, s42
	s_add_i32 s42, s40, s38
	v_fma_f64 v[20:21], -v[24:25], v[100:101], v[20:21]
	s_lshl_b32 s42, s42, 3
	v_fma_f64 v[20:21], -v[30:31], v[104:105], v[20:21]
	s_waitcnt lgkmcnt(3)
	v_fma_f64 v[22:23], -v[58:59], v[144:145], v[22:23]
	v_mov_b32_e32 v63, s42
	ds_read2_b64 v[158:161], v62 offset1:1
	ds_read2_b64 v[162:165], v63 offset1:1
	s_add_i32 s42, s40, s39
	v_fma_f64 v[20:21], -v[28:29], v[108:109], v[20:21]
	s_waitcnt lgkmcnt(4)
	v_fma_f64 v[22:23], -v[56:57], v[148:149], v[22:23]
	s_lshl_b32 s42, s42, 3
	v_fma_f64 v[20:21], -v[38:39], v[110:111], v[20:21]
	s_waitcnt lgkmcnt(3)
	v_fma_f64 v[22:23], -v[54:55], v[152:153], v[22:23]
	v_mov_b32_e32 v62, s42
	s_lshl_b32 s42, s41, 5
	v_fma_f64 v[20:21], -v[36:37], v[114:115], v[20:21]
	s_waitcnt lgkmcnt(2)
	v_fma_f64 v[22:23], -v[52:53], v[156:157], v[22:23]
	s_add_i32 s41, s40, s42
	v_fma_f64 v[20:21], -v[42:43], v[118:119], v[20:21]
	s_waitcnt lgkmcnt(1)
	v_fma_f64 v[22:23], -v[46:47], v[160:161], v[22:23]
	s_lshl_b32 s41, s41, 3
	v_fma_f64 v[20:21], -v[40:41], v[132:133], v[20:21]
	s_waitcnt lgkmcnt(0)
	v_fma_f64 v[22:23], -v[44:45], v[164:165], v[22:23]
	ds_read2_b64 v[164:167], v62 offset1:1
	v_mov_b32_e32 v62, s41
	s_add_i32 s41, s6, 0xfffffc60
	v_fma_f64 v[20:21], -v[50:51], v[136:137], v[20:21]
	s_add_i32 s43, s40, s41
	v_fma_f64 v[20:21], -v[48:49], v[140:141], v[20:21]
	s_lshl_b32 s43, s43, 3
	v_fma_f64 v[20:21], -v[58:59], v[142:143], v[20:21]
	ds_read2_b64 v[168:171], v62 offset1:1
	v_mov_b32_e32 v62, s43
	v_fma_f64 v[20:21], -v[56:57], v[146:147], v[20:21]
	ds_read2_b64 v[172:175], v62 offset1:1
	s_add_i32 s43, s14, 0xffffe110
	v_fma_f64 v[20:21], -v[54:55], v[150:151], v[20:21]
	v_mov_b32_e32 v62, s43
	v_fma_f64 v[20:21], -v[52:53], v[154:155], v[20:21]
	ds_read_b64 v[62:63], v62
	v_fma_f64 v[20:21], -v[46:47], v[158:159], v[20:21]
	s_sub_i32 s43, s16, 32
	s_waitcnt lgkmcnt(3)
	v_fma_f64 v[22:23], -v[34:35], v[166:167], v[22:23]
	v_fma_f64 v[20:21], -v[44:45], v[162:163], v[20:21]
	s_add_i32 s7, s43, s7
	s_waitcnt lgkmcnt(2)
	v_fma_f64 v[22:23], -v[32:33], v[170:171], v[22:23]
	v_fma_f64 v[20:21], -v[34:35], v[164:165], v[20:21]
	s_lshl_b32 s7, s7, 3
	s_waitcnt lgkmcnt(1)
	v_mul_f64 v[22:23], v[174:175], v[22:23]
	v_fma_f64 v[20:21], -v[32:33], v[168:169], v[20:21]
	v_mov_b32_e32 v60, s7
	s_add_i32 s7, s43, s9
	v_fma_f64 v[20:21], -v[22:23], v[172:173], v[20:21]
	s_lshl_b32 s7, s7, 3
	s_waitcnt lgkmcnt(0)
	v_mul_f64 v[20:21], v[62:63], v[20:21]
	v_mov_b32_e32 v61, s7
	s_add_i32 s7, s43, s8
	global_store_dwordx4 v[126:127], v[20:23], off offset:-240
	s_lshl_b32 s7, s7, 3
	ds_read2_b64 v[64:67], v60 offset1:1
	ds_read2_b64 v[60:63], v61 offset1:1
	v_mov_b32_e32 v68, s7
	s_add_i32 s7, s43, s13
	s_lshl_b32 s7, s7, 3
	v_mov_b32_e32 v72, s7
	ds_read2_b64 v[68:71], v68 offset1:1
	ds_read2_b64 v[72:75], v72 offset1:1
	s_waitcnt lgkmcnt(3)
	v_mul_f64 v[66:67], v[128:129], v[66:67]
	s_add_i32 s7, s43, s12
	s_waitcnt vmcnt(16)
	v_fma_f64 v[2:3], v[2:3], s[0:1], -v[66:67]
	s_lshl_b32 s7, s7, 3
	s_waitcnt lgkmcnt(2)
	v_fma_f64 v[2:3], -v[130:131], v[62:63], v[2:3]
	v_mov_b32_e32 v62, s7
	s_add_i32 s7, s43, s15
	s_waitcnt lgkmcnt(1)
	v_fma_f64 v[2:3], -v[6:7], v[70:71], v[2:3]
	s_lshl_b32 s7, s7, 3
	s_waitcnt lgkmcnt(0)
	v_fma_f64 v[2:3], -v[4:5], v[74:75], v[2:3]
	ds_read2_b64 v[74:77], v62 offset1:1
	v_mov_b32_e32 v62, s7
	s_add_i32 s7, s43, s17
	s_lshl_b32 s7, s7, 3
	ds_read2_b64 v[78:81], v62 offset1:1
	v_mov_b32_e32 v62, s7
	s_add_i32 s7, s43, s19
	s_lshl_b32 s7, s7, 3
	v_mov_b32_e32 v63, s7
	s_add_i32 s7, s43, s20
	s_lshl_b32 s7, s7, 3
	ds_read2_b64 v[82:85], v62 offset1:1
	ds_read2_b64 v[86:89], v63 offset1:1
	v_mov_b32_e32 v62, s7
	s_add_i32 s7, s43, s21
	s_lshl_b32 s7, s7, 3
	s_waitcnt lgkmcnt(3)
	v_fma_f64 v[2:3], -v[10:11], v[76:77], v[2:3]
	v_mov_b32_e32 v63, s7
	ds_read2_b64 v[90:93], v62 offset1:1
	ds_read2_b64 v[94:97], v63 offset1:1
	s_waitcnt lgkmcnt(4)
	v_fma_f64 v[2:3], -v[8:9], v[80:81], v[2:3]
	s_add_i32 s7, s43, s22
	s_waitcnt lgkmcnt(3)
	v_fma_f64 v[2:3], -v[14:15], v[84:85], v[2:3]
	s_lshl_b32 s7, s7, 3
	s_waitcnt lgkmcnt(2)
	v_fma_f64 v[2:3], -v[12:13], v[88:89], v[2:3]
	v_mov_b32_e32 v62, s7
	s_add_i32 s7, s43, s23
	s_waitcnt lgkmcnt(1)
	v_fma_f64 v[2:3], -v[18:19], v[92:93], v[2:3]
	s_lshl_b32 s7, s7, 3
	s_waitcnt lgkmcnt(0)
	v_fma_f64 v[2:3], -v[16:17], v[96:97], v[2:3]
	ds_read2_b64 v[96:99], v62 offset1:1
	v_mov_b32_e32 v62, s7
	s_add_i32 s7, s43, s24
	s_lshl_b32 s7, s7, 3
	ds_read2_b64 v[100:103], v62 offset1:1
	v_mov_b32_e32 v62, s7
	s_add_i32 s7, s43, s25
	s_lshl_b32 s7, s7, 3
	v_mov_b32_e32 v63, s7
	s_add_i32 s7, s43, s26
	s_lshl_b32 s7, s7, 3
	ds_read2_b64 v[104:107], v62 offset1:1
	ds_read2_b64 v[108:111], v63 offset1:1
	v_mov_b32_e32 v62, s7
	s_add_i32 s7, s43, s28
	s_lshl_b32 s7, s7, 3
	s_waitcnt lgkmcnt(3)
	v_fma_f64 v[2:3], -v[26:27], v[98:99], v[2:3]
	v_mov_b32_e32 v63, s7
	ds_read2_b64 v[112:115], v62 offset1:1
	ds_read2_b64 v[116:119], v63 offset1:1
	s_waitcnt lgkmcnt(4)
	v_fma_f64 v[2:3], -v[24:25], v[102:103], v[2:3]
	s_add_i32 s7, s43, s27
	s_waitcnt lgkmcnt(3)
	v_fma_f64 v[2:3], -v[30:31], v[106:107], v[2:3]
	s_lshl_b32 s7, s7, 3
	s_waitcnt lgkmcnt(2)
	v_fma_f64 v[2:3], -v[28:29], v[110:111], v[2:3]
	v_mov_b32_e32 v62, s7
	s_add_i32 s7, s43, s29
	s_waitcnt lgkmcnt(1)
	v_fma_f64 v[2:3], -v[38:39], v[114:115], v[2:3]
	s_lshl_b32 s7, s7, 3
	s_waitcnt lgkmcnt(0)
	v_fma_f64 v[2:3], -v[36:37], v[118:119], v[2:3]
	ds_read2_b64 v[118:121], v62 offset1:1
	v_mov_b32_e32 v62, s7
	s_add_i32 s7, s43, s30
	s_lshl_b32 s7, s7, 3
	ds_read2_b64 v[132:135], v62 offset1:1
	v_mov_b32_e32 v62, s7
	s_add_i32 s7, s43, s31
	s_lshl_b32 s7, s7, 3
	v_mul_f64 v[64:65], v[128:129], v[64:65]
	v_mov_b32_e32 v63, s7
	s_add_i32 s7, s43, s33
	v_fma_f64 v[0:1], v[0:1], s[0:1], -v[64:65]
	s_lshl_b32 s7, s7, 3
	v_fma_f64 v[0:1], -v[130:131], v[60:61], v[0:1]
	ds_read2_b64 v[136:139], v62 offset1:1
	ds_read2_b64 v[140:143], v63 offset1:1
	v_mov_b32_e32 v62, s7
	s_add_i32 s7, s43, s35
	v_fma_f64 v[0:1], -v[6:7], v[68:69], v[0:1]
	s_lshl_b32 s7, s7, 3
	v_fma_f64 v[0:1], -v[4:5], v[72:73], v[0:1]
	s_waitcnt lgkmcnt(3)
	v_fma_f64 v[2:3], -v[42:43], v[120:121], v[2:3]
	v_mov_b32_e32 v63, s7
	ds_read2_b64 v[144:147], v62 offset1:1
	ds_read2_b64 v[148:151], v63 offset1:1
	v_fma_f64 v[0:1], -v[10:11], v[74:75], v[0:1]
	s_waitcnt lgkmcnt(4)
	v_fma_f64 v[2:3], -v[40:41], v[134:135], v[2:3]
	s_add_i32 s7, s43, s34
	v_fma_f64 v[0:1], -v[8:9], v[78:79], v[0:1]
	s_waitcnt lgkmcnt(3)
	v_fma_f64 v[2:3], -v[50:51], v[138:139], v[2:3]
	s_lshl_b32 s7, s7, 3
	v_fma_f64 v[0:1], -v[14:15], v[82:83], v[0:1]
	s_waitcnt lgkmcnt(2)
	v_fma_f64 v[2:3], -v[48:49], v[142:143], v[2:3]
	v_mov_b32_e32 v62, s7
	s_add_i32 s7, s43, s36
	v_fma_f64 v[0:1], -v[12:13], v[86:87], v[0:1]
	s_waitcnt lgkmcnt(1)
	v_fma_f64 v[2:3], -v[58:59], v[146:147], v[2:3]
	s_lshl_b32 s7, s7, 3
	v_fma_f64 v[0:1], -v[18:19], v[90:91], v[0:1]
	s_waitcnt lgkmcnt(0)
	v_fma_f64 v[2:3], -v[56:57], v[150:151], v[2:3]
	ds_read2_b64 v[150:153], v62 offset1:1
	v_mov_b32_e32 v62, s7
	s_add_i32 s7, s43, s37
	v_fma_f64 v[0:1], -v[16:17], v[94:95], v[0:1]
	s_lshl_b32 s7, s7, 3
	v_fma_f64 v[0:1], -v[26:27], v[96:97], v[0:1]
	ds_read2_b64 v[154:157], v62 offset1:1
	v_mov_b32_e32 v62, s7
	s_add_i32 s7, s43, s38
	v_fma_f64 v[0:1], -v[24:25], v[100:101], v[0:1]
	s_lshl_b32 s7, s7, 3
	v_fma_f64 v[0:1], -v[30:31], v[104:105], v[0:1]
	v_mov_b32_e32 v63, s7
	s_add_i32 s7, s43, s39
	v_fma_f64 v[0:1], -v[28:29], v[108:109], v[0:1]
	s_lshl_b32 s7, s7, 3
	v_fma_f64 v[0:1], -v[38:39], v[112:113], v[0:1]
	ds_read2_b64 v[158:161], v62 offset1:1
	ds_read2_b64 v[162:165], v63 offset1:1
	v_mov_b32_e32 v62, s7
	s_add_i32 s7, s43, s42
	v_fma_f64 v[0:1], -v[36:37], v[116:117], v[0:1]
	s_lshl_b32 s7, s7, 3
	v_fma_f64 v[0:1], -v[42:43], v[118:119], v[0:1]
	s_waitcnt lgkmcnt(3)
	v_fma_f64 v[2:3], -v[54:55], v[152:153], v[2:3]
	v_mov_b32_e32 v63, s7
	ds_read2_b64 v[166:169], v62 offset1:1
	ds_read2_b64 v[170:173], v63 offset1:1
	s_add_i32 s7, s43, s41
	v_fma_f64 v[0:1], -v[40:41], v[132:133], v[0:1]
	s_waitcnt lgkmcnt(4)
	v_fma_f64 v[2:3], -v[52:53], v[156:157], v[2:3]
	s_lshl_b32 s7, s7, 3
	v_fma_f64 v[0:1], -v[50:51], v[136:137], v[0:1]
	s_waitcnt lgkmcnt(3)
	v_fma_f64 v[2:3], -v[46:47], v[160:161], v[2:3]
	v_mov_b32_e32 v62, s7
	s_lshl_b32 s7, s40, 5
	v_fma_f64 v[0:1], -v[48:49], v[140:141], v[0:1]
	s_waitcnt lgkmcnt(2)
	v_fma_f64 v[2:3], -v[44:45], v[164:165], v[2:3]
	s_add_i32 s7, s43, s7
	s_add_i32 s6, s6, s43
	v_fma_f64 v[0:1], -v[58:59], v[144:145], v[0:1]
	s_waitcnt lgkmcnt(1)
	v_fma_f64 v[2:3], -v[34:35], v[168:169], v[2:3]
	s_lshl_b32 s7, s7, 3
	s_lshl_b32 s6, s6, 3
	v_fma_f64 v[0:1], -v[56:57], v[148:149], v[0:1]
	s_waitcnt lgkmcnt(0)
	v_fma_f64 v[2:3], -v[32:33], v[172:173], v[2:3]
	ds_read2_b64 v[172:175], v62 offset1:1
	v_mov_b32_e32 v62, s7
	s_addk_i32 s6, 0xe100
	v_fma_f64 v[0:1], -v[54:55], v[150:151], v[0:1]
	ds_read2_b64 v[176:179], v62 offset1:1
	v_mov_b32_e32 v62, s6
	v_fma_f64 v[0:1], -v[52:53], v[154:155], v[0:1]
	ds_read2_b64 v[180:183], v62 offset1:1
	s_add_i32 s6, s14, 0xffffdf00
	v_fma_f64 v[0:1], -v[46:47], v[158:159], v[0:1]
	v_mov_b32_e32 v62, s6
	v_fma_f64 v[0:1], -v[44:45], v[162:163], v[0:1]
	ds_read_b64 v[62:63], v62
	v_fma_f64 v[0:1], -v[34:35], v[166:167], v[0:1]
	s_waitcnt lgkmcnt(3)
	v_fma_f64 v[2:3], -v[22:23], v[174:175], v[2:3]
	v_fma_f64 v[0:1], -v[32:33], v[170:171], v[0:1]
	s_waitcnt lgkmcnt(2)
	v_fma_f64 v[2:3], -v[20:21], v[178:179], v[2:3]
	v_fma_f64 v[0:1], -v[22:23], v[172:173], v[0:1]
	s_waitcnt lgkmcnt(1)
	v_mul_f64 v[2:3], v[182:183], v[2:3]
	v_fma_f64 v[0:1], -v[20:21], v[176:177], v[0:1]
	v_fma_f64 v[0:1], -v[2:3], v[180:181], v[0:1]
	s_waitcnt lgkmcnt(0)
	v_mul_f64 v[0:1], v[62:63], v[0:1]
	s_sub_i32 s6, s16, 33
	global_store_dwordx4 v[126:127], v[0:3], off offset:-256
.LBB103_38:
	s_cmp_gt_i32 s6, -1
	s_cbranch_scc0 .LBB103_61
; %bb.39:
	s_cmp_lt_u32 s6, 27
	s_cbranch_scc1 .LBB103_44
; %bb.40:
	s_mov_b32 s7, 0
	s_lshl_b64 s[8:9], s[6:7], 3
	v_mov_b32_e32 v1, s9
	v_add_co_u32_e32 v0, vcc, s8, v122
	v_addc_co_u32_e32 v1, vcc, v123, v1, vcc
	global_load_dwordx4 v[2:5], v[0:1], off offset:-8
	global_load_dwordx4 v[6:9], v[0:1], off offset:-24
	;; [unrolled: 1-line block ×14, first 2 shown]
	s_cmp_le_i32 s18, s6
	s_waitcnt vmcnt(13)
	v_mul_f64 v[36:37], v[4:5], s[0:1]
	v_mul_f64 v[34:35], v[2:3], s[0:1]
	s_waitcnt vmcnt(12)
	v_mul_f64 v[2:3], v[8:9], s[0:1]
	v_mul_f64 v[32:33], v[6:7], s[0:1]
	;; [unrolled: 3-line block ×14, first 2 shown]
	s_cbranch_scc1 .LBB103_43
; %bb.41:
	s_lshl_b32 s7, s16, 8
	s_lshl_b32 s8, s6, 3
	s_add_i32 s7, s7, s8
	s_ashr_i32 s19, s18, 31
	s_addk_i32 s7, 0xfe28
	s_lshl_b64 s[8:9], s[18:19], 3
	s_add_u32 s8, s10, s8
	s_addc_u32 s9, s11, s9
	s_add_u32 s8, s8, s4
	s_addc_u32 s9, s9, s5
	;; [unrolled: 2-line block ×3, first 2 shown]
	v_mov_b32_e32 v39, s9
	v_add_co_u32_e32 v38, vcc, s8, v124
	v_addc_co_u32_e32 v39, vcc, v39, v125, vcc
	s_mov_b32 s8, s18
.LBB103_42:                             ; =>This Inner Loop Header: Depth=1
	global_load_dwordx2 v[58:59], v[38:39], off
	v_mov_b32_e32 v68, s7
	ds_read2_b64 v[40:43], v68 offset0:26 offset1:27
	ds_read2_b64 v[44:47], v68 offset0:24 offset1:25
	;; [unrolled: 1-line block ×13, first 2 shown]
	ds_read2_b64 v[116:119], v68 offset1:1
	s_add_i32 s8, s8, -1
	s_addk_i32 s7, 0xff00
	v_add_co_u32_e32 v38, vcc, -8, v38
	v_addc_co_u32_e32 v39, vcc, -1, v39, vcc
	s_cmp_gt_i32 s8, s6
	s_waitcnt vmcnt(0) lgkmcnt(13)
	v_fma_f64 v[36:37], -v[58:59], v[42:43], v[36:37]
	v_fma_f64 v[34:35], -v[58:59], v[40:41], v[34:35]
	s_waitcnt lgkmcnt(12)
	v_fma_f64 v[2:3], -v[58:59], v[46:47], v[2:3]
	v_fma_f64 v[32:33], -v[58:59], v[44:45], v[32:33]
	s_waitcnt lgkmcnt(11)
	;; [unrolled: 3-line block ×13, first 2 shown]
	v_fma_f64 v[82:83], -v[58:59], v[118:119], v[82:83]
	v_fma_f64 v[94:95], -v[58:59], v[116:117], v[94:95]
	s_cbranch_scc1 .LBB103_42
.LBB103_43:
	s_add_i32 s14, s6, -1
	s_lshl_b32 s9, s6, 5
	s_add_i32 s7, s14, s9
	s_lshl_b32 s7, s7, 3
	v_mov_b32_e32 v38, s7
	s_mul_i32 s8, s6, 0x108
	ds_read2_b64 v[38:41], v38 offset1:1
	s_add_i32 s7, s8, 0xfffffef8
	v_mov_b32_e32 v42, s7
	ds_read_b64 v[42:43], v42
	s_ashr_i32 s7, s6, 31
	s_waitcnt lgkmcnt(1)
	v_mul_f64 v[98:99], v[40:41], v[36:37]
	global_store_dwordx2 v[0:1], v[98:99], off
	v_fma_f64 v[0:1], -v[98:99], v[38:39], v[34:35]
	s_lshl_b64 s[12:13], s[6:7], 3
	s_waitcnt lgkmcnt(0)
	v_mul_f64 v[100:101], v[42:43], v[0:1]
	v_mov_b32_e32 v0, s13
	s_add_i32 s13, s6, -3
	s_add_i32 s7, s13, s9
	v_add_co_u32_e32 v96, vcc, s12, v122
	s_lshl_b32 s7, s7, 3
	v_addc_co_u32_e32 v97, vcc, v123, v0, vcc
	v_mov_b32_e32 v0, s7
	s_lshl_b32 s7, s14, 5
	s_add_i32 s12, s13, s7
	s_lshl_b32 s12, s12, 3
	ds_read2_b64 v[34:37], v0 offset1:1
	v_mov_b32_e32 v0, s12
	ds_read2_b64 v[38:41], v0 offset1:1
	s_sub_i32 s12, s9, 64
	s_add_i32 s14, s13, s12
	s_lshl_b32 s14, s14, 3
	v_mov_b32_e32 v0, s14
	s_waitcnt lgkmcnt(1)
	v_fma_f64 v[36:37], -v[98:99], v[36:37], v[2:3]
	ds_read2_b64 v[0:3], v0 offset1:1
	s_add_i32 s14, s8, 0xfffffce8
	s_add_i32 s15, s6, -5
	s_waitcnt lgkmcnt(1)
	v_fma_f64 v[36:37], -v[100:101], v[40:41], v[36:37]
	v_mov_b32_e32 v40, s14
	ds_read_b64 v[40:41], v40
	s_add_i32 s14, s15, s9
	v_fma_f64 v[32:33], -v[98:99], v[34:35], v[32:33]
	s_lshl_b32 s14, s14, 3
	v_fma_f64 v[42:43], -v[100:101], v[38:39], v[32:33]
	v_mov_b32_e32 v32, s14
	s_add_i32 s14, s15, s7
	s_lshl_b32 s14, s14, 3
	global_store_dwordx2 v[96:97], v[100:101], off offset:-8
	s_waitcnt lgkmcnt(1)
	v_mul_f64 v[2:3], v[2:3], v[36:37]
	v_mov_b32_e32 v36, s14
	ds_read2_b64 v[32:35], v32 offset1:1
	ds_read2_b64 v[36:39], v36 offset1:1
	s_add_i32 s14, s15, s12
	s_lshl_b32 s14, s14, 3
	s_lshl_b32 s13, s13, 5
	s_waitcnt lgkmcnt(1)
	v_fma_f64 v[6:7], -v[98:99], v[34:35], v[6:7]
	v_mov_b32_e32 v34, s14
	s_add_i32 s14, s15, s13
	v_fma_f64 v[0:1], -v[2:3], v[0:1], v[42:43]
	s_lshl_b32 s14, s14, 3
	v_mul_f64 v[0:1], v[40:41], v[0:1]
	s_waitcnt lgkmcnt(0)
	v_fma_f64 v[6:7], -v[100:101], v[38:39], v[6:7]
	ds_read2_b64 v[38:41], v34 offset1:1
	v_mov_b32_e32 v34, s14
	s_add_i32 s14, s9, 0xffffff80
	s_add_i32 s17, s15, s14
	s_lshl_b32 s17, s17, 3
	ds_read2_b64 v[42:45], v34 offset1:1
	v_mov_b32_e32 v34, s17
	s_add_i32 s17, s8, 0xfffffad8
	s_add_i32 s19, s6, -7
	ds_read2_b64 v[54:57], v34 offset1:1
	v_mov_b32_e32 v34, s17
	s_add_i32 s17, s19, s9
	s_lshl_b32 s17, s17, 3
	v_fma_f64 v[4:5], -v[98:99], v[32:33], v[4:5]
	v_mov_b32_e32 v32, s17
	s_add_i32 s17, s19, s7
	s_lshl_b32 s17, s17, 3
	global_store_dwordx4 v[96:97], v[0:3], off offset:-24
	v_fma_f64 v[4:5], -v[100:101], v[36:37], v[4:5]
	v_mov_b32_e32 v36, s17
	s_waitcnt lgkmcnt(2)
	v_fma_f64 v[6:7], -v[2:3], v[40:41], v[6:7]
	ds_read_b64 v[40:41], v34
	v_fma_f64 v[4:5], -v[2:3], v[38:39], v[4:5]
	ds_read2_b64 v[32:35], v32 offset1:1
	ds_read2_b64 v[36:39], v36 offset1:1
	s_add_i32 s17, s19, s12
	s_waitcnt lgkmcnt(4)
	v_fma_f64 v[6:7], -v[0:1], v[44:45], v[6:7]
	s_lshl_b32 s17, s17, 3
	s_waitcnt lgkmcnt(3)
	v_mul_f64 v[6:7], v[56:57], v[6:7]
	v_fma_f64 v[4:5], -v[0:1], v[42:43], v[4:5]
	s_waitcnt lgkmcnt(1)
	v_fma_f64 v[10:11], -v[98:99], v[34:35], v[10:11]
	v_mov_b32_e32 v34, s17
	s_add_i32 s17, s19, s13
	v_fma_f64 v[4:5], -v[6:7], v[54:55], v[4:5]
	s_lshl_b32 s17, s17, 3
	v_mul_f64 v[4:5], v[40:41], v[4:5]
	v_mov_b32_e32 v35, s17
	s_add_i32 s17, s19, s14
	global_store_dwordx4 v[96:97], v[4:7], off offset:-40
	s_lshl_b32 s17, s17, 3
	s_lshl_b32 s15, s15, 5
	s_waitcnt lgkmcnt(0)
	v_fma_f64 v[10:11], -v[100:101], v[38:39], v[10:11]
	ds_read2_b64 v[38:41], v34 offset1:1
	ds_read2_b64 v[42:45], v35 offset1:1
	v_mov_b32_e32 v34, s17
	s_add_i32 s17, s19, s15
	s_lshl_b32 s17, s17, 3
	v_mov_b32_e32 v35, s17
	s_add_i32 s17, s8, 0xfffff9d0
	ds_read2_b64 v[54:57], v34 offset1:1
	ds_read2_b64 v[64:67], v35 offset1:1
	v_mov_b32_e32 v34, s17
	s_add_i32 s17, s9, 0xffffff40
	s_add_i32 s20, s19, s17
	ds_read_b64 v[34:35], v34
	s_lshl_b32 s20, s20, 3
	s_waitcnt lgkmcnt(4)
	v_fma_f64 v[10:11], -v[2:3], v[40:41], v[10:11]
	v_fma_f64 v[8:9], -v[98:99], v[32:33], v[8:9]
	v_mov_b32_e32 v32, s20
	s_waitcnt lgkmcnt(3)
	v_fma_f64 v[10:11], -v[0:1], v[44:45], v[10:11]
	v_fma_f64 v[8:9], -v[100:101], v[36:37], v[8:9]
	ds_read_b64 v[32:33], v32
	s_waitcnt lgkmcnt(3)
	v_fma_f64 v[10:11], -v[6:7], v[56:57], v[10:11]
	v_fma_f64 v[8:9], -v[2:3], v[38:39], v[8:9]
	s_waitcnt lgkmcnt(2)
	v_fma_f64 v[10:11], -v[4:5], v[66:67], v[10:11]
	s_add_i32 s20, s8, 0xfffff8c8
	v_fma_f64 v[8:9], -v[0:1], v[42:43], v[8:9]
	s_add_i32 s21, s6, -9
	s_waitcnt lgkmcnt(1)
	v_mul_f64 v[10:11], v[34:35], v[10:11]
	v_mov_b32_e32 v34, s20
	v_fma_f64 v[8:9], -v[6:7], v[54:55], v[8:9]
	s_add_i32 s20, s21, s9
	ds_read_b64 v[34:35], v34
	v_fma_f64 v[8:9], -v[4:5], v[64:65], v[8:9]
	s_lshl_b32 s20, s20, 3
	s_waitcnt lgkmcnt(1)
	v_fma_f64 v[8:9], -v[10:11], v[32:33], v[8:9]
	v_mov_b32_e32 v32, s20
	s_add_i32 s20, s21, s7
	s_lshl_b32 s20, s20, 3
	v_mov_b32_e32 v36, s20
	s_add_i32 s20, s21, s12
	s_lshl_b32 s20, s20, 3
	s_waitcnt lgkmcnt(0)
	v_mul_f64 v[8:9], v[34:35], v[8:9]
	ds_read2_b64 v[32:35], v32 offset1:1
	ds_read2_b64 v[36:39], v36 offset1:1
	v_mov_b32_e32 v40, s20
	s_add_i32 s20, s21, s13
	s_lshl_b32 s20, s20, 3
	v_mov_b32_e32 v44, s20
	s_add_i32 s20, s21, s14
	s_lshl_b32 s20, s20, 3
	s_waitcnt lgkmcnt(1)
	v_fma_f64 v[14:15], -v[98:99], v[34:35], v[14:15]
	v_mov_b32_e32 v34, s20
	s_add_i32 s20, s21, s15
	s_lshl_b32 s20, s20, 3
	v_mov_b32_e32 v35, s20
	s_add_i32 s20, s21, s17
	ds_read2_b64 v[40:43], v40 offset1:1
	ds_read2_b64 v[44:47], v44 offset1:1
	global_store_dwordx4 v[96:97], v[8:11], off offset:-56
	s_lshl_b32 s20, s20, 3
	s_lshl_b32 s19, s19, 5
	ds_read2_b64 v[54:57], v34 offset1:1
	ds_read2_b64 v[64:67], v35 offset1:1
	v_mov_b32_e32 v34, s20
	s_add_i32 s20, s21, s19
	s_lshl_b32 s20, s20, 3
	s_waitcnt lgkmcnt(4)
	v_fma_f64 v[14:15], -v[100:101], v[38:39], v[14:15]
	v_mov_b32_e32 v35, s20
	s_add_i32 s20, s8, 0xfffff7c0
	s_waitcnt lgkmcnt(3)
	v_fma_f64 v[14:15], -v[2:3], v[42:43], v[14:15]
	ds_read2_b64 v[74:77], v34 offset1:1
	ds_read2_b64 v[78:81], v35 offset1:1
	v_mov_b32_e32 v34, s20
	s_waitcnt lgkmcnt(4)
	v_fma_f64 v[14:15], -v[0:1], v[46:47], v[14:15]
	ds_read_b64 v[34:35], v34
	s_waitcnt lgkmcnt(4)
	v_fma_f64 v[14:15], -v[6:7], v[56:57], v[14:15]
	s_add_i32 s20, s9, 0xffffff00
	s_waitcnt lgkmcnt(3)
	v_fma_f64 v[14:15], -v[4:5], v[66:67], v[14:15]
	v_fma_f64 v[12:13], -v[98:99], v[32:33], v[12:13]
	s_add_i32 s22, s21, s20
	s_waitcnt lgkmcnt(2)
	v_fma_f64 v[14:15], -v[10:11], v[76:77], v[14:15]
	v_fma_f64 v[12:13], -v[100:101], v[36:37], v[12:13]
	s_lshl_b32 s22, s22, 3
	s_waitcnt lgkmcnt(1)
	v_fma_f64 v[14:15], -v[8:9], v[80:81], v[14:15]
	v_fma_f64 v[12:13], -v[2:3], v[40:41], v[12:13]
	v_mov_b32_e32 v32, s22
	s_add_i32 s22, s8, 0xfffff6b8
	s_waitcnt lgkmcnt(0)
	v_mul_f64 v[14:15], v[34:35], v[14:15]
	v_fma_f64 v[12:13], -v[0:1], v[44:45], v[12:13]
	ds_read_b64 v[32:33], v32
	v_mov_b32_e32 v34, s22
	v_fma_f64 v[12:13], -v[6:7], v[54:55], v[12:13]
	ds_read_b64 v[34:35], v34
	v_fma_f64 v[12:13], -v[4:5], v[64:65], v[12:13]
	s_add_i32 s23, s6, -11
	v_fma_f64 v[12:13], -v[10:11], v[74:75], v[12:13]
	s_add_i32 s22, s23, s9
	v_fma_f64 v[12:13], -v[8:9], v[78:79], v[12:13]
	s_lshl_b32 s22, s22, 3
	s_waitcnt lgkmcnt(1)
	v_fma_f64 v[12:13], -v[14:15], v[32:33], v[12:13]
	v_mov_b32_e32 v32, s22
	s_waitcnt lgkmcnt(0)
	v_mul_f64 v[12:13], v[34:35], v[12:13]
	ds_read2_b64 v[32:35], v32 offset1:1
	s_add_i32 s22, s23, s7
	s_lshl_b32 s22, s22, 3
	v_mov_b32_e32 v36, s22
	ds_read2_b64 v[36:39], v36 offset1:1
	s_add_i32 s22, s23, s12
	s_lshl_b32 s22, s22, 3
	s_waitcnt lgkmcnt(1)
	v_fma_f64 v[18:19], -v[98:99], v[34:35], v[18:19]
	v_mov_b32_e32 v34, s22
	s_add_i32 s22, s23, s13
	s_lshl_b32 s22, s22, 3
	v_mov_b32_e32 v35, s22
	s_add_i32 s22, s23, s14
	global_store_dwordx4 v[96:97], v[12:15], off offset:-72
	s_lshl_b32 s22, s22, 3
	ds_read2_b64 v[40:43], v34 offset1:1
	ds_read2_b64 v[44:47], v35 offset1:1
	v_mov_b32_e32 v34, s22
	s_add_i32 s22, s23, s15
	s_lshl_b32 s22, s22, 3
	v_mov_b32_e32 v35, s22
	s_add_i32 s22, s23, s17
	ds_read2_b64 v[54:57], v34 offset1:1
	ds_read2_b64 v[64:67], v35 offset1:1
	s_lshl_b32 s22, s22, 3
	s_waitcnt lgkmcnt(4)
	v_fma_f64 v[18:19], -v[100:101], v[38:39], v[18:19]
	v_mov_b32_e32 v34, s22
	s_add_i32 s22, s23, s19
	s_waitcnt lgkmcnt(3)
	v_fma_f64 v[18:19], -v[2:3], v[42:43], v[18:19]
	s_lshl_b32 s22, s22, 3
	s_waitcnt lgkmcnt(2)
	v_fma_f64 v[18:19], -v[0:1], v[46:47], v[18:19]
	v_mov_b32_e32 v35, s22
	s_add_i32 s22, s23, s20
	s_waitcnt lgkmcnt(1)
	v_fma_f64 v[18:19], -v[6:7], v[56:57], v[18:19]
	s_lshl_b32 s22, s22, 3
	s_lshl_b32 s21, s21, 5
	s_waitcnt lgkmcnt(0)
	v_fma_f64 v[18:19], -v[4:5], v[66:67], v[18:19]
	ds_read2_b64 v[56:59], v34 offset1:1
	ds_read2_b64 v[66:69], v35 offset1:1
	v_mov_b32_e32 v34, s22
	s_add_i32 s22, s23, s21
	s_lshl_b32 s22, s22, 3
	v_mov_b32_e32 v35, s22
	s_add_i32 s22, s8, 0xfffff5b0
	ds_read2_b64 v[74:77], v34 offset1:1
	ds_read2_b64 v[78:81], v35 offset1:1
	v_mov_b32_e32 v34, s22
	ds_read_b64 v[34:35], v34
	v_fma_f64 v[16:17], -v[98:99], v[32:33], v[16:17]
	s_waitcnt lgkmcnt(4)
	v_fma_f64 v[18:19], -v[10:11], v[58:59], v[18:19]
	v_fma_f64 v[16:17], -v[100:101], v[36:37], v[16:17]
	s_add_i32 s22, s9, 0xfffffec0
	s_waitcnt lgkmcnt(3)
	v_fma_f64 v[18:19], -v[8:9], v[68:69], v[18:19]
	v_fma_f64 v[16:17], -v[2:3], v[40:41], v[16:17]
	s_add_i32 s24, s23, s22
	s_waitcnt lgkmcnt(2)
	v_fma_f64 v[18:19], -v[14:15], v[76:77], v[18:19]
	v_fma_f64 v[16:17], -v[0:1], v[44:45], v[16:17]
	s_lshl_b32 s24, s24, 3
	s_waitcnt lgkmcnt(1)
	v_fma_f64 v[18:19], -v[12:13], v[80:81], v[18:19]
	v_fma_f64 v[16:17], -v[6:7], v[54:55], v[16:17]
	v_mov_b32_e32 v32, s24
	s_add_i32 s24, s8, 0xfffff4a8
	s_waitcnt lgkmcnt(0)
	v_mul_f64 v[18:19], v[34:35], v[18:19]
	v_fma_f64 v[16:17], -v[4:5], v[64:65], v[16:17]
	v_mov_b32_e32 v34, s24
	v_fma_f64 v[16:17], -v[10:11], v[56:57], v[16:17]
	ds_read_b64 v[32:33], v32
	ds_read_b64 v[34:35], v34
	v_fma_f64 v[16:17], -v[8:9], v[66:67], v[16:17]
	s_add_i32 s25, s6, -13
	v_fma_f64 v[16:17], -v[14:15], v[74:75], v[16:17]
	s_add_i32 s24, s25, s9
	v_fma_f64 v[16:17], -v[12:13], v[78:79], v[16:17]
	s_lshl_b32 s24, s24, 3
	s_waitcnt lgkmcnt(1)
	v_fma_f64 v[16:17], -v[18:19], v[32:33], v[16:17]
	v_mov_b32_e32 v32, s24
	s_add_i32 s24, s25, s7
	s_lshl_b32 s24, s24, 3
	v_mov_b32_e32 v36, s24
	s_add_i32 s24, s25, s12
	s_lshl_b32 s24, s24, 3
	s_waitcnt lgkmcnt(0)
	v_mul_f64 v[16:17], v[34:35], v[16:17]
	ds_read2_b64 v[32:35], v32 offset1:1
	ds_read2_b64 v[36:39], v36 offset1:1
	v_mov_b32_e32 v40, s24
	s_add_i32 s24, s25, s13
	s_lshl_b32 s24, s24, 3
	v_mov_b32_e32 v44, s24
	s_add_i32 s24, s25, s14
	s_lshl_b32 s24, s24, 3
	s_waitcnt lgkmcnt(1)
	v_fma_f64 v[22:23], -v[98:99], v[34:35], v[22:23]
	v_mov_b32_e32 v34, s24
	s_add_i32 s24, s25, s15
	s_lshl_b32 s24, s24, 3
	ds_read2_b64 v[40:43], v40 offset1:1
	ds_read2_b64 v[44:47], v44 offset1:1
	;; [unrolled: 1-line block ×3, first 2 shown]
	v_mov_b32_e32 v34, s24
	s_add_i32 s24, s25, s17
	s_lshl_b32 s24, s24, 3
	ds_read2_b64 v[64:67], v34 offset1:1
	v_mov_b32_e32 v34, s24
	s_add_i32 s24, s25, s19
	s_waitcnt lgkmcnt(4)
	v_fma_f64 v[22:23], -v[100:101], v[38:39], v[22:23]
	s_lshl_b32 s24, s24, 3
	s_waitcnt lgkmcnt(3)
	v_fma_f64 v[22:23], -v[2:3], v[42:43], v[22:23]
	v_mov_b32_e32 v35, s24
	s_add_i32 s24, s25, s20
	global_store_dwordx4 v[96:97], v[16:19], off offset:-88
	s_waitcnt lgkmcnt(2)
	v_fma_f64 v[22:23], -v[0:1], v[46:47], v[22:23]
	s_lshl_b32 s24, s24, 3
	s_waitcnt lgkmcnt(1)
	v_fma_f64 v[22:23], -v[6:7], v[56:57], v[22:23]
	ds_read2_b64 v[56:59], v34 offset1:1
	ds_read2_b64 v[74:77], v35 offset1:1
	v_mov_b32_e32 v34, s24
	s_add_i32 s24, s25, s21
	s_lshl_b32 s24, s24, 3
	v_mov_b32_e32 v35, s24
	s_add_i32 s24, s25, s22
	s_lshl_b32 s24, s24, 3
	ds_read2_b64 v[78:81], v34 offset1:1
	ds_read2_b64 v[86:89], v35 offset1:1
	v_mov_b32_e32 v34, s24
	s_lshl_b32 s24, s23, 5
	s_add_i32 s23, s25, s24
	v_fma_f64 v[20:21], -v[98:99], v[32:33], v[20:21]
	s_waitcnt lgkmcnt(4)
	v_fma_f64 v[22:23], -v[4:5], v[66:67], v[22:23]
	s_lshl_b32 s23, s23, 3
	v_fma_f64 v[20:21], -v[100:101], v[36:37], v[20:21]
	s_waitcnt lgkmcnt(3)
	v_fma_f64 v[22:23], -v[10:11], v[58:59], v[22:23]
	ds_read2_b64 v[66:69], v34 offset1:1
	v_mov_b32_e32 v34, s23
	s_add_i32 s23, s9, 0xfffffe80
	v_fma_f64 v[20:21], -v[2:3], v[40:41], v[20:21]
	s_waitcnt lgkmcnt(3)
	v_fma_f64 v[22:23], -v[8:9], v[76:77], v[22:23]
	s_add_i32 s26, s25, s23
	v_fma_f64 v[20:21], -v[0:1], v[44:45], v[20:21]
	s_waitcnt lgkmcnt(2)
	v_fma_f64 v[22:23], -v[14:15], v[80:81], v[22:23]
	s_lshl_b32 s26, s26, 3
	v_fma_f64 v[20:21], -v[6:7], v[54:55], v[20:21]
	s_waitcnt lgkmcnt(1)
	v_fma_f64 v[22:23], -v[12:13], v[88:89], v[22:23]
	ds_read2_b64 v[88:91], v34 offset1:1
	v_mov_b32_e32 v34, s26
	v_fma_f64 v[20:21], -v[4:5], v[64:65], v[20:21]
	ds_read2_b64 v[102:105], v34 offset1:1
	s_add_i32 s26, s8, 0xfffff298
	v_fma_f64 v[20:21], -v[10:11], v[56:57], v[20:21]
	v_mov_b32_e32 v34, s26
	v_fma_f64 v[20:21], -v[8:9], v[74:75], v[20:21]
	ds_read_b64 v[34:35], v34
	v_fma_f64 v[20:21], -v[14:15], v[78:79], v[20:21]
	s_waitcnt lgkmcnt(3)
	v_fma_f64 v[22:23], -v[18:19], v[68:69], v[22:23]
	v_fma_f64 v[20:21], -v[12:13], v[86:87], v[20:21]
	s_add_i32 s27, s6, -15
	s_waitcnt lgkmcnt(2)
	v_fma_f64 v[22:23], -v[16:17], v[90:91], v[22:23]
	v_fma_f64 v[20:21], -v[18:19], v[66:67], v[20:21]
	s_add_i32 s26, s27, s9
	s_waitcnt lgkmcnt(1)
	v_mul_f64 v[22:23], v[104:105], v[22:23]
	v_fma_f64 v[20:21], -v[16:17], v[88:89], v[20:21]
	s_lshl_b32 s26, s26, 3
	v_fma_f64 v[20:21], -v[22:23], v[102:103], v[20:21]
	v_mov_b32_e32 v32, s26
	s_waitcnt lgkmcnt(0)
	v_mul_f64 v[20:21], v[34:35], v[20:21]
	ds_read2_b64 v[32:35], v32 offset1:1
	s_add_i32 s26, s27, s7
	s_lshl_b32 s26, s26, 3
	v_mov_b32_e32 v36, s26
	ds_read2_b64 v[36:39], v36 offset1:1
	s_add_i32 s26, s27, s12
	s_lshl_b32 s26, s26, 3
	s_waitcnt lgkmcnt(1)
	v_fma_f64 v[26:27], -v[98:99], v[34:35], v[26:27]
	v_mov_b32_e32 v34, s26
	s_add_i32 s26, s27, s13
	s_lshl_b32 s26, s26, 3
	v_mov_b32_e32 v35, s26
	s_add_i32 s26, s27, s14
	global_store_dwordx4 v[96:97], v[20:23], off offset:-104
	s_lshl_b32 s26, s26, 3
	ds_read2_b64 v[40:43], v34 offset1:1
	ds_read2_b64 v[44:47], v35 offset1:1
	v_mov_b32_e32 v34, s26
	s_add_i32 s26, s27, s15
	s_lshl_b32 s26, s26, 3
	v_mov_b32_e32 v35, s26
	ds_read2_b64 v[54:57], v34 offset1:1
	ds_read2_b64 v[64:67], v35 offset1:1
	s_add_i32 s26, s27, s17
	s_waitcnt lgkmcnt(4)
	v_fma_f64 v[26:27], -v[100:101], v[38:39], v[26:27]
	s_lshl_b32 s26, s26, 3
	s_waitcnt lgkmcnt(3)
	v_fma_f64 v[26:27], -v[2:3], v[42:43], v[26:27]
	v_mov_b32_e32 v34, s26
	s_add_i32 s26, s27, s19
	s_waitcnt lgkmcnt(2)
	v_fma_f64 v[26:27], -v[0:1], v[46:47], v[26:27]
	s_lshl_b32 s26, s26, 3
	s_waitcnt lgkmcnt(1)
	v_fma_f64 v[26:27], -v[6:7], v[56:57], v[26:27]
	ds_read2_b64 v[56:59], v34 offset1:1
	v_mov_b32_e32 v34, s26
	s_add_i32 s26, s27, s20
	s_lshl_b32 s26, s26, 3
	s_waitcnt lgkmcnt(1)
	v_fma_f64 v[26:27], -v[4:5], v[66:67], v[26:27]
	ds_read2_b64 v[66:69], v34 offset1:1
	v_mov_b32_e32 v34, s26
	s_add_i32 s26, s27, s21
	s_lshl_b32 s26, s26, 3
	v_mov_b32_e32 v35, s26
	s_add_i32 s26, s27, s22
	s_lshl_b32 s26, s26, 3
	ds_read2_b64 v[74:77], v34 offset1:1
	ds_read2_b64 v[78:81], v35 offset1:1
	v_mov_b32_e32 v34, s26
	s_add_i32 s26, s27, s24
	s_lshl_b32 s26, s26, 3
	v_mov_b32_e32 v35, s26
	s_add_i32 s26, s27, s23
	s_lshl_b32 s26, s26, 3
	s_lshl_b32 s25, s25, 5
	ds_read2_b64 v[86:89], v34 offset1:1
	ds_read2_b64 v[90:93], v35 offset1:1
	v_mov_b32_e32 v34, s26
	s_add_i32 s26, s27, s25
	s_lshl_b32 s26, s26, 3
	ds_read2_b64 v[102:105], v34 offset1:1
	v_mov_b32_e32 v34, s26
	s_add_i32 s26, s9, 0xfffffe40
	s_add_i32 s28, s27, s26
	s_lshl_b32 s28, s28, 3
	v_fma_f64 v[24:25], -v[98:99], v[32:33], v[24:25]
	ds_read2_b64 v[106:109], v34 offset1:1
	v_mov_b32_e32 v34, s28
	s_add_i32 s28, s8, 0xfffff088
	v_fma_f64 v[24:25], -v[100:101], v[36:37], v[24:25]
	s_sub_i32 s29, s6, 17
	ds_read2_b64 v[110:113], v34 offset1:1
	v_mov_b32_e32 v34, s28
	v_fma_f64 v[24:25], -v[2:3], v[40:41], v[24:25]
	s_add_i32 s28, s29, s9
	v_fma_f64 v[24:25], -v[0:1], v[44:45], v[24:25]
	s_lshl_b32 s28, s28, 3
	v_fma_f64 v[24:25], -v[6:7], v[54:55], v[24:25]
	v_mov_b32_e32 v32, s28
	s_add_i32 s28, s29, s7
	s_waitcnt lgkmcnt(8)
	v_fma_f64 v[26:27], -v[10:11], v[58:59], v[26:27]
	v_fma_f64 v[24:25], -v[4:5], v[64:65], v[24:25]
	s_lshl_b32 s28, s28, 3
	s_waitcnt lgkmcnt(7)
	v_fma_f64 v[26:27], -v[8:9], v[68:69], v[26:27]
	v_fma_f64 v[24:25], -v[10:11], v[56:57], v[24:25]
	v_mov_b32_e32 v36, s28
	s_waitcnt lgkmcnt(6)
	v_fma_f64 v[26:27], -v[14:15], v[76:77], v[26:27]
	ds_read_b64 v[42:43], v34
	v_fma_f64 v[24:25], -v[8:9], v[66:67], v[24:25]
	ds_read2_b64 v[32:35], v32 offset1:1
	ds_read2_b64 v[36:39], v36 offset1:1
	s_waitcnt lgkmcnt(8)
	v_fma_f64 v[26:27], -v[12:13], v[80:81], v[26:27]
	v_fma_f64 v[24:25], -v[14:15], v[74:75], v[24:25]
	s_waitcnt lgkmcnt(7)
	v_fma_f64 v[26:27], -v[18:19], v[88:89], v[26:27]
	v_fma_f64 v[24:25], -v[12:13], v[78:79], v[24:25]
	s_add_i32 s28, s29, s12
	s_waitcnt lgkmcnt(6)
	v_fma_f64 v[26:27], -v[16:17], v[92:93], v[26:27]
	v_fma_f64 v[24:25], -v[18:19], v[86:87], v[24:25]
	s_lshl_b32 s28, s28, 3
	s_waitcnt lgkmcnt(5)
	v_fma_f64 v[26:27], -v[22:23], v[104:105], v[26:27]
	v_fma_f64 v[24:25], -v[16:17], v[90:91], v[24:25]
	s_waitcnt lgkmcnt(1)
	v_fma_f64 v[30:31], -v[98:99], v[34:35], v[30:31]
	v_mov_b32_e32 v34, s28
	s_add_i32 s28, s29, s13
	v_fma_f64 v[26:27], -v[20:21], v[108:109], v[26:27]
	v_fma_f64 v[24:25], -v[22:23], v[102:103], v[24:25]
	s_lshl_b32 s28, s28, 3
	v_mul_f64 v[26:27], v[112:113], v[26:27]
	v_fma_f64 v[24:25], -v[20:21], v[106:107], v[24:25]
	s_waitcnt lgkmcnt(0)
	v_fma_f64 v[30:31], -v[100:101], v[38:39], v[30:31]
	ds_read2_b64 v[38:41], v34 offset1:1
	v_mov_b32_e32 v34, s28
	s_add_i32 s28, s29, s14
	v_fma_f64 v[24:25], -v[26:27], v[110:111], v[24:25]
	s_lshl_b32 s28, s28, 3
	v_mul_f64 v[24:25], v[42:43], v[24:25]
	ds_read2_b64 v[42:45], v34 offset1:1
	v_mov_b32_e32 v34, s28
	s_add_i32 s28, s29, s15
	s_lshl_b32 s28, s28, 3
	v_mov_b32_e32 v35, s28
	s_add_i32 s28, s29, s17
	global_store_dwordx4 v[96:97], v[24:27], off offset:-120
	s_lshl_b32 s28, s28, 3
	ds_read2_b64 v[54:57], v34 offset1:1
	ds_read2_b64 v[64:67], v35 offset1:1
	v_mov_b32_e32 v34, s28
	s_add_i32 s28, s29, s19
	s_lshl_b32 s28, s28, 3
	v_mov_b32_e32 v35, s28
	s_add_i32 s28, s29, s20
	s_lshl_b32 s28, s28, 3
	ds_read2_b64 v[74:77], v34 offset1:1
	ds_read2_b64 v[78:81], v35 offset1:1
	v_mov_b32_e32 v34, s28
	s_add_i32 s28, s29, s21
	s_waitcnt lgkmcnt(5)
	v_fma_f64 v[30:31], -v[2:3], v[40:41], v[30:31]
	s_lshl_b32 s28, s28, 3
	s_waitcnt lgkmcnt(4)
	v_fma_f64 v[30:31], -v[0:1], v[44:45], v[30:31]
	ds_read2_b64 v[44:47], v34 offset1:1
	v_mov_b32_e32 v34, s28
	s_add_i32 s28, s29, s22
	s_lshl_b32 s28, s28, 3
	s_waitcnt lgkmcnt(4)
	v_fma_f64 v[30:31], -v[6:7], v[56:57], v[30:31]
	ds_read2_b64 v[56:59], v34 offset1:1
	v_mov_b32_e32 v34, s28
	s_add_i32 s28, s29, s24
	s_lshl_b32 s28, s28, 3
	v_mov_b32_e32 v35, s28
	s_add_i32 s28, s29, s23
	s_waitcnt lgkmcnt(4)
	v_fma_f64 v[30:31], -v[4:5], v[66:67], v[30:31]
	s_lshl_b32 s28, s28, 3
	s_waitcnt lgkmcnt(3)
	v_fma_f64 v[30:31], -v[10:11], v[76:77], v[30:31]
	ds_read2_b64 v[66:69], v34 offset1:1
	ds_read2_b64 v[86:89], v35 offset1:1
	v_mov_b32_e32 v34, s28
	s_add_i32 s28, s29, s25
	s_waitcnt lgkmcnt(4)
	v_fma_f64 v[30:31], -v[8:9], v[80:81], v[30:31]
	s_lshl_b32 s28, s28, 3
	v_fma_f64 v[28:29], -v[98:99], v[32:33], v[28:29]
	s_waitcnt lgkmcnt(3)
	v_fma_f64 v[30:31], -v[14:15], v[46:47], v[30:31]
	v_mov_b32_e32 v35, s28
	ds_read2_b64 v[90:93], v34 offset1:1
	ds_read2_b64 v[102:105], v35 offset1:1
	v_fma_f64 v[28:29], -v[100:101], v[36:37], v[28:29]
	s_waitcnt lgkmcnt(4)
	v_fma_f64 v[30:31], -v[12:13], v[58:59], v[30:31]
	s_add_i32 s28, s29, s26
	v_fma_f64 v[28:29], -v[2:3], v[38:39], v[28:29]
	s_waitcnt lgkmcnt(3)
	v_fma_f64 v[30:31], -v[18:19], v[68:69], v[30:31]
	s_lshl_b32 s28, s28, 3
	s_lshl_b32 s27, s27, 5
	v_fma_f64 v[28:29], -v[0:1], v[42:43], v[28:29]
	s_waitcnt lgkmcnt(2)
	v_fma_f64 v[30:31], -v[16:17], v[88:89], v[30:31]
	v_mov_b32_e32 v34, s28
	s_add_i32 s28, s29, s27
	v_fma_f64 v[28:29], -v[6:7], v[54:55], v[28:29]
	s_waitcnt lgkmcnt(1)
	v_fma_f64 v[30:31], -v[22:23], v[92:93], v[30:31]
	s_lshl_b32 s28, s28, 3
	v_fma_f64 v[28:29], -v[4:5], v[64:65], v[28:29]
	s_waitcnt lgkmcnt(0)
	v_fma_f64 v[30:31], -v[20:21], v[104:105], v[30:31]
	ds_read2_b64 v[104:107], v34 offset1:1
	v_mov_b32_e32 v34, s28
	s_add_i32 s28, s9, 0xfffffe00
	v_fma_f64 v[28:29], -v[10:11], v[74:75], v[28:29]
	s_add_i32 s30, s29, s28
	v_fma_f64 v[28:29], -v[8:9], v[78:79], v[28:29]
	s_lshl_b32 s30, s30, 3
	v_fma_f64 v[28:29], -v[14:15], v[44:45], v[28:29]
	ds_read2_b64 v[108:111], v34 offset1:1
	v_mov_b32_e32 v34, s30
	v_fma_f64 v[28:29], -v[12:13], v[56:57], v[28:29]
	ds_read2_b64 v[112:115], v34 offset1:1
	s_add_i32 s30, s8, 0xffffee78
	v_fma_f64 v[28:29], -v[18:19], v[66:67], v[28:29]
	v_mov_b32_e32 v34, s30
	v_fma_f64 v[28:29], -v[16:17], v[86:87], v[28:29]
	s_sub_i32 s31, s6, 19
	ds_read_b64 v[34:35], v34
	v_fma_f64 v[28:29], -v[22:23], v[90:91], v[28:29]
	s_add_i32 s30, s31, s9
	s_waitcnt lgkmcnt(3)
	v_fma_f64 v[30:31], -v[26:27], v[106:107], v[30:31]
	v_fma_f64 v[28:29], -v[20:21], v[102:103], v[28:29]
	s_lshl_b32 s30, s30, 3
	s_waitcnt lgkmcnt(2)
	v_fma_f64 v[30:31], -v[24:25], v[110:111], v[30:31]
	v_fma_f64 v[28:29], -v[26:27], v[104:105], v[28:29]
	v_mov_b32_e32 v32, s30
	s_add_i32 s30, s31, s7
	s_waitcnt lgkmcnt(1)
	v_mul_f64 v[30:31], v[114:115], v[30:31]
	v_fma_f64 v[28:29], -v[24:25], v[108:109], v[28:29]
	s_lshl_b32 s30, s30, 3
	v_fma_f64 v[28:29], -v[30:31], v[112:113], v[28:29]
	v_mov_b32_e32 v36, s30
	s_add_i32 s30, s31, s12
	s_waitcnt lgkmcnt(0)
	v_mul_f64 v[28:29], v[34:35], v[28:29]
	ds_read2_b64 v[32:35], v32 offset1:1
	ds_read2_b64 v[36:39], v36 offset1:1
	s_lshl_b32 s30, s30, 3
	v_mov_b32_e32 v40, s30
	s_add_i32 s30, s31, s13
	s_lshl_b32 s30, s30, 3
	v_mov_b32_e32 v44, s30
	s_add_i32 s30, s31, s14
	s_waitcnt lgkmcnt(1)
	v_fma_f64 v[34:35], -v[98:99], v[34:35], v[52:53]
	s_lshl_b32 s30, s30, 3
	s_waitcnt lgkmcnt(0)
	v_fma_f64 v[34:35], -v[100:101], v[38:39], v[34:35]
	v_mov_b32_e32 v38, s30
	s_add_i32 s30, s31, s15
	s_lshl_b32 s30, s30, 3
	ds_read2_b64 v[40:43], v40 offset1:1
	ds_read2_b64 v[44:47], v44 offset1:1
	;; [unrolled: 1-line block ×3, first 2 shown]
	v_mov_b32_e32 v38, s30
	s_add_i32 s30, s31, s17
	s_lshl_b32 s30, s30, 3
	ds_read2_b64 v[56:59], v38 offset1:1
	v_mov_b32_e32 v38, s30
	s_add_i32 s30, s31, s19
	s_lshl_b32 s30, s30, 3
	v_mov_b32_e32 v39, s30
	s_add_i32 s30, s31, s20
	global_store_dwordx4 v[96:97], v[28:31], off offset:-136
	s_lshl_b32 s30, s30, 3
	ds_read2_b64 v[64:67], v38 offset1:1
	ds_read2_b64 v[74:77], v39 offset1:1
	v_mov_b32_e32 v38, s30
	s_add_i32 s30, s31, s21
	s_waitcnt lgkmcnt(5)
	v_fma_f64 v[34:35], -v[2:3], v[42:43], v[34:35]
	s_lshl_b32 s30, s30, 3
	s_waitcnt lgkmcnt(4)
	v_fma_f64 v[34:35], -v[0:1], v[46:47], v[34:35]
	v_mov_b32_e32 v39, s30
	s_add_i32 s30, s31, s22
	s_waitcnt lgkmcnt(3)
	v_fma_f64 v[34:35], -v[6:7], v[54:55], v[34:35]
	ds_read2_b64 v[78:81], v38 offset1:1
	ds_read2_b64 v[86:89], v39 offset1:1
	s_lshl_b32 s30, s30, 3
	s_waitcnt lgkmcnt(4)
	v_fma_f64 v[34:35], -v[4:5], v[58:59], v[34:35]
	v_mov_b32_e32 v38, s30
	s_add_i32 s30, s31, s24
	s_waitcnt lgkmcnt(3)
	v_fma_f64 v[34:35], -v[10:11], v[66:67], v[34:35]
	s_lshl_b32 s30, s30, 3
	s_waitcnt lgkmcnt(2)
	v_fma_f64 v[34:35], -v[8:9], v[76:77], v[34:35]
	ds_read2_b64 v[66:69], v38 offset1:1
	v_mov_b32_e32 v38, s30
	s_add_i32 s30, s31, s23
	s_waitcnt lgkmcnt(2)
	v_fma_f64 v[34:35], -v[14:15], v[80:81], v[34:35]
	s_lshl_b32 s30, s30, 3
	s_waitcnt lgkmcnt(1)
	v_fma_f64 v[34:35], -v[12:13], v[88:89], v[34:35]
	ds_read2_b64 v[88:91], v38 offset1:1
	v_mov_b32_e32 v38, s30
	s_add_i32 s30, s31, s25
	s_lshl_b32 s30, s30, 3
	v_mov_b32_e32 v39, s30
	s_add_i32 s30, s31, s26
	s_lshl_b32 s30, s30, 3
	v_fma_f64 v[32:33], -v[98:99], v[32:33], v[50:51]
	ds_read2_b64 v[102:105], v38 offset1:1
	ds_read2_b64 v[106:109], v39 offset1:1
	v_mov_b32_e32 v38, s30
	s_add_i32 s30, s31, s27
	v_fma_f64 v[32:33], -v[100:101], v[36:37], v[32:33]
	s_lshl_b32 s30, s30, 3
	v_fma_f64 v[32:33], -v[2:3], v[40:41], v[32:33]
	v_mov_b32_e32 v39, s30
	s_add_i32 s30, s31, s28
	v_fma_f64 v[32:33], -v[0:1], v[44:45], v[32:33]
	s_lshl_b32 s30, s30, 3
	v_fma_f64 v[32:33], -v[6:7], v[52:53], v[32:33]
	ds_read2_b64 v[110:113], v38 offset1:1
	ds_read2_b64 v[114:117], v39 offset1:1
	v_mov_b32_e32 v38, s30
	s_lshl_b32 s30, s29, 5
	v_fma_f64 v[32:33], -v[4:5], v[56:57], v[32:33]
	s_waitcnt lgkmcnt(5)
	v_fma_f64 v[34:35], -v[18:19], v[68:69], v[34:35]
	s_add_i32 s29, s31, s30
	v_fma_f64 v[32:33], -v[10:11], v[64:65], v[32:33]
	s_waitcnt lgkmcnt(4)
	v_fma_f64 v[34:35], -v[16:17], v[90:91], v[34:35]
	s_lshl_b32 s29, s29, 3
	v_fma_f64 v[32:33], -v[8:9], v[74:75], v[32:33]
	s_waitcnt lgkmcnt(3)
	v_fma_f64 v[34:35], -v[22:23], v[104:105], v[34:35]
	ds_read2_b64 v[90:93], v38 offset1:1
	v_mov_b32_e32 v38, s29
	s_add_i32 s29, s9, 0xfffffdc0
	v_fma_f64 v[32:33], -v[14:15], v[78:79], v[32:33]
	s_waitcnt lgkmcnt(3)
	v_fma_f64 v[34:35], -v[20:21], v[108:109], v[34:35]
	s_add_i32 s33, s31, s29
	v_fma_f64 v[32:33], -v[12:13], v[86:87], v[32:33]
	s_waitcnt lgkmcnt(2)
	v_fma_f64 v[34:35], -v[26:27], v[112:113], v[34:35]
	s_lshl_b32 s33, s33, 3
	v_fma_f64 v[32:33], -v[18:19], v[66:67], v[32:33]
	s_waitcnt lgkmcnt(1)
	v_fma_f64 v[34:35], -v[24:25], v[116:117], v[34:35]
	ds_read2_b64 v[116:119], v38 offset1:1
	v_mov_b32_e32 v38, s33
	v_fma_f64 v[32:33], -v[16:17], v[88:89], v[32:33]
	ds_read2_b64 v[126:129], v38 offset1:1
	s_add_i32 s33, s8, 0xffffec68
	v_fma_f64 v[32:33], -v[22:23], v[102:103], v[32:33]
	v_mov_b32_e32 v38, s33
	v_fma_f64 v[32:33], -v[20:21], v[106:107], v[32:33]
	ds_read_b64 v[38:39], v38
	v_fma_f64 v[32:33], -v[26:27], v[110:111], v[32:33]
	s_waitcnt lgkmcnt(3)
	v_fma_f64 v[34:35], -v[30:31], v[92:93], v[34:35]
	v_fma_f64 v[32:33], -v[24:25], v[114:115], v[32:33]
	s_sub_i32 s34, s6, 21
	s_waitcnt lgkmcnt(2)
	v_fma_f64 v[34:35], -v[28:29], v[118:119], v[34:35]
	v_fma_f64 v[32:33], -v[30:31], v[90:91], v[32:33]
	s_add_i32 s33, s34, s9
	s_waitcnt lgkmcnt(1)
	v_mul_f64 v[34:35], v[128:129], v[34:35]
	v_fma_f64 v[32:33], -v[28:29], v[116:117], v[32:33]
	s_lshl_b32 s33, s33, 3
	v_fma_f64 v[32:33], -v[34:35], v[126:127], v[32:33]
	v_mov_b32_e32 v36, s33
	s_add_i32 s33, s34, s7
	s_waitcnt lgkmcnt(0)
	v_mul_f64 v[32:33], v[38:39], v[32:33]
	ds_read2_b64 v[36:39], v36 offset1:1
	s_lshl_b32 s33, s33, 3
	v_mov_b32_e32 v40, s33
	ds_read2_b64 v[40:43], v40 offset1:1
	s_add_i32 s33, s34, s12
	s_lshl_b32 s33, s33, 3
	v_mov_b32_e32 v44, s33
	s_add_i32 s33, s34, s13
	s_lshl_b32 s33, s33, 3
	s_waitcnt lgkmcnt(1)
	v_fma_f64 v[38:39], -v[98:99], v[38:39], v[48:49]
	v_mov_b32_e32 v48, s33
	s_add_i32 s33, s34, s14
	s_lshl_b32 s33, s33, 3
	v_mov_b32_e32 v52, s33
	s_add_i32 s33, s34, s15
	s_lshl_b32 s33, s33, 3
	v_mov_b32_e32 v56, s33
	s_add_i32 s33, s34, s17
	global_store_dwordx4 v[96:97], v[32:35], off offset:-152
	s_lshl_b32 s33, s33, 3
	ds_read2_b64 v[44:47], v44 offset1:1
	ds_read2_b64 v[48:51], v48 offset1:1
	s_waitcnt lgkmcnt(2)
	v_fma_f64 v[38:39], -v[100:101], v[42:43], v[38:39]
	v_mov_b32_e32 v42, s33
	s_add_i32 s33, s34, s19
	s_lshl_b32 s33, s33, 3
	ds_read2_b64 v[52:55], v52 offset1:1
	ds_read2_b64 v[56:59], v56 offset1:1
	;; [unrolled: 1-line block ×3, first 2 shown]
	v_mov_b32_e32 v42, s33
	s_add_i32 s33, s34, s20
	s_lshl_b32 s33, s33, 3
	s_waitcnt lgkmcnt(4)
	v_fma_f64 v[38:39], -v[2:3], v[46:47], v[38:39]
	ds_read2_b64 v[74:77], v42 offset1:1
	v_mov_b32_e32 v42, s33
	s_add_i32 s33, s34, s21
	s_waitcnt lgkmcnt(4)
	v_fma_f64 v[38:39], -v[0:1], v[50:51], v[38:39]
	s_lshl_b32 s33, s33, 3
	s_waitcnt lgkmcnt(3)
	v_fma_f64 v[38:39], -v[6:7], v[54:55], v[38:39]
	v_mov_b32_e32 v43, s33
	s_add_i32 s33, s34, s22
	s_waitcnt lgkmcnt(2)
	v_fma_f64 v[38:39], -v[4:5], v[58:59], v[38:39]
	s_lshl_b32 s33, s33, 3
	s_waitcnt lgkmcnt(1)
	v_fma_f64 v[38:39], -v[10:11], v[66:67], v[38:39]
	ds_read2_b64 v[66:69], v42 offset1:1
	ds_read2_b64 v[78:81], v43 offset1:1
	v_mov_b32_e32 v42, s33
	s_add_i32 s33, s34, s24
	s_lshl_b32 s33, s33, 3
	v_mov_b32_e32 v43, s33
	s_add_i32 s33, s34, s23
	s_lshl_b32 s33, s33, 3
	ds_read2_b64 v[86:89], v42 offset1:1
	ds_read2_b64 v[90:93], v43 offset1:1
	v_mov_b32_e32 v42, s33
	s_add_i32 s33, s34, s25
	s_lshl_b32 s33, s33, 3
	ds_read2_b64 v[102:105], v42 offset1:1
	v_mov_b32_e32 v42, s33
	s_add_i32 s33, s34, s26
	s_lshl_b32 s33, s33, 3
	ds_read2_b64 v[106:109], v42 offset1:1
	v_mov_b32_e32 v42, s33
	s_add_i32 s33, s34, s27
	s_waitcnt lgkmcnt(6)
	v_fma_f64 v[38:39], -v[8:9], v[76:77], v[38:39]
	s_lshl_b32 s33, s33, 3
	s_waitcnt lgkmcnt(5)
	v_fma_f64 v[38:39], -v[14:15], v[68:69], v[38:39]
	v_mov_b32_e32 v43, s33
	s_add_i32 s33, s34, s28
	s_waitcnt lgkmcnt(4)
	v_fma_f64 v[38:39], -v[12:13], v[80:81], v[38:39]
	s_lshl_b32 s33, s33, 3
	s_waitcnt lgkmcnt(3)
	v_fma_f64 v[38:39], -v[18:19], v[88:89], v[38:39]
	ds_read2_b64 v[110:113], v42 offset1:1
	ds_read2_b64 v[114:117], v43 offset1:1
	v_mov_b32_e32 v42, s33
	s_add_i32 s33, s34, s30
	s_waitcnt lgkmcnt(4)
	v_fma_f64 v[38:39], -v[16:17], v[92:93], v[38:39]
	s_lshl_b32 s33, s33, 3
	s_waitcnt lgkmcnt(3)
	v_fma_f64 v[38:39], -v[22:23], v[104:105], v[38:39]
	v_mov_b32_e32 v43, s33
	ds_read2_b64 v[118:121], v42 offset1:1
	ds_read2_b64 v[126:129], v43 offset1:1
	s_waitcnt lgkmcnt(4)
	v_fma_f64 v[38:39], -v[20:21], v[108:109], v[38:39]
	s_add_i32 s33, s34, s29
	s_waitcnt lgkmcnt(3)
	v_fma_f64 v[38:39], -v[26:27], v[112:113], v[38:39]
	s_lshl_b32 s33, s33, 3
	s_lshl_b32 s31, s31, 5
	v_fma_f64 v[36:37], -v[98:99], v[36:37], v[62:63]
	s_waitcnt lgkmcnt(2)
	v_fma_f64 v[38:39], -v[24:25], v[116:117], v[38:39]
	v_mov_b32_e32 v42, s33
	s_add_i32 s33, s34, s31
	v_fma_f64 v[36:37], -v[100:101], v[40:41], v[36:37]
	s_waitcnt lgkmcnt(1)
	v_fma_f64 v[38:39], -v[30:31], v[120:121], v[38:39]
	s_lshl_b32 s33, s33, 3
	v_fma_f64 v[36:37], -v[2:3], v[44:45], v[36:37]
	s_waitcnt lgkmcnt(0)
	v_fma_f64 v[38:39], -v[28:29], v[128:129], v[38:39]
	ds_read2_b64 v[128:131], v42 offset1:1
	v_mov_b32_e32 v42, s33
	s_add_i32 s33, s9, 0xfffffd80
	v_fma_f64 v[36:37], -v[0:1], v[48:49], v[36:37]
	s_add_i32 s35, s34, s33
	v_fma_f64 v[36:37], -v[6:7], v[52:53], v[36:37]
	s_lshl_b32 s35, s35, 3
	v_fma_f64 v[36:37], -v[4:5], v[56:57], v[36:37]
	ds_read2_b64 v[132:135], v42 offset1:1
	v_mov_b32_e32 v42, s35
	s_add_i32 s35, s8, 0xffffea58
	v_fma_f64 v[36:37], -v[10:11], v[64:65], v[36:37]
	s_sub_i32 s37, s6, 23
	ds_read2_b64 v[136:139], v42 offset1:1
	v_mov_b32_e32 v42, s35
	v_fma_f64 v[36:37], -v[8:9], v[74:75], v[36:37]
	s_add_i32 s35, s37, s9
	v_fma_f64 v[36:37], -v[14:15], v[66:67], v[36:37]
	s_lshl_b32 s35, s35, 3
	v_fma_f64 v[36:37], -v[12:13], v[78:79], v[36:37]
	v_mov_b32_e32 v40, s35
	s_add_i32 s35, s37, s7
	v_fma_f64 v[36:37], -v[18:19], v[86:87], v[36:37]
	s_lshl_b32 s35, s35, 3
	v_fma_f64 v[36:37], -v[16:17], v[90:91], v[36:37]
	v_mov_b32_e32 v44, s35
	ds_read_b64 v[50:51], v42
	v_fma_f64 v[36:37], -v[22:23], v[102:103], v[36:37]
	ds_read2_b64 v[40:43], v40 offset1:1
	ds_read2_b64 v[44:47], v44 offset1:1
	v_fma_f64 v[36:37], -v[20:21], v[106:107], v[36:37]
	v_fma_f64 v[36:37], -v[26:27], v[110:111], v[36:37]
	v_fma_f64 v[36:37], -v[24:25], v[114:115], v[36:37]
	s_add_i32 s35, s37, s12
	v_fma_f64 v[36:37], -v[30:31], v[118:119], v[36:37]
	s_waitcnt lgkmcnt(1)
	v_fma_f64 v[42:43], -v[98:99], v[42:43], v[60:61]
	s_lshl_b32 s35, s35, 3
	v_fma_f64 v[38:39], -v[34:35], v[130:131], v[38:39]
	v_fma_f64 v[36:37], -v[28:29], v[126:127], v[36:37]
	s_waitcnt lgkmcnt(0)
	v_fma_f64 v[42:43], -v[100:101], v[46:47], v[42:43]
	v_mov_b32_e32 v46, s35
	v_fma_f64 v[38:39], -v[32:33], v[134:135], v[38:39]
	v_fma_f64 v[36:37], -v[34:35], v[128:129], v[36:37]
	ds_read2_b64 v[46:49], v46 offset1:1
	v_mul_f64 v[38:39], v[138:139], v[38:39]
	v_fma_f64 v[36:37], -v[32:33], v[132:133], v[36:37]
	s_add_i32 s35, s37, s13
	v_fma_f64 v[36:37], -v[38:39], v[136:137], v[36:37]
	s_lshl_b32 s35, s35, 3
	v_mul_f64 v[36:37], v[50:51], v[36:37]
	v_mov_b32_e32 v50, s35
	ds_read2_b64 v[50:53], v50 offset1:1
	s_add_i32 s35, s37, s14
	s_lshl_b32 s35, s35, 3
	s_waitcnt lgkmcnt(1)
	v_fma_f64 v[42:43], -v[2:3], v[48:49], v[42:43]
	v_mov_b32_e32 v48, s35
	s_add_i32 s35, s37, s15
	s_lshl_b32 s35, s35, 3
	v_mov_b32_e32 v49, s35
	s_add_i32 s35, s37, s17
	global_store_dwordx4 v[96:97], v[36:39], off offset:-168
	s_lshl_b32 s35, s35, 3
	ds_read2_b64 v[54:57], v48 offset1:1
	ds_read2_b64 v[58:61], v49 offset1:1
	v_mov_b32_e32 v48, s35
	s_add_i32 s35, s37, s19
	s_lshl_b32 s35, s35, 3
	v_mov_b32_e32 v49, s35
	s_add_i32 s35, s37, s20
	s_lshl_b32 s35, s35, 3
	ds_read2_b64 v[62:65], v48 offset1:1
	ds_read2_b64 v[66:69], v49 offset1:1
	v_mov_b32_e32 v48, s35
	s_add_i32 s35, s37, s21
	s_lshl_b32 s35, s35, 3
	ds_read2_b64 v[74:77], v48 offset1:1
	v_mov_b32_e32 v48, s35
	s_add_i32 s35, s37, s22
	s_lshl_b32 s35, s35, 3
	ds_read2_b64 v[78:81], v48 offset1:1
	v_mov_b32_e32 v48, s35
	s_add_i32 s35, s37, s24
	s_waitcnt lgkmcnt(6)
	v_fma_f64 v[42:43], -v[0:1], v[52:53], v[42:43]
	s_lshl_b32 s35, s35, 3
	s_waitcnt lgkmcnt(5)
	v_fma_f64 v[42:43], -v[6:7], v[56:57], v[42:43]
	v_mov_b32_e32 v49, s35
	s_add_i32 s35, s37, s23
	s_waitcnt lgkmcnt(4)
	v_fma_f64 v[42:43], -v[4:5], v[60:61], v[42:43]
	s_lshl_b32 s35, s35, 3
	s_waitcnt lgkmcnt(3)
	v_fma_f64 v[42:43], -v[10:11], v[64:65], v[42:43]
	ds_read2_b64 v[86:89], v48 offset1:1
	ds_read2_b64 v[90:93], v49 offset1:1
	v_mov_b32_e32 v48, s35
	s_add_i32 s35, s37, s25
	s_waitcnt lgkmcnt(4)
	v_fma_f64 v[42:43], -v[8:9], v[68:69], v[42:43]
	s_lshl_b32 s35, s35, 3
	s_waitcnt lgkmcnt(3)
	v_fma_f64 v[42:43], -v[14:15], v[76:77], v[42:43]
	v_mov_b32_e32 v49, s35
	ds_read2_b64 v[102:105], v48 offset1:1
	ds_read2_b64 v[106:109], v49 offset1:1
	s_waitcnt lgkmcnt(4)
	v_fma_f64 v[42:43], -v[12:13], v[80:81], v[42:43]
	s_add_i32 s35, s37, s26
	s_waitcnt lgkmcnt(3)
	v_fma_f64 v[42:43], -v[18:19], v[88:89], v[42:43]
	s_lshl_b32 s35, s35, 3
	s_waitcnt lgkmcnt(2)
	v_fma_f64 v[42:43], -v[16:17], v[92:93], v[42:43]
	v_mov_b32_e32 v48, s35
	s_add_i32 s35, s37, s27
	s_waitcnt lgkmcnt(1)
	v_fma_f64 v[42:43], -v[22:23], v[104:105], v[42:43]
	s_lshl_b32 s35, s35, 3
	s_waitcnt lgkmcnt(0)
	v_fma_f64 v[42:43], -v[20:21], v[108:109], v[42:43]
	ds_read2_b64 v[108:111], v48 offset1:1
	v_mov_b32_e32 v48, s35
	s_add_i32 s35, s37, s28
	v_fma_f64 v[40:41], -v[98:99], v[40:41], v[72:73]
	s_lshl_b32 s35, s35, 3
	v_fma_f64 v[40:41], -v[100:101], v[44:45], v[40:41]
	ds_read2_b64 v[112:115], v48 offset1:1
	v_mov_b32_e32 v48, s35
	s_add_i32 s35, s37, s30
	v_fma_f64 v[40:41], -v[2:3], v[46:47], v[40:41]
	s_lshl_b32 s35, s35, 3
	v_fma_f64 v[40:41], -v[0:1], v[50:51], v[40:41]
	v_mov_b32_e32 v49, s35
	s_add_i32 s35, s37, s29
	v_fma_f64 v[40:41], -v[6:7], v[54:55], v[40:41]
	s_lshl_b32 s35, s35, 3
	v_fma_f64 v[40:41], -v[4:5], v[58:59], v[40:41]
	ds_read2_b64 v[116:119], v48 offset1:1
	ds_read2_b64 v[126:129], v49 offset1:1
	v_mov_b32_e32 v48, s35
	s_add_i32 s35, s37, s31
	v_fma_f64 v[40:41], -v[10:11], v[62:63], v[40:41]
	s_lshl_b32 s35, s35, 3
	v_fma_f64 v[40:41], -v[8:9], v[66:67], v[40:41]
	v_mov_b32_e32 v49, s35
	s_add_i32 s35, s37, s33
	v_fma_f64 v[40:41], -v[14:15], v[74:75], v[40:41]
	s_lshl_b32 s35, s35, 3
	s_lshl_b32 s34, s34, 5
	v_fma_f64 v[40:41], -v[12:13], v[78:79], v[40:41]
	s_waitcnt lgkmcnt(3)
	v_fma_f64 v[42:43], -v[26:27], v[110:111], v[42:43]
	ds_read2_b64 v[130:133], v48 offset1:1
	ds_read2_b64 v[134:137], v49 offset1:1
	v_mov_b32_e32 v48, s35
	s_add_i32 s35, s37, s34
	v_fma_f64 v[40:41], -v[18:19], v[86:87], v[40:41]
	s_waitcnt lgkmcnt(4)
	v_fma_f64 v[42:43], -v[24:25], v[114:115], v[42:43]
	s_lshl_b32 s35, s35, 3
	v_fma_f64 v[40:41], -v[16:17], v[90:91], v[40:41]
	s_waitcnt lgkmcnt(3)
	v_fma_f64 v[42:43], -v[30:31], v[118:119], v[42:43]
	ds_read2_b64 v[118:121], v48 offset1:1
	v_mov_b32_e32 v48, s35
	s_add_i32 s35, s9, 0xfffffd40
	v_fma_f64 v[40:41], -v[22:23], v[102:103], v[40:41]
	s_waitcnt lgkmcnt(3)
	v_fma_f64 v[42:43], -v[28:29], v[128:129], v[42:43]
	s_add_i32 s36, s37, s35
	v_fma_f64 v[40:41], -v[20:21], v[106:107], v[40:41]
	s_waitcnt lgkmcnt(2)
	v_fma_f64 v[42:43], -v[34:35], v[132:133], v[42:43]
	s_lshl_b32 s36, s36, 3
	v_fma_f64 v[40:41], -v[26:27], v[108:109], v[40:41]
	s_waitcnt lgkmcnt(1)
	v_fma_f64 v[42:43], -v[32:33], v[136:137], v[42:43]
	ds_read2_b64 v[136:139], v48 offset1:1
	v_mov_b32_e32 v48, s36
	v_fma_f64 v[40:41], -v[24:25], v[112:113], v[40:41]
	ds_read2_b64 v[140:143], v48 offset1:1
	s_add_i32 s36, s8, 0xffffe848
	v_fma_f64 v[40:41], -v[30:31], v[116:117], v[40:41]
	v_mov_b32_e32 v48, s36
	v_fma_f64 v[40:41], -v[28:29], v[126:127], v[40:41]
	ds_read_b64 v[48:49], v48
	v_fma_f64 v[40:41], -v[34:35], v[130:131], v[40:41]
	s_sub_i32 s36, s6, 25
	s_waitcnt lgkmcnt(3)
	v_fma_f64 v[42:43], -v[38:39], v[120:121], v[42:43]
	v_fma_f64 v[40:41], -v[32:33], v[134:135], v[40:41]
	s_add_i32 s38, s36, s9
	s_waitcnt lgkmcnt(2)
	v_fma_f64 v[42:43], -v[36:37], v[138:139], v[42:43]
	v_fma_f64 v[40:41], -v[38:39], v[118:119], v[40:41]
	s_lshl_b32 s38, s38, 3
	s_waitcnt lgkmcnt(1)
	v_mul_f64 v[42:43], v[142:143], v[42:43]
	v_fma_f64 v[40:41], -v[36:37], v[136:137], v[40:41]
	v_mov_b32_e32 v44, s38
	s_add_i32 s38, s36, s7
	v_fma_f64 v[40:41], -v[42:43], v[140:141], v[40:41]
	s_lshl_b32 s38, s38, 3
	s_waitcnt lgkmcnt(0)
	v_mul_f64 v[40:41], v[48:49], v[40:41]
	v_mov_b32_e32 v48, s38
	s_add_i32 s38, s36, s12
	s_lshl_b32 s38, s38, 3
	v_mov_b32_e32 v52, s38
	s_add_i32 s38, s36, s13
	ds_read2_b64 v[44:47], v44 offset1:1
	ds_read2_b64 v[48:51], v48 offset1:1
	s_lshl_b32 s38, s38, 3
	v_mov_b32_e32 v56, s38
	ds_read2_b64 v[52:55], v52 offset1:1
	ds_read2_b64 v[56:59], v56 offset1:1
	s_add_i32 s38, s36, s14
	s_waitcnt lgkmcnt(3)
	v_fma_f64 v[46:47], -v[98:99], v[46:47], v[70:71]
	s_lshl_b32 s38, s38, 3
	s_waitcnt lgkmcnt(2)
	v_fma_f64 v[46:47], -v[100:101], v[50:51], v[46:47]
	v_mov_b32_e32 v50, s38
	s_add_i32 s38, s36, s15
	s_waitcnt lgkmcnt(1)
	v_fma_f64 v[46:47], -v[2:3], v[54:55], v[46:47]
	s_lshl_b32 s38, s38, 3
	s_waitcnt lgkmcnt(0)
	v_fma_f64 v[46:47], -v[0:1], v[58:59], v[46:47]
	ds_read2_b64 v[58:61], v50 offset1:1
	v_mov_b32_e32 v50, s38
	s_add_i32 s38, s36, s17
	s_lshl_b32 s38, s38, 3
	ds_read2_b64 v[62:65], v50 offset1:1
	v_mov_b32_e32 v50, s38
	s_add_i32 s38, s36, s19
	s_lshl_b32 s38, s38, 3
	v_mov_b32_e32 v51, s38
	s_add_i32 s38, s36, s20
	global_store_dwordx4 v[96:97], v[40:43], off offset:-184
	s_lshl_b32 s38, s38, 3
	ds_read2_b64 v[66:69], v50 offset1:1
	ds_read2_b64 v[70:73], v51 offset1:1
	v_mov_b32_e32 v50, s38
	s_add_i32 s38, s36, s21
	s_lshl_b32 s38, s38, 3
	v_mov_b32_e32 v51, s38
	s_add_i32 s38, s36, s22
	s_lshl_b32 s38, s38, 3
	ds_read2_b64 v[74:77], v50 offset1:1
	ds_read2_b64 v[78:81], v51 offset1:1
	v_mov_b32_e32 v50, s38
	s_add_i32 s38, s36, s24
	s_lshl_b32 s38, s38, 3
	ds_read2_b64 v[86:89], v50 offset1:1
	v_mov_b32_e32 v50, s38
	s_add_i32 s38, s36, s23
	s_lshl_b32 s38, s38, 3
	s_waitcnt lgkmcnt(6)
	v_fma_f64 v[46:47], -v[6:7], v[60:61], v[46:47]
	ds_read2_b64 v[90:93], v50 offset1:1
	v_mov_b32_e32 v50, s38
	s_add_i32 s38, s36, s25
	s_waitcnt lgkmcnt(6)
	v_fma_f64 v[46:47], -v[4:5], v[64:65], v[46:47]
	s_lshl_b32 s38, s38, 3
	s_waitcnt lgkmcnt(5)
	v_fma_f64 v[46:47], -v[10:11], v[68:69], v[46:47]
	v_mov_b32_e32 v51, s38
	s_add_i32 s38, s36, s26
	s_waitcnt lgkmcnt(4)
	v_fma_f64 v[46:47], -v[8:9], v[72:73], v[46:47]
	s_lshl_b32 s38, s38, 3
	s_waitcnt lgkmcnt(3)
	v_fma_f64 v[46:47], -v[14:15], v[76:77], v[46:47]
	ds_read2_b64 v[102:105], v50 offset1:1
	ds_read2_b64 v[106:109], v51 offset1:1
	v_mov_b32_e32 v50, s38
	s_add_i32 s38, s36, s27
	s_waitcnt lgkmcnt(4)
	v_fma_f64 v[46:47], -v[12:13], v[80:81], v[46:47]
	s_lshl_b32 s38, s38, 3
	s_waitcnt lgkmcnt(3)
	v_fma_f64 v[46:47], -v[18:19], v[88:89], v[46:47]
	v_mov_b32_e32 v51, s38
	ds_read2_b64 v[110:113], v50 offset1:1
	ds_read2_b64 v[114:117], v51 offset1:1
	s_waitcnt lgkmcnt(4)
	v_fma_f64 v[46:47], -v[16:17], v[92:93], v[46:47]
	s_add_i32 s38, s36, s28
	s_waitcnt lgkmcnt(3)
	v_fma_f64 v[46:47], -v[22:23], v[104:105], v[46:47]
	s_lshl_b32 s38, s38, 3
	s_waitcnt lgkmcnt(2)
	v_fma_f64 v[46:47], -v[20:21], v[108:109], v[46:47]
	v_mov_b32_e32 v50, s38
	s_add_i32 s38, s36, s30
	s_waitcnt lgkmcnt(1)
	v_fma_f64 v[46:47], -v[26:27], v[112:113], v[46:47]
	s_lshl_b32 s38, s38, 3
	v_fma_f64 v[44:45], -v[98:99], v[44:45], v[84:85]
	s_waitcnt lgkmcnt(0)
	v_fma_f64 v[46:47], -v[24:25], v[116:117], v[46:47]
	ds_read2_b64 v[116:119], v50 offset1:1
	v_mov_b32_e32 v50, s38
	s_add_i32 s38, s36, s29
	v_fma_f64 v[44:45], -v[100:101], v[48:49], v[44:45]
	s_lshl_b32 s38, s38, 3
	v_fma_f64 v[44:45], -v[2:3], v[52:53], v[44:45]
	ds_read2_b64 v[126:129], v50 offset1:1
	v_mov_b32_e32 v50, s38
	s_add_i32 s38, s36, s31
	v_fma_f64 v[44:45], -v[0:1], v[56:57], v[44:45]
	s_lshl_b32 s38, s38, 3
	v_fma_f64 v[44:45], -v[6:7], v[58:59], v[44:45]
	v_mov_b32_e32 v51, s38
	s_add_i32 s38, s36, s33
	v_fma_f64 v[44:45], -v[4:5], v[62:63], v[44:45]
	s_lshl_b32 s38, s38, 3
	v_fma_f64 v[44:45], -v[10:11], v[66:67], v[44:45]
	s_waitcnt lgkmcnt(1)
	v_fma_f64 v[46:47], -v[30:31], v[118:119], v[46:47]
	ds_read2_b64 v[118:121], v50 offset1:1
	ds_read2_b64 v[130:133], v51 offset1:1
	v_mov_b32_e32 v50, s38
	s_add_i32 s38, s36, s34
	v_fma_f64 v[44:45], -v[8:9], v[70:71], v[44:45]
	s_lshl_b32 s38, s38, 3
	v_fma_f64 v[44:45], -v[14:15], v[74:75], v[44:45]
	v_mov_b32_e32 v51, s38
	ds_read2_b64 v[134:137], v50 offset1:1
	ds_read2_b64 v[138:141], v51 offset1:1
	s_add_i32 s38, s36, s35
	v_fma_f64 v[44:45], -v[12:13], v[78:79], v[44:45]
	s_waitcnt lgkmcnt(4)
	v_fma_f64 v[46:47], -v[28:29], v[128:129], v[46:47]
	s_lshl_b32 s38, s38, 3
	v_fma_f64 v[44:45], -v[18:19], v[86:87], v[44:45]
	s_waitcnt lgkmcnt(3)
	v_fma_f64 v[46:47], -v[34:35], v[120:121], v[46:47]
	v_mov_b32_e32 v50, s38
	s_lshl_b32 s38, s37, 5
	v_fma_f64 v[44:45], -v[16:17], v[90:91], v[44:45]
	s_waitcnt lgkmcnt(2)
	v_fma_f64 v[46:47], -v[32:33], v[132:133], v[46:47]
	s_add_i32 s37, s36, s38
	v_fma_f64 v[44:45], -v[22:23], v[102:103], v[44:45]
	s_waitcnt lgkmcnt(1)
	v_fma_f64 v[46:47], -v[38:39], v[136:137], v[46:47]
	s_lshl_b32 s37, s37, 3
	v_fma_f64 v[44:45], -v[20:21], v[106:107], v[44:45]
	s_waitcnt lgkmcnt(0)
	v_fma_f64 v[46:47], -v[36:37], v[140:141], v[46:47]
	ds_read2_b64 v[140:143], v50 offset1:1
	v_mov_b32_e32 v50, s37
	s_add_i32 s37, s9, 0xfffffd00
	v_fma_f64 v[44:45], -v[26:27], v[110:111], v[44:45]
	s_add_i32 s39, s36, s37
	v_fma_f64 v[44:45], -v[24:25], v[114:115], v[44:45]
	s_lshl_b32 s39, s39, 3
	v_fma_f64 v[44:45], -v[30:31], v[116:117], v[44:45]
	ds_read2_b64 v[144:147], v50 offset1:1
	v_mov_b32_e32 v50, s39
	s_add_i32 s39, s8, 0xffffe638
	v_fma_f64 v[44:45], -v[28:29], v[126:127], v[44:45]
	ds_read2_b64 v[148:151], v50 offset1:1
	v_mov_b32_e32 v50, s39
	v_fma_f64 v[44:45], -v[34:35], v[118:119], v[44:45]
	s_sub_i32 s39, s6, 27
	v_fma_f64 v[44:45], -v[32:33], v[130:131], v[44:45]
	s_add_i32 s7, s39, s7
	ds_read_b64 v[50:51], v50
	v_fma_f64 v[44:45], -v[38:39], v[134:135], v[44:45]
	s_lshl_b32 s7, s7, 3
	s_waitcnt lgkmcnt(3)
	v_fma_f64 v[46:47], -v[42:43], v[142:143], v[46:47]
	v_fma_f64 v[44:45], -v[36:37], v[138:139], v[44:45]
	v_mov_b32_e32 v52, s7
	s_add_i32 s7, s39, s12
	s_waitcnt lgkmcnt(2)
	v_fma_f64 v[46:47], -v[40:41], v[146:147], v[46:47]
	v_fma_f64 v[44:45], -v[42:43], v[140:141], v[44:45]
	s_add_i32 s9, s39, s9
	s_lshl_b32 s7, s7, 3
	s_waitcnt lgkmcnt(1)
	v_mul_f64 v[46:47], v[150:151], v[46:47]
	v_fma_f64 v[44:45], -v[40:41], v[144:145], v[44:45]
	s_lshl_b32 s9, s9, 3
	v_mov_b32_e32 v56, s7
	s_add_i32 s7, s39, s13
	v_fma_f64 v[44:45], -v[46:47], v[148:149], v[44:45]
	v_mov_b32_e32 v48, s9
	s_lshl_b32 s7, s7, 3
	s_waitcnt lgkmcnt(0)
	v_mul_f64 v[44:45], v[50:51], v[44:45]
	ds_read2_b64 v[48:51], v48 offset1:1
	ds_read2_b64 v[52:55], v52 offset1:1
	v_mov_b32_e32 v60, s7
	s_add_i32 s7, s39, s14
	s_lshl_b32 s7, s7, 3
	global_store_dwordx4 v[96:97], v[44:47], off offset:-200
	v_mov_b32_e32 v64, s7
	s_add_i32 s7, s39, s15
	ds_read2_b64 v[56:59], v56 offset1:1
	ds_read2_b64 v[60:63], v60 offset1:1
	s_lshl_b32 s7, s7, 3
	v_mov_b32_e32 v68, s7
	s_waitcnt lgkmcnt(3)
	v_fma_f64 v[50:51], -v[98:99], v[50:51], v[82:83]
	ds_read2_b64 v[64:67], v64 offset1:1
	ds_read2_b64 v[68:71], v68 offset1:1
	s_waitcnt lgkmcnt(4)
	v_fma_f64 v[50:51], -v[100:101], v[54:55], v[50:51]
	s_add_i32 s7, s39, s17
	s_waitcnt lgkmcnt(3)
	v_fma_f64 v[50:51], -v[2:3], v[58:59], v[50:51]
	s_lshl_b32 s7, s7, 3
	s_waitcnt lgkmcnt(2)
	v_fma_f64 v[50:51], -v[0:1], v[62:63], v[50:51]
	v_mov_b32_e32 v54, s7
	s_add_i32 s7, s39, s19
	s_waitcnt lgkmcnt(1)
	v_fma_f64 v[50:51], -v[6:7], v[66:67], v[50:51]
	s_lshl_b32 s7, s7, 3
	s_waitcnt lgkmcnt(0)
	v_fma_f64 v[50:51], -v[4:5], v[70:71], v[50:51]
	ds_read2_b64 v[70:73], v54 offset1:1
	v_mov_b32_e32 v54, s7
	s_add_i32 s7, s39, s20
	s_lshl_b32 s7, s7, 3
	ds_read2_b64 v[74:77], v54 offset1:1
	v_mov_b32_e32 v54, s7
	s_add_i32 s7, s39, s21
	s_lshl_b32 s7, s7, 3
	v_mov_b32_e32 v55, s7
	s_add_i32 s7, s39, s22
	s_lshl_b32 s7, s7, 3
	ds_read2_b64 v[78:81], v54 offset1:1
	ds_read2_b64 v[82:85], v55 offset1:1
	v_mov_b32_e32 v54, s7
	s_add_i32 s7, s39, s24
	s_lshl_b32 s7, s7, 3
	v_mov_b32_e32 v55, s7
	s_add_i32 s7, s39, s23
	s_lshl_b32 s7, s7, 3
	ds_read2_b64 v[86:89], v54 offset1:1
	ds_read2_b64 v[90:93], v55 offset1:1
	v_mov_b32_e32 v54, s7
	s_add_i32 s7, s39, s25
	s_lshl_b32 s7, s7, 3
	ds_read2_b64 v[102:105], v54 offset1:1
	v_mov_b32_e32 v54, s7
	s_add_i32 s7, s39, s26
	s_lshl_b32 s7, s7, 3
	s_waitcnt lgkmcnt(6)
	v_fma_f64 v[50:51], -v[10:11], v[72:73], v[50:51]
	ds_read2_b64 v[106:109], v54 offset1:1
	v_mov_b32_e32 v54, s7
	s_add_i32 s7, s39, s27
	s_waitcnt lgkmcnt(6)
	v_fma_f64 v[50:51], -v[8:9], v[76:77], v[50:51]
	s_lshl_b32 s7, s7, 3
	s_waitcnt lgkmcnt(5)
	v_fma_f64 v[50:51], -v[14:15], v[80:81], v[50:51]
	v_mov_b32_e32 v55, s7
	s_add_i32 s7, s39, s28
	s_waitcnt lgkmcnt(4)
	v_fma_f64 v[50:51], -v[12:13], v[84:85], v[50:51]
	s_lshl_b32 s7, s7, 3
	s_waitcnt lgkmcnt(3)
	v_fma_f64 v[50:51], -v[18:19], v[88:89], v[50:51]
	ds_read2_b64 v[110:113], v54 offset1:1
	ds_read2_b64 v[114:117], v55 offset1:1
	v_mov_b32_e32 v54, s7
	s_add_i32 s7, s39, s30
	s_waitcnt lgkmcnt(4)
	v_fma_f64 v[50:51], -v[16:17], v[92:93], v[50:51]
	s_lshl_b32 s7, s7, 3
	s_waitcnt lgkmcnt(3)
	v_fma_f64 v[50:51], -v[22:23], v[104:105], v[50:51]
	v_mov_b32_e32 v55, s7
	ds_read2_b64 v[118:121], v54 offset1:1
	ds_read2_b64 v[126:129], v55 offset1:1
	v_fma_f64 v[48:49], -v[98:99], v[48:49], v[94:95]
	s_waitcnt lgkmcnt(4)
	v_fma_f64 v[50:51], -v[20:21], v[108:109], v[50:51]
	s_add_i32 s7, s39, s29
	v_fma_f64 v[48:49], -v[100:101], v[52:53], v[48:49]
	s_waitcnt lgkmcnt(3)
	v_fma_f64 v[50:51], -v[26:27], v[112:113], v[50:51]
	s_lshl_b32 s7, s7, 3
	v_fma_f64 v[2:3], -v[2:3], v[56:57], v[48:49]
	s_waitcnt lgkmcnt(2)
	v_fma_f64 v[50:51], -v[24:25], v[116:117], v[50:51]
	v_mov_b32_e32 v54, s7
	s_add_i32 s7, s39, s31
	v_fma_f64 v[0:1], -v[0:1], v[60:61], v[2:3]
	s_waitcnt lgkmcnt(1)
	v_fma_f64 v[50:51], -v[30:31], v[120:121], v[50:51]
	s_lshl_b32 s7, s7, 3
	v_fma_f64 v[0:1], -v[6:7], v[64:65], v[0:1]
	s_waitcnt lgkmcnt(0)
	v_fma_f64 v[50:51], -v[28:29], v[128:129], v[50:51]
	ds_read2_b64 v[128:131], v54 offset1:1
	v_mov_b32_e32 v54, s7
	s_add_i32 s7, s39, s33
	v_fma_f64 v[0:1], -v[4:5], v[68:69], v[0:1]
	s_lshl_b32 s7, s7, 3
	v_fma_f64 v[0:1], -v[10:11], v[70:71], v[0:1]
	ds_read2_b64 v[132:135], v54 offset1:1
	v_mov_b32_e32 v54, s7
	s_add_i32 s7, s39, s34
	v_fma_f64 v[0:1], -v[8:9], v[74:75], v[0:1]
	s_lshl_b32 s7, s7, 3
	v_fma_f64 v[0:1], -v[14:15], v[78:79], v[0:1]
	v_mov_b32_e32 v55, s7
	s_add_i32 s7, s39, s35
	v_fma_f64 v[0:1], -v[12:13], v[82:83], v[0:1]
	s_lshl_b32 s7, s7, 3
	v_fma_f64 v[0:1], -v[18:19], v[86:87], v[0:1]
	ds_read2_b64 v[136:139], v54 offset1:1
	ds_read2_b64 v[140:143], v55 offset1:1
	v_mov_b32_e32 v54, s7
	s_add_i32 s7, s39, s38
	v_fma_f64 v[0:1], -v[16:17], v[90:91], v[0:1]
	s_lshl_b32 s7, s7, 3
	v_fma_f64 v[0:1], -v[22:23], v[102:103], v[0:1]
	s_waitcnt lgkmcnt(3)
	v_fma_f64 v[50:51], -v[34:35], v[130:131], v[50:51]
	v_mov_b32_e32 v55, s7
	ds_read2_b64 v[144:147], v54 offset1:1
	ds_read2_b64 v[148:151], v55 offset1:1
	s_add_i32 s7, s39, s37
	v_fma_f64 v[0:1], -v[20:21], v[106:107], v[0:1]
	s_waitcnt lgkmcnt(4)
	v_fma_f64 v[50:51], -v[32:33], v[134:135], v[50:51]
	s_lshl_b32 s7, s7, 3
	v_fma_f64 v[0:1], -v[26:27], v[110:111], v[0:1]
	s_waitcnt lgkmcnt(3)
	v_fma_f64 v[50:51], -v[38:39], v[138:139], v[50:51]
	v_mov_b32_e32 v54, s7
	s_lshl_b32 s7, s36, 5
	v_fma_f64 v[0:1], -v[24:25], v[114:115], v[0:1]
	s_waitcnt lgkmcnt(2)
	v_fma_f64 v[50:51], -v[36:37], v[142:143], v[50:51]
	s_add_i32 s39, s39, s7
	v_fma_f64 v[0:1], -v[30:31], v[118:119], v[0:1]
	s_waitcnt lgkmcnt(1)
	v_fma_f64 v[50:51], -v[42:43], v[146:147], v[50:51]
	s_lshl_b32 s7, s39, 3
	v_fma_f64 v[0:1], -v[28:29], v[126:127], v[0:1]
	s_waitcnt lgkmcnt(0)
	v_fma_f64 v[50:51], -v[40:41], v[150:151], v[50:51]
	ds_read2_b64 v[150:153], v54 offset1:1
	v_mov_b32_e32 v54, s7
	s_add_i32 s7, s9, 0xffffe600
	v_fma_f64 v[0:1], -v[34:35], v[128:129], v[0:1]
	ds_read2_b64 v[154:157], v54 offset1:1
	v_mov_b32_e32 v54, s7
	v_fma_f64 v[0:1], -v[32:33], v[132:133], v[0:1]
	ds_read2_b64 v[158:161], v54 offset1:1
	s_add_i32 s7, s8, 0xffffe428
	v_fma_f64 v[0:1], -v[38:39], v[136:137], v[0:1]
	v_mov_b32_e32 v54, s7
	v_fma_f64 v[0:1], -v[36:37], v[140:141], v[0:1]
	ds_read_b64 v[54:55], v54
	v_fma_f64 v[0:1], -v[42:43], v[144:145], v[0:1]
	s_waitcnt lgkmcnt(3)
	v_fma_f64 v[50:51], -v[46:47], v[152:153], v[50:51]
	v_fma_f64 v[0:1], -v[40:41], v[148:149], v[0:1]
	s_waitcnt lgkmcnt(2)
	v_fma_f64 v[50:51], -v[44:45], v[156:157], v[50:51]
	v_fma_f64 v[0:1], -v[46:47], v[150:151], v[0:1]
	s_waitcnt lgkmcnt(1)
	v_mul_f64 v[50:51], v[160:161], v[50:51]
	v_fma_f64 v[0:1], -v[44:45], v[154:155], v[0:1]
	v_fma_f64 v[0:1], -v[50:51], v[158:159], v[0:1]
	s_waitcnt lgkmcnt(0)
	v_mul_f64 v[48:49], v[54:55], v[0:1]
	s_sub_i32 s6, s6, 28
	global_store_dwordx4 v[96:97], v[48:51], off offset:-216
.LBB103_44:
	s_cmp_lt_i32 s6, 0
	s_cbranch_scc1 .LBB103_61
; %bb.45:
	s_add_i32 s7, s6, 1
	s_and_b32 s7, s7, 3
	s_cmp_eq_u32 s7, 0
	s_mov_b32 s8, s6
	s_cbranch_scc1 .LBB103_50
; %bb.46:
	s_lshl_b32 s8, s16, 8
	s_lshl_b32 s9, s6, 3
	s_add_i32 s8, s8, s9
	s_ashr_i32 s19, s18, 31
	s_add_i32 s12, s8, 0xffffff00
	s_lshl_b64 s[8:9], s[18:19], 3
	s_add_u32 s8, s10, s8
	s_addc_u32 s9, s11, s9
	s_add_u32 s8, s8, s4
	s_addc_u32 s9, s9, s5
	;; [unrolled: 2-line block ×3, first 2 shown]
	v_mov_b32_e32 v1, s9
	v_add_co_u32_e32 v0, vcc, s8, v124
	s_mov_b32 s9, 0
	v_addc_co_u32_e32 v1, vcc, v1, v125, vcc
	s_mov_b32 s8, s6
	s_mov_b32 s13, s9
	s_branch .LBB103_48
.LBB103_47:                             ;   in Loop: Header=BB103_48 Depth=1
	s_mul_i32 s14, s8, 0x108
	v_mov_b32_e32 v4, s14
	ds_read_b64 v[4:5], v4
	s_ashr_i32 s15, s8, 31
	s_mov_b32 s14, s8
	s_lshl_b64 s[14:15], s[14:15], 3
	v_mov_b32_e32 v6, s15
	s_waitcnt lgkmcnt(0)
	v_mul_f64 v[2:3], v[4:5], v[2:3]
	v_add_co_u32_e32 v4, vcc, s14, v122
	s_add_i32 s8, s8, -1
	s_add_i32 s13, s13, 1
	s_add_i32 s12, s12, -8
	v_addc_co_u32_e32 v5, vcc, v123, v6, vcc
	s_cmp_lg_u32 s13, s7
	global_store_dwordx2 v[4:5], v[2:3], off
	s_cbranch_scc0 .LBB103_50
.LBB103_48:                             ; =>This Loop Header: Depth=1
                                        ;     Child Loop BB103_49 Depth 2
	s_lshl_b64 s[14:15], s[8:9], 3
	v_mov_b32_e32 v3, s15
	v_add_co_u32_e32 v2, vcc, s14, v122
	v_addc_co_u32_e32 v3, vcc, v123, v3, vcc
	global_load_dwordx2 v[2:3], v[2:3], off
	v_pk_mov_b32 v[4:5], v[0:1], v[0:1] op_sel:[0,1]
	s_mov_b32 s14, s12
	s_cmp_le_i32 s18, s8
	s_mov_b32 s15, s18
	s_waitcnt vmcnt(0)
	v_mul_f64 v[2:3], v[2:3], s[0:1]
	s_cbranch_scc1 .LBB103_47
.LBB103_49:                             ;   Parent Loop BB103_48 Depth=1
                                        ; =>  This Inner Loop Header: Depth=2
	global_load_dwordx2 v[6:7], v[4:5], off
	v_mov_b32_e32 v8, s14
	ds_read_b64 v[8:9], v8
	s_add_i32 s15, s15, -1
	s_addk_i32 s14, 0xff00
	v_add_co_u32_e32 v4, vcc, -8, v4
	v_addc_co_u32_e32 v5, vcc, -1, v5, vcc
	s_cmp_gt_i32 s15, s8
	s_waitcnt vmcnt(0) lgkmcnt(0)
	v_fma_f64 v[2:3], -v[6:7], v[8:9], v[2:3]
	s_cbranch_scc1 .LBB103_49
	s_branch .LBB103_47
.LBB103_50:
	s_cmp_lt_u32 s6, 3
	s_cbranch_scc1 .LBB103_61
; %bb.51:
	s_lshl_b32 s6, s16, 8
	s_lshl_b32 s7, s8, 3
	s_add_i32 s7, s6, s7
	s_ashr_i32 s19, s18, 31
	s_add_i32 s6, s7, 0xffffff00
	s_lshl_b64 s[12:13], s[18:19], 3
	s_add_u32 s9, s10, s12
	s_addc_u32 s10, s11, s13
	s_add_u32 s4, s9, s4
	s_addc_u32 s5, s10, s5
	;; [unrolled: 2-line block ×3, first 2 shown]
	v_mov_b32_e32 v1, s3
	v_add_co_u32_e32 v0, vcc, s2, v124
	v_addc_co_u32_e32 v1, vcc, v1, v125, vcc
	s_add_i32 s4, s7, 0xfffffef8
	s_add_i32 s5, s7, 0xfffffef0
	s_addk_i32 s7, 0xfee8
	s_mov_b32 s9, 0
	s_branch .LBB103_53
.LBB103_52:                             ;   in Loop: Header=BB103_53 Depth=1
	s_add_i32 s2, s3, 0xfffffef8
	v_mov_b32_e32 v6, s2
	ds_read_b64 v[6:7], v6
	s_add_i32 s2, s8, -4
	s_sub_i32 s6, s6, 32
	s_sub_i32 s4, s4, 32
	;; [unrolled: 1-line block ×4, first 2 shown]
	s_waitcnt lgkmcnt(0)
	v_mul_f64 v[4:5], v[6:7], v[4:5]
	s_cmp_lt_i32 s8, 4
	s_mov_b32 s8, s2
	global_store_dwordx2 v[2:3], v[4:5], off offset:-24
	s_cbranch_scc1 .LBB103_61
.LBB103_53:                             ; =>This Loop Header: Depth=1
                                        ;     Child Loop BB103_54 Depth 2
                                        ;     Child Loop BB103_56 Depth 2
	;; [unrolled: 1-line block ×4, first 2 shown]
	s_lshl_b64 s[2:3], s[8:9], 3
	v_mov_b32_e32 v3, s3
	v_add_co_u32_e32 v2, vcc, s2, v122
	v_addc_co_u32_e32 v3, vcc, v123, v3, vcc
	global_load_dwordx2 v[4:5], v[2:3], off
	v_pk_mov_b32 v[2:3], v[0:1], v[0:1] op_sel:[0,1]
	s_mov_b32 s2, s6
	s_cmp_le_i32 s18, s8
	s_mov_b32 s3, s18
	s_waitcnt vmcnt(0)
	v_mul_f64 v[4:5], v[4:5], s[0:1]
	s_cbranch_scc1 .LBB103_55
.LBB103_54:                             ;   Parent Loop BB103_53 Depth=1
                                        ; =>  This Inner Loop Header: Depth=2
	global_load_dwordx2 v[6:7], v[2:3], off
	v_mov_b32_e32 v8, s2
	ds_read_b64 v[8:9], v8
	s_add_i32 s3, s3, -1
	s_addk_i32 s2, 0xff00
	v_add_co_u32_e32 v2, vcc, -8, v2
	v_addc_co_u32_e32 v3, vcc, -1, v3, vcc
	s_cmp_gt_i32 s3, s8
	s_waitcnt vmcnt(0) lgkmcnt(0)
	v_fma_f64 v[4:5], -v[6:7], v[8:9], v[4:5]
	s_cbranch_scc1 .LBB103_54
.LBB103_55:                             ;   in Loop: Header=BB103_53 Depth=1
	s_add_i32 s2, s8, -1
	s_mov_b32 s3, s9
	s_lshl_b64 s[2:3], s[2:3], 3
	v_mov_b32_e32 v3, s3
	v_add_co_u32_e32 v2, vcc, s2, v122
	v_addc_co_u32_e32 v3, vcc, v123, v3, vcc
	global_load_dwordx2 v[8:9], v[2:3], off
	s_mul_i32 s10, s8, 0x108
	v_mov_b32_e32 v2, s10
	ds_read_b64 v[10:11], v2
	s_ashr_i32 s13, s8, 31
	s_mov_b32 s12, s8
	s_lshl_b64 s[12:13], s[12:13], 3
	v_mov_b32_e32 v3, s13
	v_add_co_u32_e32 v2, vcc, s12, v122
	v_addc_co_u32_e32 v3, vcc, v123, v3, vcc
	s_waitcnt lgkmcnt(0)
	v_mul_f64 v[4:5], v[10:11], v[4:5]
	v_pk_mov_b32 v[6:7], v[0:1], v[0:1] op_sel:[0,1]
	s_mov_b32 s2, s4
	s_cmp_lt_i32 s18, s8
	global_store_dwordx2 v[2:3], v[4:5], off
	s_mov_b32 s3, s16
	s_waitcnt vmcnt(1)
	v_mul_f64 v[4:5], v[8:9], s[0:1]
	s_cbranch_scc1 .LBB103_57
.LBB103_56:                             ;   Parent Loop BB103_53 Depth=1
                                        ; =>  This Inner Loop Header: Depth=2
	global_load_dwordx2 v[8:9], v[6:7], off
	v_mov_b32_e32 v10, s2
	ds_read_b64 v[10:11], v10
	s_add_i32 s3, s3, -1
	s_addk_i32 s2, 0xff00
	v_add_co_u32_e32 v6, vcc, -8, v6
	v_addc_co_u32_e32 v7, vcc, -1, v7, vcc
	s_cmp_gt_i32 s3, s8
	s_waitcnt vmcnt(0) lgkmcnt(0)
	v_fma_f64 v[4:5], -v[8:9], v[10:11], v[4:5]
	s_cbranch_scc1 .LBB103_56
.LBB103_57:                             ;   in Loop: Header=BB103_53 Depth=1
	s_add_i32 s2, s8, -2
	s_mov_b32 s3, s9
	s_lshl_b64 s[12:13], s[2:3], 3
	v_mov_b32_e32 v7, s13
	v_add_co_u32_e32 v6, vcc, s12, v122
	v_addc_co_u32_e32 v7, vcc, v123, v7, vcc
	global_load_dwordx2 v[8:9], v[6:7], off
	s_addk_i32 s10, 0xfef8
	v_mov_b32_e32 v6, s10
	ds_read_b64 v[10:11], v6
	v_pk_mov_b32 v[6:7], v[0:1], v[0:1] op_sel:[0,1]
	s_mov_b32 s3, s5
	s_cmp_le_i32 s18, s2
	s_mov_b32 s11, s18
	s_waitcnt lgkmcnt(0)
	v_mul_f64 v[4:5], v[10:11], v[4:5]
	global_store_dwordx2 v[2:3], v[4:5], off offset:-8
	s_waitcnt vmcnt(1)
	v_mul_f64 v[4:5], v[8:9], s[0:1]
	s_cbranch_scc1 .LBB103_59
.LBB103_58:                             ;   Parent Loop BB103_53 Depth=1
                                        ; =>  This Inner Loop Header: Depth=2
	global_load_dwordx2 v[8:9], v[6:7], off
	v_mov_b32_e32 v10, s3
	ds_read_b64 v[10:11], v10
	s_add_i32 s11, s11, -1
	s_addk_i32 s3, 0xff00
	v_add_co_u32_e32 v6, vcc, -8, v6
	v_addc_co_u32_e32 v7, vcc, -1, v7, vcc
	s_cmp_gt_i32 s11, s2
	s_waitcnt vmcnt(0) lgkmcnt(0)
	v_fma_f64 v[4:5], -v[8:9], v[10:11], v[4:5]
	s_cbranch_scc1 .LBB103_58
.LBB103_59:                             ;   in Loop: Header=BB103_53 Depth=1
	s_add_i32 s2, s8, -3
	s_mov_b32 s3, s9
	s_lshl_b64 s[12:13], s[2:3], 3
	v_mov_b32_e32 v7, s13
	v_add_co_u32_e32 v6, vcc, s12, v122
	v_addc_co_u32_e32 v7, vcc, v123, v7, vcc
	global_load_dwordx2 v[8:9], v[6:7], off
	s_add_i32 s3, s10, 0xfffffef8
	v_mov_b32_e32 v6, s3
	ds_read_b64 v[10:11], v6
	v_pk_mov_b32 v[6:7], v[0:1], v[0:1] op_sel:[0,1]
	s_mov_b32 s10, s7
	s_cmp_le_i32 s18, s2
	s_mov_b32 s11, s18
	s_waitcnt lgkmcnt(0)
	v_mul_f64 v[4:5], v[10:11], v[4:5]
	global_store_dwordx2 v[2:3], v[4:5], off offset:-16
	s_waitcnt vmcnt(1)
	v_mul_f64 v[4:5], v[8:9], s[0:1]
	s_cbranch_scc1 .LBB103_52
.LBB103_60:                             ;   Parent Loop BB103_53 Depth=1
                                        ; =>  This Inner Loop Header: Depth=2
	global_load_dwordx2 v[8:9], v[6:7], off
	v_mov_b32_e32 v10, s10
	ds_read_b64 v[10:11], v10
	s_add_i32 s11, s11, -1
	s_addk_i32 s10, 0xff00
	v_add_co_u32_e32 v6, vcc, -8, v6
	v_addc_co_u32_e32 v7, vcc, -1, v7, vcc
	s_cmp_gt_i32 s11, s2
	s_waitcnt vmcnt(0) lgkmcnt(0)
	v_fma_f64 v[4:5], -v[8:9], v[10:11], v[4:5]
	s_cbranch_scc1 .LBB103_60
	s_branch .LBB103_52
.LBB103_61:
	s_endpgm
	.section	.rodata,"a",@progbits
	.p2align	6, 0x0
	.amdhsa_kernel _ZL30rocblas_trsm_small_left_deviceILi32ELi32ELb0EddPKdPdEv13rocblas_fill_18rocblas_operation_17rocblas_diagonal_iiT3_T4_lilT5_lili
		.amdhsa_group_segment_fixed_size 8192
		.amdhsa_private_segment_fixed_size 0
		.amdhsa_kernarg_size 360
		.amdhsa_user_sgpr_count 6
		.amdhsa_user_sgpr_private_segment_buffer 1
		.amdhsa_user_sgpr_dispatch_ptr 0
		.amdhsa_user_sgpr_queue_ptr 0
		.amdhsa_user_sgpr_kernarg_segment_ptr 1
		.amdhsa_user_sgpr_dispatch_id 0
		.amdhsa_user_sgpr_flat_scratch_init 0
		.amdhsa_user_sgpr_kernarg_preload_length 0
		.amdhsa_user_sgpr_kernarg_preload_offset 0
		.amdhsa_user_sgpr_private_segment_size 0
		.amdhsa_uses_dynamic_stack 0
		.amdhsa_system_sgpr_private_segment_wavefront_offset 0
		.amdhsa_system_sgpr_workgroup_id_x 1
		.amdhsa_system_sgpr_workgroup_id_y 0
		.amdhsa_system_sgpr_workgroup_id_z 1
		.amdhsa_system_sgpr_workgroup_info 0
		.amdhsa_system_vgpr_workitem_id 0
		.amdhsa_next_free_vgpr 184
		.amdhsa_next_free_sgpr 44
		.amdhsa_accum_offset 184
		.amdhsa_reserve_vcc 1
		.amdhsa_reserve_flat_scratch 0
		.amdhsa_float_round_mode_32 0
		.amdhsa_float_round_mode_16_64 0
		.amdhsa_float_denorm_mode_32 3
		.amdhsa_float_denorm_mode_16_64 3
		.amdhsa_dx10_clamp 1
		.amdhsa_ieee_mode 1
		.amdhsa_fp16_overflow 0
		.amdhsa_tg_split 0
		.amdhsa_exception_fp_ieee_invalid_op 0
		.amdhsa_exception_fp_denorm_src 0
		.amdhsa_exception_fp_ieee_div_zero 0
		.amdhsa_exception_fp_ieee_overflow 0
		.amdhsa_exception_fp_ieee_underflow 0
		.amdhsa_exception_fp_ieee_inexact 0
		.amdhsa_exception_int_div_zero 0
	.end_amdhsa_kernel
	.section	.text._ZL30rocblas_trsm_small_left_deviceILi32ELi32ELb0EddPKdPdEv13rocblas_fill_18rocblas_operation_17rocblas_diagonal_iiT3_T4_lilT5_lili,"axG",@progbits,_ZL30rocblas_trsm_small_left_deviceILi32ELi32ELb0EddPKdPdEv13rocblas_fill_18rocblas_operation_17rocblas_diagonal_iiT3_T4_lilT5_lili,comdat
.Lfunc_end103:
	.size	_ZL30rocblas_trsm_small_left_deviceILi32ELi32ELb0EddPKdPdEv13rocblas_fill_18rocblas_operation_17rocblas_diagonal_iiT3_T4_lilT5_lili, .Lfunc_end103-_ZL30rocblas_trsm_small_left_deviceILi32ELi32ELb0EddPKdPdEv13rocblas_fill_18rocblas_operation_17rocblas_diagonal_iiT3_T4_lilT5_lili
                                        ; -- End function
	.section	.AMDGPU.csdata,"",@progbits
; Kernel info:
; codeLenInByte = 38628
; NumSgprs: 48
; NumVgprs: 184
; NumAgprs: 0
; TotalNumVgprs: 184
; ScratchSize: 0
; MemoryBound: 1
; FloatMode: 240
; IeeeMode: 1
; LDSByteSize: 8192 bytes/workgroup (compile time only)
; SGPRBlocks: 5
; VGPRBlocks: 22
; NumSGPRsForWavesPerEU: 48
; NumVGPRsForWavesPerEU: 184
; AccumOffset: 184
; Occupancy: 2
; WaveLimiterHint : 1
; COMPUTE_PGM_RSRC2:SCRATCH_EN: 0
; COMPUTE_PGM_RSRC2:USER_SGPR: 6
; COMPUTE_PGM_RSRC2:TRAP_HANDLER: 0
; COMPUTE_PGM_RSRC2:TGID_X_EN: 1
; COMPUTE_PGM_RSRC2:TGID_Y_EN: 0
; COMPUTE_PGM_RSRC2:TGID_Z_EN: 1
; COMPUTE_PGM_RSRC2:TIDIG_COMP_CNT: 0
; COMPUTE_PGM_RSRC3_GFX90A:ACCUM_OFFSET: 45
; COMPUTE_PGM_RSRC3_GFX90A:TG_SPLIT: 0
	.section	.text._ZL38rocblas_trsm_small_left_device_sharedBILi32ELi32ELb1EddPKdPdEv13rocblas_fill_18rocblas_operation_17rocblas_diagonal_iiT3_T4_lilT5_lili,"axG",@progbits,_ZL38rocblas_trsm_small_left_device_sharedBILi32ELi32ELb1EddPKdPdEv13rocblas_fill_18rocblas_operation_17rocblas_diagonal_iiT3_T4_lilT5_lili,comdat
	.globl	_ZL38rocblas_trsm_small_left_device_sharedBILi32ELi32ELb1EddPKdPdEv13rocblas_fill_18rocblas_operation_17rocblas_diagonal_iiT3_T4_lilT5_lili ; -- Begin function _ZL38rocblas_trsm_small_left_device_sharedBILi32ELi32ELb1EddPKdPdEv13rocblas_fill_18rocblas_operation_17rocblas_diagonal_iiT3_T4_lilT5_lili
	.p2align	8
	.type	_ZL38rocblas_trsm_small_left_device_sharedBILi32ELi32ELb1EddPKdPdEv13rocblas_fill_18rocblas_operation_17rocblas_diagonal_iiT3_T4_lilT5_lili,@function
_ZL38rocblas_trsm_small_left_device_sharedBILi32ELi32ELb1EddPKdPdEv13rocblas_fill_18rocblas_operation_17rocblas_diagonal_iiT3_T4_lilT5_lili: ; @_ZL38rocblas_trsm_small_left_device_sharedBILi32ELi32ELb1EddPKdPdEv13rocblas_fill_18rocblas_operation_17rocblas_diagonal_iiT3_T4_lilT5_lili
; %bb.0:
	s_load_dwordx4 s[8:11], s[4:5], 0x4
	s_load_dwordx4 s[12:15], s[4:5], 0x18
	s_load_dwordx2 s[20:21], s[4:5], 0x28
	s_load_dwordx4 s[0:3], s[4:5], 0x38
	s_load_dwordx2 s[16:17], s[4:5], 0x48
	s_waitcnt lgkmcnt(0)
	s_min_i32 s30, s10, 32
	s_mov_b32 s33, 0
	s_add_i32 s31, s30, -1
	v_cmp_gt_i32_e32 vcc, s30, v0
	s_and_saveexec_b64 s[18:19], vcc
	s_cbranch_execz .LBB104_10
; %bb.1:
	s_load_dword s22, s[4:5], 0x30
	s_mul_i32 s1, s7, s1
	s_mul_hi_u32 s24, s7, s0
	s_add_i32 s1, s24, s1
	s_mul_i32 s0, s7, s0
	s_waitcnt lgkmcnt(0)
	s_ashr_i32 s23, s22, 31
	s_cmp_lt_u32 s31, 3
	s_cbranch_scc1 .LBB104_4
; %bb.2:
	s_lshl_b64 s[24:25], s[0:1], 3
	s_add_u32 s26, s14, s24
	s_addc_u32 s27, s15, s25
	s_lshl_b64 s[24:25], s[20:21], 3
	s_add_u32 s24, s26, s24
	s_addc_u32 s25, s27, s25
	v_lshlrev_b32_e32 v1, 3, v0
	v_mov_b32_e32 v3, s25
	v_add_co_u32_e32 v2, vcc, s24, v1
	s_mul_hi_i32 s36, s22, 24
	s_lshl_b64 s[24:25], s[22:23], 5
	s_lshl_b64 s[26:27], s[22:23], 4
	s_lshl_b64 s[28:29], s[22:23], 3
	v_addc_co_u32_e32 v3, vcc, 0, v3, vcc
	s_and_b32 s33, s30, -4
	s_mul_i32 s34, s22, 24
	s_mov_b32 s35, 0
	v_mov_b32_e32 v4, s29
	v_mov_b32_e32 v5, s27
	;; [unrolled: 1-line block ×4, first 2 shown]
.LBB104_3:                              ; =>This Inner Loop Header: Depth=1
	v_add_co_u32_e32 v10, vcc, s28, v2
	v_addc_co_u32_e32 v11, vcc, v3, v4, vcc
	v_add_co_u32_e32 v12, vcc, s26, v2
	v_addc_co_u32_e32 v13, vcc, v3, v5, vcc
	v_add_co_u32_e32 v14, vcc, s34, v2
	global_load_dwordx2 v[8:9], v[2:3], off
	v_addc_co_u32_e32 v15, vcc, v3, v6, vcc
	global_load_dwordx2 v[16:17], v[10:11], off
	global_load_dwordx2 v[18:19], v[12:13], off
	;; [unrolled: 1-line block ×3, first 2 shown]
	s_add_i32 s35, s35, 4
	v_add_co_u32_e32 v2, vcc, s24, v2
	v_addc_co_u32_e32 v3, vcc, v3, v7, vcc
	s_cmp_eq_u32 s33, s35
	s_waitcnt vmcnt(2)
	ds_write2_b64 v1, v[8:9], v[16:17] offset1:32
	s_waitcnt vmcnt(0)
	ds_write2_b64 v1, v[18:19], v[20:21] offset0:64 offset1:96
	v_add_u32_e32 v1, 0x400, v1
	s_cbranch_scc0 .LBB104_3
.LBB104_4:
	s_and_b32 s24, s30, 3
	s_cmp_eq_u32 s24, 0
	s_cbranch_scc1 .LBB104_7
; %bb.5:
	s_mul_i32 s25, s23, s33
	s_mul_hi_u32 s26, s22, s33
	s_add_i32 s27, s26, s25
	s_mul_i32 s26, s22, s33
	s_lshl_b64 s[0:1], s[0:1], 3
	s_lshl_b64 s[26:27], s[26:27], 3
	s_add_u32 s25, s0, s26
	s_addc_u32 s26, s1, s27
	s_lshl_b64 s[0:1], s[20:21], 3
	s_add_u32 s0, s25, s0
	s_addc_u32 s1, s26, s1
	s_add_u32 s0, s14, s0
	v_lshlrev_b32_e32 v2, 3, v0
	s_addc_u32 s1, s15, s1
	v_lshl_or_b32 v1, s33, 8, v2
	v_mov_b32_e32 v3, s1
	v_add_co_u32_e32 v2, vcc, s0, v2
	s_lshl_b64 s[0:1], s[22:23], 3
	v_addc_co_u32_e32 v3, vcc, 0, v3, vcc
	v_mov_b32_e32 v4, s1
.LBB104_6:                              ; =>This Inner Loop Header: Depth=1
	global_load_dwordx2 v[6:7], v[2:3], off
	v_add_co_u32_e32 v2, vcc, s0, v2
	s_add_i32 s24, s24, -1
	v_addc_co_u32_e32 v3, vcc, v3, v4, vcc
	s_cmp_lg_u32 s24, 0
	s_waitcnt vmcnt(0)
	ds_write_b64 v1, v[6:7]
	v_add_u32_e32 v1, 0x100, v1
	s_cbranch_scc1 .LBB104_6
.LBB104_7:
	v_mul_u32_u24_e32 v1, 33, v0
	v_mov_b32_e32 v2, 0
	s_cmpk_lg_i32 s9, 0x84
	v_lshlrev_b32_e32 v1, 3, v1
	v_mov_b32_e32 v3, 0x3ff00000
	s_cbranch_scc0 .LBB104_9
; %bb.8:
	ds_read_b64 v[2:3], v1
	s_waitcnt lgkmcnt(0)
	v_div_scale_f64 v[4:5], s[0:1], v[2:3], v[2:3], 1.0
	v_rcp_f64_e32 v[6:7], v[4:5]
	v_div_scale_f64 v[8:9], vcc, 1.0, v[2:3], 1.0
	v_fma_f64 v[10:11], -v[4:5], v[6:7], 1.0
	v_fmac_f64_e32 v[6:7], v[6:7], v[10:11]
	v_fma_f64 v[10:11], -v[4:5], v[6:7], 1.0
	v_fmac_f64_e32 v[6:7], v[6:7], v[10:11]
	v_mul_f64 v[10:11], v[8:9], v[6:7]
	v_fma_f64 v[4:5], -v[4:5], v[10:11], v[8:9]
	v_div_fmas_f64 v[4:5], v[4:5], v[6:7], v[10:11]
	v_div_fixup_f64 v[2:3], v[4:5], v[2:3], 1.0
.LBB104_9:
	ds_write_b64 v1, v[2:3]
.LBB104_10:
	s_or_b64 exec, exec, s[18:19]
	s_load_dword s9, s[4:5], 0x68
	s_load_dword s22, s[4:5], 0x50
	s_load_dwordx2 s[0:1], s[4:5], 0x58
	s_mov_b32 s18, 0
	s_waitcnt lgkmcnt(0)
	s_ashr_i32 s23, s22, 31
	s_mul_i32 s1, s7, s1
	s_mul_hi_u32 s4, s7, s0
	s_mul_i32 s0, s7, s0
	s_add_i32 s1, s4, s1
	s_lshl_b64 s[0:1], s[0:1], 3
	s_add_u32 s7, s2, s0
	s_addc_u32 s14, s3, s1
	s_lshl_b64 s[4:5], s[16:17], 3
	s_add_u32 s16, s7, s4
	s_addc_u32 s17, s14, s5
	s_lshl_b32 s14, s6, 5
	s_add_i32 s9, s9, -1
	s_sub_i32 s7, s11, s14
	s_cmp_ge_u32 s6, s9
	s_cselect_b32 s9, s7, 32
	s_mul_hi_i32 s7, s22, s14
	s_mul_i32 s6, s22, s14
	s_ashr_i32 s15, s14, 31
	s_lshl_b64 s[6:7], s[6:7], 3
	s_add_u32 s11, s16, s6
	s_addc_u32 s24, s17, s7
	s_cmp_gt_i32 s10, 0
	v_cmp_gt_i32_e32 vcc, s9, v0
	s_cselect_b64 s[6:7], -1, 0
	s_and_b64 s[6:7], vcc, s[6:7]
	s_and_saveexec_b64 s[16:17], s[6:7]
	s_cbranch_execz .LBB104_17
; %bb.11:
	s_cmp_lt_i32 s10, 8
	s_cbranch_scc1 .LBB104_14
; %bb.12:
	v_mad_i64_i32 v[2:3], s[18:19], s22, v0, 0
	v_lshlrev_b64 v[2:3], 3, v[2:3]
	v_mov_b32_e32 v4, s24
	v_add_co_u32_e32 v1, vcc, s11, v2
	v_addc_co_u32_e32 v2, vcc, v4, v3, vcc
	v_mov_b32_e32 v3, 0x2000
	s_lshl_b32 s9, s30, 3
	v_lshl_or_b32 v3, v0, 3, v3
	s_and_b32 s9, s9, 0x1c0
	s_mov_b32 s18, 0
	s_mov_b64 s[20:21], 0
.LBB104_13:                             ; =>This Inner Loop Header: Depth=1
	v_mov_b32_e32 v4, s21
	v_add_co_u32_e32 v20, vcc, s20, v1
	v_addc_co_u32_e32 v21, vcc, v2, v4, vcc
	global_load_dwordx4 v[4:7], v[20:21], off
	global_load_dwordx4 v[8:11], v[20:21], off offset:16
	global_load_dwordx4 v[12:15], v[20:21], off offset:32
	;; [unrolled: 1-line block ×3, first 2 shown]
	s_add_i32 s18, s18, 8
	s_add_u32 s20, s20, 64
	s_addc_u32 s21, s21, 0
	s_cmp_lg_u32 s9, s20
	s_waitcnt vmcnt(3)
	v_mul_f64 v[4:5], v[4:5], s[12:13]
	v_mul_f64 v[6:7], v[6:7], s[12:13]
	s_waitcnt vmcnt(2)
	v_mul_f64 v[8:9], v[8:9], s[12:13]
	v_mul_f64 v[10:11], v[10:11], s[12:13]
	;; [unrolled: 3-line block ×4, first 2 shown]
	ds_write2_b64 v3, v[4:5], v[6:7] offset1:32
	ds_write2_b64 v3, v[8:9], v[10:11] offset0:64 offset1:96
	ds_write2_b64 v3, v[12:13], v[14:15] offset0:128 offset1:160
	;; [unrolled: 1-line block ×3, first 2 shown]
	v_add_u32_e32 v3, 0x800, v3
	s_cbranch_scc1 .LBB104_13
.LBB104_14:
	s_and_b32 s9, s30, 7
	s_cmp_eq_u32 s9, 0
	s_mov_b32 s19, 0
	s_cbranch_scc1 .LBB104_17
; %bb.15:
	v_lshlrev_b32_e32 v2, 3, v0
	v_lshl_or_b32 v1, s18, 8, v2
	s_lshl_b64 s[20:21], s[14:15], 3
	s_lshl_b64 s[18:19], s[18:19], 3
	s_add_u32 s18, s2, s18
	s_addc_u32 s19, s3, s19
	s_add_u32 s18, s18, s4
	s_addc_u32 s19, s19, s5
	s_add_u32 s18, s18, s0
	v_mov_b32_e32 v3, s21
	v_add_co_u32_e32 v4, vcc, s20, v2
	s_addc_u32 s19, s19, s1
	v_addc_co_u32_e32 v5, vcc, 0, v3, vcc
	v_pk_mov_b32 v[2:3], s[18:19], s[18:19] op_sel:[0,1]
	v_mad_u64_u32 v[2:3], s[18:19], v4, s22, v[2:3]
	v_mul_lo_u32 v4, v4, s23
	v_mul_lo_u32 v5, v5, s22
	v_add_u32_e32 v1, 0x2000, v1
	v_add3_u32 v3, v5, v3, v4
.LBB104_16:                             ; =>This Inner Loop Header: Depth=1
	global_load_dwordx2 v[4:5], v[2:3], off
	v_add_co_u32_e32 v2, vcc, 8, v2
	s_add_i32 s9, s9, -1
	v_addc_co_u32_e32 v3, vcc, 0, v3, vcc
	s_cmp_lg_u32 s9, 0
	s_waitcnt vmcnt(0)
	v_mul_f64 v[4:5], v[4:5], s[12:13]
	ds_write_b64 v1, v[4:5]
	v_add_u32_e32 v1, 0x100, v1
	s_cbranch_scc1 .LBB104_16
.LBB104_17:
	s_or_b64 exec, exec, s[16:17]
	s_cmpk_eq_i32 s8, 0x6f
	s_mov_b64 s[8:9], -1
	s_waitcnt lgkmcnt(0)
	; wave barrier
	s_waitcnt lgkmcnt(0)
	s_cbranch_scc1 .LBB104_40
; %bb.18:
	s_cmp_gt_i32 s10, 31
	s_mov_b32 s8, s31
	s_cbranch_scc0 .LBB104_20
; %bb.19:
	s_lshl_b32 s40, s30, 5
	s_sub_i32 s8, s40, 64
	s_add_i32 s46, s40, 0xffffffa0
	v_lshlrev_b32_e32 v87, 3, v0
	v_or_b32_e32 v1, s8, v0
	v_or_b32_e32 v2, s46, v0
	s_add_i32 s47, s40, 0xffffff80
	v_lshl_or_b32 v90, s31, 8, v87
	v_lshlrev_b32_e32 v1, 3, v1
	v_lshlrev_b32_e32 v91, 3, v2
	v_or_b32_e32 v2, s47, v0
	s_add_i32 s45, s40, 0xffffff60
	v_lshlrev_b32_e32 v98, 3, v2
	ds_read_b64 v[4:5], v90 offset:8192
	ds_read_b64 v[10:11], v1 offset:8192
	;; [unrolled: 1-line block ×4, first 2 shown]
	v_or_b32_e32 v1, s45, v0
	s_add_i32 s44, s40, 0xffffff40
	v_lshlrev_b32_e32 v99, 3, v1
	v_or_b32_e32 v1, s44, v0
	s_add_i32 s43, s40, 0xffffff20
	v_lshlrev_b32_e32 v100, 3, v1
	;; [unrolled: 3-line block ×23, first 2 shown]
	v_or_b32_e32 v1, s16, v0
	s_add_i32 s13, s40, 0xfffffc60
	s_add_i32 s12, s40, 0xfffffc40
	s_add_i32 s8, s40, 0xfffffc20
	s_addk_i32 s40, 0xfc00
	v_lshlrev_b32_e32 v68, 3, v1
	v_or_b32_e32 v1, s13, v0
	v_or_b32_e32 v2, s40, v0
	s_mul_i32 s40, s31, 0x108
	v_lshlrev_b32_e32 v67, 3, v1
	v_or_b32_e32 v1, s12, v0
	s_add_i32 s48, s40, 0xfffffef8
	v_lshlrev_b32_e32 v66, 3, v1
	v_or_b32_e32 v1, s8, v0
	v_lshlrev_b32_e32 v2, 3, v2
	v_mov_b32_e32 v3, s40
	v_mov_b32_e32 v6, s48
	ds_read_b64 v[96:97], v99 offset:8192
	ds_read_b64 v[14:15], v100 offset:8192
	ds_read_b64 v[16:17], v101 offset:8192
	ds_read_b64 v[18:19], v102 offset:8192
	ds_read_b64 v[22:23], v103 offset:8192
	ds_read_b64 v[24:25], v86 offset:8192
	ds_read_b64 v[26:27], v85 offset:8192
	ds_read_b64 v[30:31], v84 offset:8192
	ds_read_b64 v[32:33], v83 offset:8192
	ds_read_b64 v[36:37], v82 offset:8192
	ds_read_b64 v[38:39], v81 offset:8192
	ds_read_b64 v[42:43], v80 offset:8192
	ds_read_b64 v[44:45], v79 offset:8192
	ds_read_b64 v[48:49], v78 offset:8192
	ds_read_b64 v[52:53], v77 offset:8192
	ds_read_b64 v[54:55], v76 offset:8192
	ds_read_b64 v[58:59], v75 offset:8192
	ds_read_b64 v[62:63], v74 offset:8192
	ds_read_b64 v[64:65], v73 offset:8192
	ds_read_b64 v[60:61], v72 offset:8192
	ds_read_b64 v[56:57], v71 offset:8192
	ds_read_b64 v[50:51], v70 offset:8192
	ds_read_b64 v[46:47], v69 offset:8192
	ds_read_b64 v[40:41], v68 offset:8192
	v_lshlrev_b32_e32 v1, 3, v1
	ds_read_b64 v[12:13], v3
	ds_read2_b64 v[6:9], v6 offset1:1
	ds_read_b64 v[34:35], v67 offset:8192
	ds_read_b64 v[28:29], v66 offset:8192
	;; [unrolled: 1-line block ×4, first 2 shown]
	s_waitcnt lgkmcnt(5)
	v_mul_f64 v[4:5], v[12:13], v[4:5]
	s_add_i32 s46, s46, s31
	s_waitcnt lgkmcnt(4)
	v_fma_f64 v[8:9], -v[4:5], v[8:9], v[10:11]
	s_lshl_b32 s46, s46, 3
	v_mul_f64 v[8:9], v[6:7], v[8:9]
	v_mov_b32_e32 v6, s46
	s_add_i32 s46, s40, 0xfffffdf0
	ds_write_b64 v90, v[4:5] offset:8192
	v_mov_b32_e32 v10, s46
	ds_read_b64 v[6:7], v6
	ds_read2_b64 v[10:13], v10 offset1:1
	s_add_i32 s47, s47, s31
	s_lshl_b32 s46, s47, 3
	s_add_i32 s46, s46, -8
	s_waitcnt lgkmcnt(1)
	v_fma_f64 v[6:7], -v[4:5], v[6:7], v[88:89]
	s_waitcnt lgkmcnt(0)
	v_fma_f64 v[6:7], -v[8:9], v[12:13], v[6:7]
	s_lshl_b32 s48, s30, 8
	v_mul_f64 v[6:7], v[10:11], v[6:7]
	v_mov_b32_e32 v10, s46
	s_addk_i32 s48, 0xfe00
	ds_read2_b64 v[10:13], v10 offset1:1
	v_or_b32_e32 v87, s48, v87
	s_add_i32 s46, s40, 0xfffffce8
	ds_write_b64 v87, v[8:9] offset:8192
	v_mov_b32_e32 v87, s46
	ds_write_b64 v91, v[6:7] offset:8192
	ds_read2_b64 v[88:91], v87 offset1:1
	s_add_i32 s45, s45, s31
	s_waitcnt lgkmcnt(3)
	v_fma_f64 v[12:13], -v[4:5], v[12:13], v[92:93]
	s_lshl_b32 s45, s45, 3
	v_fma_f64 v[10:11], -v[8:9], v[10:11], v[12:13]
	v_mov_b32_e32 v12, s45
	s_add_i32 s45, s45, -16
	v_mov_b32_e32 v87, s45
	ds_read_b64 v[12:13], v12
	ds_read2_b64 v[92:95], v87 offset1:1
	s_add_i32 s45, s40, 0xfffffbe0
	s_waitcnt lgkmcnt(2)
	v_fma_f64 v[10:11], -v[6:7], v[90:91], v[10:11]
	v_mov_b32_e32 v87, s45
	v_mul_f64 v[10:11], v[88:89], v[10:11]
	s_add_i32 s44, s44, s31
	ds_read2_b64 v[88:91], v87 offset1:1
	s_lshl_b32 s44, s44, 3
	s_waitcnt lgkmcnt(2)
	v_fma_f64 v[12:13], -v[4:5], v[12:13], v[96:97]
	s_add_i32 s45, s44, -8
	s_waitcnt lgkmcnt(1)
	v_fma_f64 v[12:13], -v[8:9], v[94:95], v[12:13]
	v_mov_b32_e32 v87, s45
	v_fma_f64 v[12:13], -v[6:7], v[92:93], v[12:13]
	ds_read2_b64 v[92:95], v87 offset1:1
	s_sub_i32 s44, s44, 24
	s_waitcnt lgkmcnt(1)
	v_fma_f64 v[12:13], -v[10:11], v[90:91], v[12:13]
	v_mov_b32_e32 v87, s44
	v_mul_f64 v[12:13], v[88:89], v[12:13]
	s_add_i32 s44, s40, 0xfffffad8
	ds_read2_b64 v[88:91], v87 offset1:1
	v_mov_b32_e32 v87, s44
	ds_write_b64 v98, v[10:11] offset:8192
	ds_write_b64 v99, v[12:13] offset:8192
	ds_read2_b64 v[96:99], v87 offset1:1
	s_waitcnt lgkmcnt(4)
	v_fma_f64 v[14:15], -v[4:5], v[94:95], v[14:15]
	v_fma_f64 v[14:15], -v[8:9], v[92:93], v[14:15]
	s_waitcnt lgkmcnt(3)
	v_fma_f64 v[14:15], -v[6:7], v[90:91], v[14:15]
	s_add_i32 s43, s43, s31
	v_fma_f64 v[14:15], -v[10:11], v[88:89], v[14:15]
	s_lshl_b32 s43, s43, 3
	s_waitcnt lgkmcnt(0)
	v_fma_f64 v[14:15], -v[12:13], v[98:99], v[14:15]
	s_add_i32 s44, s43, -8
	v_mul_f64 v[14:15], v[96:97], v[14:15]
	v_mov_b32_e32 v87, s44
	s_sub_i32 s44, s43, 24
	ds_write_b64 v100, v[14:15] offset:8192
	v_mov_b32_e32 v92, s44
	ds_read2_b64 v[88:91], v87 offset1:1
	ds_read2_b64 v[92:95], v92 offset1:1
	s_sub_i32 s43, s43, 40
	v_mov_b32_e32 v87, s43
	s_add_i32 s42, s42, s31
	s_waitcnt lgkmcnt(1)
	v_fma_f64 v[16:17], -v[4:5], v[90:91], v[16:17]
	ds_read2_b64 v[96:99], v87 offset1:1
	v_fma_f64 v[16:17], -v[8:9], v[88:89], v[16:17]
	s_add_i32 s43, s40, 0xfffff9d0
	s_lshl_b32 s42, s42, 3
	s_waitcnt lgkmcnt(1)
	v_fma_f64 v[16:17], -v[6:7], v[94:95], v[16:17]
	v_mov_b32_e32 v87, s43
	s_add_i32 s43, s42, -16
	v_fma_f64 v[16:17], -v[10:11], v[92:93], v[16:17]
	ds_read_b64 v[92:93], v87
	v_mov_b32_e32 v87, s42
	v_mov_b32_e32 v88, s43
	ds_read_b64 v[94:95], v87
	ds_read2_b64 v[88:91], v88 offset1:1
	s_waitcnt lgkmcnt(3)
	v_fma_f64 v[16:17], -v[12:13], v[98:99], v[16:17]
	v_fma_f64 v[16:17], -v[14:15], v[96:97], v[16:17]
	s_waitcnt lgkmcnt(2)
	v_mul_f64 v[16:17], v[92:93], v[16:17]
	s_waitcnt lgkmcnt(1)
	v_fma_f64 v[18:19], -v[4:5], v[94:95], v[18:19]
	s_sub_i32 s43, s42, 32
	s_sub_i32 s42, s42, 48
	ds_write_b64 v101, v[16:17] offset:8192
	s_waitcnt lgkmcnt(1)
	v_fma_f64 v[18:19], -v[8:9], v[90:91], v[18:19]
	v_mov_b32_e32 v87, s43
	v_mov_b32_e32 v92, s42
	v_fma_f64 v[18:19], -v[6:7], v[88:89], v[18:19]
	ds_read2_b64 v[88:91], v87 offset1:1
	ds_read2_b64 v[92:95], v92 offset1:1
	s_add_i32 s41, s41, s31
	s_add_i32 s42, s40, 0xfffff8c8
	s_lshl_b32 s41, s41, 3
	v_mov_b32_e32 v87, s42
	s_add_i32 s42, s41, -8
	ds_read_b64 v[96:97], v87
	s_waitcnt lgkmcnt(2)
	v_fma_f64 v[18:19], -v[10:11], v[90:91], v[18:19]
	v_mov_b32_e32 v87, s42
	v_fma_f64 v[18:19], -v[12:13], v[88:89], v[18:19]
	ds_read2_b64 v[88:91], v87 offset1:1
	s_sub_i32 s42, s41, 24
	s_waitcnt lgkmcnt(2)
	v_fma_f64 v[18:19], -v[14:15], v[94:95], v[18:19]
	v_mov_b32_e32 v87, s42
	v_fma_f64 v[18:19], -v[16:17], v[92:93], v[18:19]
	ds_read2_b64 v[92:95], v87 offset1:1
	s_sub_i32 s42, s41, 40
	;; [unrolled: 6-line block ×3, first 2 shown]
	v_mov_b32_e32 v87, s41
	s_waitcnt lgkmcnt(1)
	v_fma_f64 v[22:23], -v[6:7], v[94:95], v[22:23]
	s_add_i32 s39, s39, s31
	v_mul_f64 v[18:19], v[96:97], v[18:19]
	ds_read2_b64 v[96:99], v87 offset1:1
	v_fma_f64 v[22:23], -v[10:11], v[92:93], v[22:23]
	s_add_i32 s41, s40, 0xfffff7c0
	s_lshl_b32 s39, s39, 3
	s_waitcnt lgkmcnt(1)
	v_fma_f64 v[22:23], -v[12:13], v[90:91], v[22:23]
	v_mov_b32_e32 v87, s41
	s_add_i32 s41, s39, -16
	ds_write_b64 v102, v[18:19] offset:8192
	v_fma_f64 v[22:23], -v[14:15], v[88:89], v[22:23]
	ds_read_b64 v[92:93], v87
	v_mov_b32_e32 v87, s39
	v_mov_b32_e32 v88, s41
	ds_read_b64 v[94:95], v87
	ds_read2_b64 v[88:91], v88 offset1:1
	s_waitcnt lgkmcnt(4)
	v_fma_f64 v[22:23], -v[16:17], v[98:99], v[22:23]
	v_fma_f64 v[22:23], -v[18:19], v[96:97], v[22:23]
	s_sub_i32 s41, s39, 32
	s_waitcnt lgkmcnt(2)
	v_mul_f64 v[22:23], v[92:93], v[22:23]
	s_waitcnt lgkmcnt(1)
	v_fma_f64 v[24:25], -v[4:5], v[94:95], v[24:25]
	v_mov_b32_e32 v87, s41
	s_sub_i32 s41, s39, 48
	ds_write_b64 v103, v[22:23] offset:8192
	s_waitcnt lgkmcnt(1)
	v_fma_f64 v[24:25], -v[8:9], v[90:91], v[24:25]
	v_mov_b32_e32 v92, s41
	v_fma_f64 v[24:25], -v[6:7], v[88:89], v[24:25]
	ds_read2_b64 v[88:91], v87 offset1:1
	ds_read2_b64 v[92:95], v92 offset1:1
	s_sub_i32 s39, s39, 64
	v_mov_b32_e32 v87, s39
	ds_read2_b64 v[96:99], v87 offset1:1
	s_waitcnt lgkmcnt(2)
	v_fma_f64 v[24:25], -v[10:11], v[90:91], v[24:25]
	v_fma_f64 v[24:25], -v[12:13], v[88:89], v[24:25]
	s_add_i32 s39, s40, 0xfffff6b8
	s_add_i32 s9, s9, s31
	s_waitcnt lgkmcnt(1)
	v_fma_f64 v[24:25], -v[14:15], v[94:95], v[24:25]
	v_mov_b32_e32 v87, s39
	s_lshl_b32 s9, s9, 3
	v_fma_f64 v[24:25], -v[16:17], v[92:93], v[24:25]
	ds_read_b64 v[92:93], v87
	s_add_i32 s39, s9, -16
	v_mov_b32_e32 v87, s9
	v_mov_b32_e32 v88, s39
	ds_read_b64 v[94:95], v87
	ds_read2_b64 v[88:91], v88 offset1:1
	s_waitcnt lgkmcnt(3)
	v_fma_f64 v[24:25], -v[18:19], v[98:99], v[24:25]
	v_fma_f64 v[24:25], -v[22:23], v[96:97], v[24:25]
	s_waitcnt lgkmcnt(2)
	v_mul_f64 v[24:25], v[92:93], v[24:25]
	s_sub_i32 s39, s9, 32
	ds_write_b64 v86, v[24:25] offset:8192
	s_waitcnt lgkmcnt(2)
	v_fma_f64 v[26:27], -v[4:5], v[94:95], v[26:27]
	v_mov_b32_e32 v86, s39
	s_waitcnt lgkmcnt(1)
	v_fma_f64 v[26:27], -v[8:9], v[90:91], v[26:27]
	ds_read2_b64 v[90:93], v86 offset1:1
	s_sub_i32 s39, s9, 48
	v_fma_f64 v[26:27], -v[6:7], v[88:89], v[26:27]
	v_mov_b32_e32 v86, s39
	ds_read2_b64 v[86:89], v86 offset1:1
	s_waitcnt lgkmcnt(1)
	v_fma_f64 v[26:27], -v[10:11], v[92:93], v[26:27]
	s_sub_i32 s9, s9, 64
	v_fma_f64 v[26:27], -v[12:13], v[90:91], v[26:27]
	v_mov_b32_e32 v90, s9
	ds_read2_b64 v[90:93], v90 offset1:1
	s_mul_i32 s9, s30, 0x108
	s_add_i32 s39, s9, 0xfffff4a8
	v_mov_b32_e32 v94, s39
	ds_read2_b64 v[94:97], v94 offset1:1
	s_add_i32 s38, s38, s31
	s_waitcnt lgkmcnt(2)
	v_fma_f64 v[26:27], -v[14:15], v[88:89], v[26:27]
	s_lshl_b32 s38, s38, 3
	v_fma_f64 v[26:27], -v[16:17], v[86:87], v[26:27]
	s_add_i32 s39, s38, -8
	s_waitcnt lgkmcnt(1)
	v_fma_f64 v[26:27], -v[18:19], v[92:93], v[26:27]
	v_mov_b32_e32 v86, s39
	v_fma_f64 v[26:27], -v[22:23], v[90:91], v[26:27]
	ds_read2_b64 v[86:89], v86 offset1:1
	s_waitcnt lgkmcnt(1)
	v_fma_f64 v[26:27], -v[24:25], v[96:97], v[26:27]
	v_mul_f64 v[26:27], v[94:95], v[26:27]
	s_sub_i32 s39, s38, 24
	ds_write_b64 v85, v[26:27] offset:8192
	v_mov_b32_e32 v85, s39
	ds_read2_b64 v[90:93], v85 offset1:1
	s_sub_i32 s39, s38, 40
	s_waitcnt lgkmcnt(2)
	v_fma_f64 v[30:31], -v[4:5], v[88:89], v[30:31]
	v_mov_b32_e32 v85, s39
	v_fma_f64 v[30:31], -v[8:9], v[86:87], v[30:31]
	ds_read2_b64 v[86:89], v85 offset1:1
	s_sub_i32 s39, s38, 56
	v_mov_b32_e32 v85, s39
	s_waitcnt lgkmcnt(1)
	v_fma_f64 v[30:31], -v[6:7], v[92:93], v[30:31]
	ds_read2_b64 v[94:97], v85 offset1:1
	v_fma_f64 v[30:31], -v[10:11], v[90:91], v[30:31]
	s_addk_i32 s38, 0xffb8
	s_waitcnt lgkmcnt(1)
	v_fma_f64 v[30:31], -v[12:13], v[88:89], v[30:31]
	v_mov_b32_e32 v85, s38
	v_fma_f64 v[30:31], -v[14:15], v[86:87], v[30:31]
	ds_read2_b64 v[86:89], v85 offset1:1
	s_add_i32 s38, s9, 0xfffff3a0
	s_waitcnt lgkmcnt(1)
	v_fma_f64 v[30:31], -v[16:17], v[96:97], v[30:31]
	v_mov_b32_e32 v85, s38
	s_add_i32 s37, s37, s31
	v_fma_f64 v[30:31], -v[18:19], v[94:95], v[30:31]
	ds_read2_b64 v[90:93], v85 offset1:1
	s_lshl_b32 s37, s37, 3
	s_waitcnt lgkmcnt(1)
	v_fma_f64 v[30:31], -v[22:23], v[88:89], v[30:31]
	s_add_i32 s38, s37, -16
	v_fma_f64 v[30:31], -v[24:25], v[86:87], v[30:31]
	v_mov_b32_e32 v85, s37
	v_mov_b32_e32 v86, s38
	ds_read_b64 v[94:95], v85
	ds_read2_b64 v[86:89], v86 offset1:1
	s_waitcnt lgkmcnt(2)
	v_fma_f64 v[30:31], -v[26:27], v[92:93], v[30:31]
	v_mul_f64 v[30:31], v[90:91], v[30:31]
	s_sub_i32 s38, s37, 32
	ds_write_b64 v84, v[30:31] offset:8192
	s_waitcnt lgkmcnt(2)
	v_fma_f64 v[32:33], -v[4:5], v[94:95], v[32:33]
	v_mov_b32_e32 v84, s38
	s_waitcnt lgkmcnt(1)
	v_fma_f64 v[32:33], -v[8:9], v[88:89], v[32:33]
	ds_read2_b64 v[88:91], v84 offset1:1
	s_sub_i32 s38, s37, 48
	v_mov_b32_e32 v84, s38
	v_fma_f64 v[32:33], -v[6:7], v[86:87], v[32:33]
	ds_read2_b64 v[84:87], v84 offset1:1
	s_waitcnt lgkmcnt(1)
	v_fma_f64 v[32:33], -v[10:11], v[90:91], v[32:33]
	s_sub_i32 s38, s37, 64
	v_fma_f64 v[32:33], -v[12:13], v[88:89], v[32:33]
	v_mov_b32_e32 v88, s38
	ds_read2_b64 v[88:91], v88 offset1:1
	s_addk_i32 s37, 0xffb0
	v_mov_b32_e32 v92, s37
	ds_read2_b64 v[92:95], v92 offset1:1
	s_waitcnt lgkmcnt(2)
	v_fma_f64 v[32:33], -v[14:15], v[86:87], v[32:33]
	s_add_i32 s37, s9, 0xfffff298
	v_fma_f64 v[32:33], -v[16:17], v[84:85], v[32:33]
	v_mov_b32_e32 v84, s37
	ds_read2_b64 v[84:87], v84 offset1:1
	s_waitcnt lgkmcnt(2)
	v_fma_f64 v[32:33], -v[18:19], v[90:91], v[32:33]
	v_fma_f64 v[32:33], -v[22:23], v[88:89], v[32:33]
	s_add_i32 s36, s36, s31
	s_waitcnt lgkmcnt(1)
	v_fma_f64 v[32:33], -v[24:25], v[94:95], v[32:33]
	s_lshl_b32 s36, s36, 3
	v_fma_f64 v[32:33], -v[26:27], v[92:93], v[32:33]
	s_add_i32 s37, s36, -8
	v_mov_b32_e32 v88, s37
	s_waitcnt lgkmcnt(0)
	v_fma_f64 v[32:33], -v[30:31], v[86:87], v[32:33]
	ds_read2_b64 v[88:91], v88 offset1:1
	v_mul_f64 v[32:33], v[84:85], v[32:33]
	s_sub_i32 s37, s36, 24
	ds_write_b64 v83, v[32:33] offset:8192
	v_mov_b32_e32 v83, s37
	ds_read2_b64 v[84:87], v83 offset1:1
	s_sub_i32 s37, s36, 40
	v_mov_b32_e32 v83, s37
	s_waitcnt lgkmcnt(2)
	v_fma_f64 v[36:37], -v[4:5], v[90:91], v[36:37]
	ds_read2_b64 v[92:95], v83 offset1:1
	v_fma_f64 v[36:37], -v[8:9], v[88:89], v[36:37]
	s_sub_i32 s37, s36, 56
	s_waitcnt lgkmcnt(1)
	v_fma_f64 v[36:37], -v[6:7], v[86:87], v[36:37]
	v_mov_b32_e32 v83, s37
	v_fma_f64 v[36:37], -v[10:11], v[84:85], v[36:37]
	ds_read2_b64 v[84:87], v83 offset1:1
	s_add_i32 s37, s36, 0xffffffb8
	s_waitcnt lgkmcnt(1)
	v_fma_f64 v[36:37], -v[12:13], v[94:95], v[36:37]
	v_mov_b32_e32 v83, s37
	v_fma_f64 v[36:37], -v[14:15], v[92:93], v[36:37]
	ds_read2_b64 v[88:91], v83 offset1:1
	s_addk_i32 s36, 0xffa8
	s_waitcnt lgkmcnt(1)
	v_fma_f64 v[36:37], -v[16:17], v[86:87], v[36:37]
	v_mov_b32_e32 v83, s36
	v_fma_f64 v[36:37], -v[18:19], v[84:85], v[36:37]
	s_add_i32 s36, s9, 0xfffff190
	ds_read2_b64 v[84:87], v83 offset1:1
	v_mov_b32_e32 v83, s36
	ds_read2_b64 v[92:95], v83 offset1:1
	s_waitcnt lgkmcnt(2)
	v_fma_f64 v[36:37], -v[22:23], v[90:91], v[36:37]
	v_fma_f64 v[36:37], -v[24:25], v[88:89], v[36:37]
	s_add_i32 s35, s35, s31
	s_waitcnt lgkmcnt(1)
	v_fma_f64 v[36:37], -v[26:27], v[86:87], v[36:37]
	s_lshl_b32 s35, s35, 3
	v_fma_f64 v[36:37], -v[30:31], v[84:85], v[36:37]
	v_mov_b32_e32 v83, s35
	s_waitcnt lgkmcnt(0)
	v_fma_f64 v[36:37], -v[32:33], v[94:95], v[36:37]
	ds_read_b64 v[86:87], v83
	v_mul_f64 v[36:37], v[92:93], v[36:37]
	s_add_i32 s36, s35, -16
	ds_write_b64 v82, v[36:37] offset:8192
	v_mov_b32_e32 v82, s36
	ds_read2_b64 v[82:85], v82 offset1:1
	s_sub_i32 s36, s35, 32
	s_waitcnt lgkmcnt(2)
	v_fma_f64 v[38:39], -v[4:5], v[86:87], v[38:39]
	v_mov_b32_e32 v86, s36
	ds_read2_b64 v[86:89], v86 offset1:1
	s_sub_i32 s36, s35, 48
	v_mov_b32_e32 v90, s36
	ds_read2_b64 v[90:93], v90 offset1:1
	s_waitcnt lgkmcnt(2)
	v_fma_f64 v[38:39], -v[8:9], v[84:85], v[38:39]
	s_sub_i32 s36, s35, 64
	v_fma_f64 v[38:39], -v[6:7], v[82:83], v[38:39]
	v_mov_b32_e32 v82, s36
	ds_read2_b64 v[82:85], v82 offset1:1
	s_waitcnt lgkmcnt(2)
	v_fma_f64 v[38:39], -v[10:11], v[88:89], v[38:39]
	v_fma_f64 v[38:39], -v[12:13], v[86:87], v[38:39]
	s_waitcnt lgkmcnt(1)
	v_fma_f64 v[38:39], -v[14:15], v[92:93], v[38:39]
	s_add_i32 s36, s35, 0xffffffb0
	v_fma_f64 v[38:39], -v[16:17], v[90:91], v[38:39]
	v_mov_b32_e32 v86, s36
	ds_read2_b64 v[86:89], v86 offset1:1
	s_waitcnt lgkmcnt(1)
	v_fma_f64 v[38:39], -v[18:19], v[84:85], v[38:39]
	s_addk_i32 s35, 0xffa0
	v_fma_f64 v[38:39], -v[22:23], v[82:83], v[38:39]
	v_mov_b32_e32 v82, s35
	ds_read2_b64 v[82:85], v82 offset1:1
	s_add_i32 s35, s9, 0xfffff088
	v_mov_b32_e32 v90, s35
	ds_read2_b64 v[90:93], v90 offset1:1
	s_waitcnt lgkmcnt(2)
	v_fma_f64 v[38:39], -v[24:25], v[88:89], v[38:39]
	s_add_i32 s34, s34, s31
	v_fma_f64 v[38:39], -v[26:27], v[86:87], v[38:39]
	s_lshl_b32 s34, s34, 3
	s_waitcnt lgkmcnt(1)
	v_fma_f64 v[38:39], -v[30:31], v[84:85], v[38:39]
	s_add_i32 s35, s34, -8
	v_fma_f64 v[38:39], -v[32:33], v[82:83], v[38:39]
	v_mov_b32_e32 v82, s35
	ds_read2_b64 v[82:85], v82 offset1:1
	s_waitcnt lgkmcnt(1)
	v_fma_f64 v[38:39], -v[36:37], v[92:93], v[38:39]
	v_mul_f64 v[38:39], v[90:91], v[38:39]
	s_sub_i32 s35, s34, 24
	ds_write_b64 v81, v[38:39] offset:8192
	v_mov_b32_e32 v81, s35
	ds_read2_b64 v[86:89], v81 offset1:1
	s_sub_i32 s35, s34, 40
	s_waitcnt lgkmcnt(2)
	v_fma_f64 v[42:43], -v[4:5], v[84:85], v[42:43]
	v_mov_b32_e32 v81, s35
	v_fma_f64 v[42:43], -v[8:9], v[82:83], v[42:43]
	ds_read2_b64 v[82:85], v81 offset1:1
	s_sub_i32 s35, s34, 56
	v_mov_b32_e32 v81, s35
	s_waitcnt lgkmcnt(1)
	v_fma_f64 v[42:43], -v[6:7], v[88:89], v[42:43]
	ds_read2_b64 v[90:93], v81 offset1:1
	v_fma_f64 v[42:43], -v[10:11], v[86:87], v[42:43]
	s_add_i32 s35, s34, 0xffffffb8
	s_waitcnt lgkmcnt(1)
	v_fma_f64 v[42:43], -v[12:13], v[84:85], v[42:43]
	v_mov_b32_e32 v81, s35
	v_fma_f64 v[42:43], -v[14:15], v[82:83], v[42:43]
	ds_read2_b64 v[82:85], v81 offset1:1
	s_add_i32 s35, s34, 0xffffffa8
	s_waitcnt lgkmcnt(1)
	v_fma_f64 v[42:43], -v[16:17], v[92:93], v[42:43]
	v_mov_b32_e32 v81, s35
	v_fma_f64 v[42:43], -v[18:19], v[90:91], v[42:43]
	ds_read2_b64 v[86:89], v81 offset1:1
	s_addk_i32 s34, 0xff98
	s_waitcnt lgkmcnt(1)
	v_fma_f64 v[42:43], -v[22:23], v[84:85], v[42:43]
	v_mov_b32_e32 v81, s34
	v_fma_f64 v[42:43], -v[24:25], v[82:83], v[42:43]
	s_add_i32 s34, s9, 0xffffef80
	ds_read2_b64 v[82:85], v81 offset1:1
	v_mov_b32_e32 v81, s34
	ds_read2_b64 v[90:93], v81 offset1:1
	s_waitcnt lgkmcnt(2)
	v_fma_f64 v[42:43], -v[26:27], v[88:89], v[42:43]
	v_fma_f64 v[42:43], -v[30:31], v[86:87], v[42:43]
	s_add_i32 s33, s33, s31
	s_waitcnt lgkmcnt(1)
	v_fma_f64 v[42:43], -v[32:33], v[84:85], v[42:43]
	s_lshl_b32 s33, s33, 3
	v_fma_f64 v[42:43], -v[36:37], v[82:83], v[42:43]
	v_mov_b32_e32 v81, s33
	s_waitcnt lgkmcnt(0)
	v_fma_f64 v[42:43], -v[38:39], v[92:93], v[42:43]
	ds_read_b64 v[84:85], v81
	v_mul_f64 v[42:43], v[90:91], v[42:43]
	s_add_i32 s34, s33, -16
	ds_write_b64 v80, v[42:43] offset:8192
	v_mov_b32_e32 v80, s34
	ds_read2_b64 v[80:83], v80 offset1:1
	s_sub_i32 s34, s33, 32
	s_waitcnt lgkmcnt(2)
	v_fma_f64 v[44:45], -v[4:5], v[84:85], v[44:45]
	v_mov_b32_e32 v84, s34
	ds_read2_b64 v[84:87], v84 offset1:1
	s_sub_i32 s34, s33, 48
	v_mov_b32_e32 v88, s34
	ds_read2_b64 v[88:91], v88 offset1:1
	s_waitcnt lgkmcnt(2)
	v_fma_f64 v[44:45], -v[8:9], v[82:83], v[44:45]
	s_sub_i32 s34, s33, 64
	v_fma_f64 v[44:45], -v[6:7], v[80:81], v[44:45]
	v_mov_b32_e32 v80, s34
	ds_read2_b64 v[80:83], v80 offset1:1
	s_waitcnt lgkmcnt(2)
	v_fma_f64 v[44:45], -v[10:11], v[86:87], v[44:45]
	v_fma_f64 v[44:45], -v[12:13], v[84:85], v[44:45]
	s_waitcnt lgkmcnt(1)
	v_fma_f64 v[44:45], -v[14:15], v[90:91], v[44:45]
	s_add_i32 s34, s33, 0xffffffb0
	v_fma_f64 v[44:45], -v[16:17], v[88:89], v[44:45]
	v_mov_b32_e32 v84, s34
	ds_read2_b64 v[84:87], v84 offset1:1
	s_waitcnt lgkmcnt(1)
	v_fma_f64 v[44:45], -v[18:19], v[82:83], v[44:45]
	s_add_i32 s34, s33, 0xffffffa0
	v_fma_f64 v[44:45], -v[22:23], v[80:81], v[44:45]
	v_mov_b32_e32 v80, s34
	ds_read2_b64 v[80:83], v80 offset1:1
	s_addk_i32 s33, 0xff90
	s_waitcnt lgkmcnt(1)
	v_fma_f64 v[44:45], -v[24:25], v[86:87], v[44:45]
	v_mov_b32_e32 v88, s33
	ds_read2_b64 v[88:91], v88 offset1:1
	v_fma_f64 v[44:45], -v[26:27], v[84:85], v[44:45]
	s_waitcnt lgkmcnt(1)
	v_fma_f64 v[44:45], -v[30:31], v[82:83], v[44:45]
	s_add_i32 s33, s9, 0xffffee78
	v_fma_f64 v[44:45], -v[32:33], v[80:81], v[44:45]
	v_mov_b32_e32 v80, s33
	ds_read2_b64 v[80:83], v80 offset1:1
	s_add_i32 s29, s29, s31
	s_waitcnt lgkmcnt(1)
	v_fma_f64 v[44:45], -v[36:37], v[90:91], v[44:45]
	s_lshl_b32 s29, s29, 3
	v_fma_f64 v[44:45], -v[38:39], v[88:89], v[44:45]
	s_add_i32 s33, s29, -8
	v_mov_b32_e32 v84, s33
	s_waitcnt lgkmcnt(0)
	v_fma_f64 v[44:45], -v[42:43], v[82:83], v[44:45]
	ds_read2_b64 v[84:87], v84 offset1:1
	v_mul_f64 v[44:45], v[80:81], v[44:45]
	s_sub_i32 s33, s29, 24
	ds_write_b64 v79, v[44:45] offset:8192
	v_mov_b32_e32 v79, s33
	ds_read2_b64 v[80:83], v79 offset1:1
	s_sub_i32 s33, s29, 40
	v_mov_b32_e32 v79, s33
	s_waitcnt lgkmcnt(2)
	v_fma_f64 v[48:49], -v[4:5], v[86:87], v[48:49]
	ds_read2_b64 v[88:91], v79 offset1:1
	v_fma_f64 v[48:49], -v[8:9], v[84:85], v[48:49]
	s_sub_i32 s33, s29, 56
	s_waitcnt lgkmcnt(1)
	v_fma_f64 v[48:49], -v[6:7], v[82:83], v[48:49]
	v_mov_b32_e32 v79, s33
	v_fma_f64 v[48:49], -v[10:11], v[80:81], v[48:49]
	ds_read2_b64 v[80:83], v79 offset1:1
	s_add_i32 s33, s29, 0xffffffb8
	s_waitcnt lgkmcnt(1)
	v_fma_f64 v[48:49], -v[12:13], v[90:91], v[48:49]
	v_mov_b32_e32 v79, s33
	v_fma_f64 v[48:49], -v[14:15], v[88:89], v[48:49]
	ds_read2_b64 v[84:87], v79 offset1:1
	s_add_i32 s33, s29, 0xffffffa8
	;; [unrolled: 6-line block ×3, first 2 shown]
	v_mov_b32_e32 v79, s33
	s_waitcnt lgkmcnt(1)
	v_fma_f64 v[48:49], -v[22:23], v[86:87], v[48:49]
	ds_read2_b64 v[88:91], v79 offset1:1
	v_fma_f64 v[48:49], -v[24:25], v[84:85], v[48:49]
	s_addk_i32 s29, 0xff88
	s_waitcnt lgkmcnt(1)
	v_fma_f64 v[48:49], -v[26:27], v[82:83], v[48:49]
	v_mov_b32_e32 v79, s29
	v_fma_f64 v[48:49], -v[30:31], v[80:81], v[48:49]
	ds_read2_b64 v[80:83], v79 offset1:1
	s_add_i32 s29, s9, 0xffffed70
	s_waitcnt lgkmcnt(1)
	v_fma_f64 v[48:49], -v[32:33], v[90:91], v[48:49]
	v_mov_b32_e32 v79, s29
	s_add_i32 s28, s28, s31
	v_fma_f64 v[48:49], -v[36:37], v[88:89], v[48:49]
	ds_read2_b64 v[84:87], v79 offset1:1
	s_lshl_b32 s28, s28, 3
	s_waitcnt lgkmcnt(1)
	v_fma_f64 v[48:49], -v[38:39], v[82:83], v[48:49]
	s_add_i32 s29, s28, -16
	v_fma_f64 v[48:49], -v[42:43], v[80:81], v[48:49]
	v_mov_b32_e32 v79, s28
	v_mov_b32_e32 v80, s29
	ds_read_b64 v[88:89], v79
	ds_read2_b64 v[80:83], v80 offset1:1
	s_waitcnt lgkmcnt(2)
	v_fma_f64 v[48:49], -v[44:45], v[86:87], v[48:49]
	v_mul_f64 v[48:49], v[84:85], v[48:49]
	s_sub_i32 s29, s28, 32
	ds_write_b64 v78, v[48:49] offset:8192
	s_waitcnt lgkmcnt(2)
	v_fma_f64 v[52:53], -v[4:5], v[88:89], v[52:53]
	v_mov_b32_e32 v78, s29
	s_waitcnt lgkmcnt(1)
	v_fma_f64 v[52:53], -v[8:9], v[82:83], v[52:53]
	ds_read2_b64 v[82:85], v78 offset1:1
	s_sub_i32 s29, s28, 48
	v_mov_b32_e32 v78, s29
	v_fma_f64 v[52:53], -v[6:7], v[80:81], v[52:53]
	ds_read2_b64 v[78:81], v78 offset1:1
	s_waitcnt lgkmcnt(1)
	v_fma_f64 v[52:53], -v[10:11], v[84:85], v[52:53]
	s_sub_i32 s29, s28, 64
	v_fma_f64 v[52:53], -v[12:13], v[82:83], v[52:53]
	v_mov_b32_e32 v82, s29
	ds_read2_b64 v[82:85], v82 offset1:1
	s_add_i32 s29, s28, 0xffffffb0
	v_mov_b32_e32 v86, s29
	ds_read2_b64 v[86:89], v86 offset1:1
	s_waitcnt lgkmcnt(2)
	v_fma_f64 v[52:53], -v[14:15], v[80:81], v[52:53]
	s_add_i32 s29, s28, 0xffffffa0
	v_fma_f64 v[52:53], -v[16:17], v[78:79], v[52:53]
	v_mov_b32_e32 v78, s29
	ds_read2_b64 v[78:81], v78 offset1:1
	s_waitcnt lgkmcnt(2)
	v_fma_f64 v[52:53], -v[18:19], v[84:85], v[52:53]
	v_fma_f64 v[52:53], -v[22:23], v[82:83], v[52:53]
	s_waitcnt lgkmcnt(1)
	v_fma_f64 v[52:53], -v[24:25], v[88:89], v[52:53]
	s_add_i32 s29, s28, 0xffffff90
	v_fma_f64 v[52:53], -v[26:27], v[86:87], v[52:53]
	v_mov_b32_e32 v82, s29
	ds_read2_b64 v[82:85], v82 offset1:1
	s_waitcnt lgkmcnt(1)
	v_fma_f64 v[52:53], -v[30:31], v[80:81], v[52:53]
	s_addk_i32 s28, 0xff80
	v_fma_f64 v[52:53], -v[32:33], v[78:79], v[52:53]
	v_mov_b32_e32 v78, s28
	ds_read2_b64 v[78:81], v78 offset1:1
	s_add_i32 s28, s9, 0xffffec68
	v_mov_b32_e32 v86, s28
	ds_read2_b64 v[86:89], v86 offset1:1
	s_waitcnt lgkmcnt(2)
	v_fma_f64 v[52:53], -v[36:37], v[84:85], v[52:53]
	s_add_i32 s27, s27, s31
	v_fma_f64 v[52:53], -v[38:39], v[82:83], v[52:53]
	s_lshl_b32 s27, s27, 3
	s_waitcnt lgkmcnt(1)
	v_fma_f64 v[52:53], -v[42:43], v[80:81], v[52:53]
	s_add_i32 s28, s27, -8
	v_fma_f64 v[52:53], -v[44:45], v[78:79], v[52:53]
	v_mov_b32_e32 v78, s28
	ds_read2_b64 v[78:81], v78 offset1:1
	s_waitcnt lgkmcnt(1)
	v_fma_f64 v[52:53], -v[48:49], v[88:89], v[52:53]
	v_mul_f64 v[52:53], v[86:87], v[52:53]
	s_sub_i32 s28, s27, 24
	ds_write_b64 v77, v[52:53] offset:8192
	v_mov_b32_e32 v77, s28
	ds_read2_b64 v[82:85], v77 offset1:1
	s_sub_i32 s28, s27, 40
	s_waitcnt lgkmcnt(2)
	v_fma_f64 v[54:55], -v[4:5], v[80:81], v[54:55]
	v_mov_b32_e32 v77, s28
	v_fma_f64 v[54:55], -v[8:9], v[78:79], v[54:55]
	ds_read2_b64 v[78:81], v77 offset1:1
	s_sub_i32 s28, s27, 56
	v_mov_b32_e32 v77, s28
	s_waitcnt lgkmcnt(1)
	v_fma_f64 v[54:55], -v[6:7], v[84:85], v[54:55]
	ds_read2_b64 v[86:89], v77 offset1:1
	v_fma_f64 v[54:55], -v[10:11], v[82:83], v[54:55]
	s_add_i32 s28, s27, 0xffffffb8
	s_waitcnt lgkmcnt(1)
	v_fma_f64 v[54:55], -v[12:13], v[80:81], v[54:55]
	v_mov_b32_e32 v77, s28
	v_fma_f64 v[54:55], -v[14:15], v[78:79], v[54:55]
	ds_read2_b64 v[78:81], v77 offset1:1
	s_add_i32 s28, s27, 0xffffffa8
	s_waitcnt lgkmcnt(1)
	v_fma_f64 v[54:55], -v[16:17], v[88:89], v[54:55]
	v_mov_b32_e32 v77, s28
	v_fma_f64 v[54:55], -v[18:19], v[86:87], v[54:55]
	ds_read2_b64 v[82:85], v77 offset1:1
	;; [unrolled: 6-line block ×3, first 2 shown]
	s_add_i32 s28, s27, 0xffffff88
	v_mov_b32_e32 v77, s28
	s_waitcnt lgkmcnt(1)
	v_fma_f64 v[54:55], -v[26:27], v[84:85], v[54:55]
	ds_read2_b64 v[86:89], v77 offset1:1
	v_fma_f64 v[54:55], -v[30:31], v[82:83], v[54:55]
	s_addk_i32 s27, 0xff78
	s_waitcnt lgkmcnt(1)
	v_fma_f64 v[54:55], -v[32:33], v[80:81], v[54:55]
	v_mov_b32_e32 v77, s27
	v_fma_f64 v[54:55], -v[36:37], v[78:79], v[54:55]
	ds_read2_b64 v[78:81], v77 offset1:1
	s_add_i32 s27, s9, 0xffffeb60
	s_waitcnt lgkmcnt(1)
	v_fma_f64 v[54:55], -v[38:39], v[88:89], v[54:55]
	v_mov_b32_e32 v77, s27
	s_add_i32 s26, s26, s31
	v_fma_f64 v[54:55], -v[42:43], v[86:87], v[54:55]
	ds_read2_b64 v[82:85], v77 offset1:1
	s_lshl_b32 s26, s26, 3
	s_waitcnt lgkmcnt(1)
	v_fma_f64 v[54:55], -v[44:45], v[80:81], v[54:55]
	s_add_i32 s27, s26, -16
	v_fma_f64 v[54:55], -v[48:49], v[78:79], v[54:55]
	v_mov_b32_e32 v77, s26
	v_mov_b32_e32 v78, s27
	ds_read_b64 v[86:87], v77
	ds_read2_b64 v[78:81], v78 offset1:1
	s_waitcnt lgkmcnt(2)
	v_fma_f64 v[54:55], -v[52:53], v[84:85], v[54:55]
	v_mul_f64 v[54:55], v[82:83], v[54:55]
	s_sub_i32 s27, s26, 32
	ds_write_b64 v76, v[54:55] offset:8192
	s_waitcnt lgkmcnt(2)
	v_fma_f64 v[58:59], -v[4:5], v[86:87], v[58:59]
	v_mov_b32_e32 v76, s27
	s_waitcnt lgkmcnt(1)
	v_fma_f64 v[58:59], -v[8:9], v[80:81], v[58:59]
	ds_read2_b64 v[80:83], v76 offset1:1
	s_sub_i32 s27, s26, 48
	v_mov_b32_e32 v76, s27
	v_fma_f64 v[58:59], -v[6:7], v[78:79], v[58:59]
	ds_read2_b64 v[76:79], v76 offset1:1
	s_waitcnt lgkmcnt(1)
	v_fma_f64 v[58:59], -v[10:11], v[82:83], v[58:59]
	s_sub_i32 s27, s26, 64
	v_fma_f64 v[58:59], -v[12:13], v[80:81], v[58:59]
	v_mov_b32_e32 v80, s27
	ds_read2_b64 v[80:83], v80 offset1:1
	s_add_i32 s27, s26, 0xffffffb0
	v_mov_b32_e32 v84, s27
	ds_read2_b64 v[84:87], v84 offset1:1
	s_waitcnt lgkmcnt(2)
	v_fma_f64 v[58:59], -v[14:15], v[78:79], v[58:59]
	s_add_i32 s27, s26, 0xffffffa0
	v_fma_f64 v[58:59], -v[16:17], v[76:77], v[58:59]
	v_mov_b32_e32 v76, s27
	ds_read2_b64 v[76:79], v76 offset1:1
	s_waitcnt lgkmcnt(2)
	v_fma_f64 v[58:59], -v[18:19], v[82:83], v[58:59]
	v_fma_f64 v[58:59], -v[22:23], v[80:81], v[58:59]
	s_waitcnt lgkmcnt(1)
	v_fma_f64 v[58:59], -v[24:25], v[86:87], v[58:59]
	s_add_i32 s27, s26, 0xffffff90
	v_fma_f64 v[58:59], -v[26:27], v[84:85], v[58:59]
	v_mov_b32_e32 v80, s27
	ds_read2_b64 v[80:83], v80 offset1:1
	s_waitcnt lgkmcnt(1)
	v_fma_f64 v[58:59], -v[30:31], v[78:79], v[58:59]
	s_add_i32 s27, s26, 0xffffff80
	v_fma_f64 v[58:59], -v[32:33], v[76:77], v[58:59]
	v_mov_b32_e32 v76, s27
	ds_read2_b64 v[76:79], v76 offset1:1
	s_addk_i32 s26, 0xff70
	s_waitcnt lgkmcnt(1)
	v_fma_f64 v[58:59], -v[36:37], v[82:83], v[58:59]
	v_mov_b32_e32 v84, s26
	ds_read2_b64 v[84:87], v84 offset1:1
	v_fma_f64 v[58:59], -v[38:39], v[80:81], v[58:59]
	s_waitcnt lgkmcnt(1)
	v_fma_f64 v[58:59], -v[42:43], v[78:79], v[58:59]
	s_add_i32 s26, s9, 0xffffea58
	v_fma_f64 v[58:59], -v[44:45], v[76:77], v[58:59]
	v_mov_b32_e32 v76, s26
	ds_read2_b64 v[76:79], v76 offset1:1
	s_add_i32 s25, s25, s31
	s_waitcnt lgkmcnt(1)
	v_fma_f64 v[58:59], -v[48:49], v[86:87], v[58:59]
	s_lshl_b32 s25, s25, 3
	v_fma_f64 v[58:59], -v[52:53], v[84:85], v[58:59]
	s_add_i32 s26, s25, -8
	v_mov_b32_e32 v80, s26
	s_waitcnt lgkmcnt(0)
	v_fma_f64 v[58:59], -v[54:55], v[78:79], v[58:59]
	ds_read2_b64 v[80:83], v80 offset1:1
	v_mul_f64 v[58:59], v[76:77], v[58:59]
	s_sub_i32 s26, s25, 24
	ds_write_b64 v75, v[58:59] offset:8192
	v_mov_b32_e32 v75, s26
	ds_read2_b64 v[76:79], v75 offset1:1
	s_sub_i32 s26, s25, 40
	v_mov_b32_e32 v75, s26
	s_waitcnt lgkmcnt(2)
	v_fma_f64 v[62:63], -v[4:5], v[82:83], v[62:63]
	ds_read2_b64 v[84:87], v75 offset1:1
	v_fma_f64 v[62:63], -v[8:9], v[80:81], v[62:63]
	s_sub_i32 s26, s25, 56
	s_waitcnt lgkmcnt(1)
	v_fma_f64 v[62:63], -v[6:7], v[78:79], v[62:63]
	v_mov_b32_e32 v75, s26
	v_fma_f64 v[62:63], -v[10:11], v[76:77], v[62:63]
	ds_read2_b64 v[76:79], v75 offset1:1
	s_add_i32 s26, s25, 0xffffffb8
	s_waitcnt lgkmcnt(1)
	v_fma_f64 v[62:63], -v[12:13], v[86:87], v[62:63]
	v_mov_b32_e32 v75, s26
	v_fma_f64 v[62:63], -v[14:15], v[84:85], v[62:63]
	ds_read2_b64 v[80:83], v75 offset1:1
	s_add_i32 s26, s25, 0xffffffa8
	;; [unrolled: 6-line block ×3, first 2 shown]
	v_mov_b32_e32 v75, s26
	s_waitcnt lgkmcnt(1)
	v_fma_f64 v[62:63], -v[22:23], v[82:83], v[62:63]
	ds_read2_b64 v[84:87], v75 offset1:1
	v_fma_f64 v[62:63], -v[24:25], v[80:81], v[62:63]
	s_add_i32 s26, s25, 0xffffff88
	s_waitcnt lgkmcnt(1)
	v_fma_f64 v[62:63], -v[26:27], v[78:79], v[62:63]
	v_mov_b32_e32 v75, s26
	v_fma_f64 v[62:63], -v[30:31], v[76:77], v[62:63]
	ds_read2_b64 v[76:79], v75 offset1:1
	s_add_i32 s26, s25, 0xffffff78
	s_waitcnt lgkmcnt(1)
	v_fma_f64 v[62:63], -v[32:33], v[86:87], v[62:63]
	v_mov_b32_e32 v75, s26
	v_fma_f64 v[62:63], -v[36:37], v[84:85], v[62:63]
	ds_read2_b64 v[80:83], v75 offset1:1
	s_addk_i32 s25, 0xff68
	s_waitcnt lgkmcnt(1)
	v_fma_f64 v[62:63], -v[38:39], v[78:79], v[62:63]
	v_mov_b32_e32 v75, s25
	v_fma_f64 v[62:63], -v[42:43], v[76:77], v[62:63]
	s_add_i32 s25, s9, 0xffffe950
	ds_read2_b64 v[76:79], v75 offset1:1
	v_mov_b32_e32 v75, s25
	ds_read2_b64 v[84:87], v75 offset1:1
	s_waitcnt lgkmcnt(2)
	v_fma_f64 v[62:63], -v[44:45], v[82:83], v[62:63]
	v_fma_f64 v[62:63], -v[48:49], v[80:81], v[62:63]
	s_add_i32 s21, s21, s31
	s_waitcnt lgkmcnt(1)
	v_fma_f64 v[62:63], -v[52:53], v[78:79], v[62:63]
	s_lshl_b32 s21, s21, 3
	v_fma_f64 v[62:63], -v[54:55], v[76:77], v[62:63]
	v_mov_b32_e32 v75, s21
	s_waitcnt lgkmcnt(0)
	v_fma_f64 v[62:63], -v[58:59], v[86:87], v[62:63]
	ds_read_b64 v[78:79], v75
	v_mul_f64 v[62:63], v[84:85], v[62:63]
	s_add_i32 s25, s21, -16
	ds_write_b64 v74, v[62:63] offset:8192
	v_mov_b32_e32 v74, s25
	ds_read2_b64 v[74:77], v74 offset1:1
	s_sub_i32 s25, s21, 32
	s_waitcnt lgkmcnt(2)
	v_fma_f64 v[64:65], -v[4:5], v[78:79], v[64:65]
	v_mov_b32_e32 v78, s25
	ds_read2_b64 v[78:81], v78 offset1:1
	s_sub_i32 s25, s21, 48
	v_mov_b32_e32 v82, s25
	ds_read2_b64 v[82:85], v82 offset1:1
	s_waitcnt lgkmcnt(2)
	v_fma_f64 v[64:65], -v[8:9], v[76:77], v[64:65]
	s_sub_i32 s25, s21, 64
	v_fma_f64 v[64:65], -v[6:7], v[74:75], v[64:65]
	v_mov_b32_e32 v74, s25
	ds_read2_b64 v[74:77], v74 offset1:1
	s_waitcnt lgkmcnt(2)
	v_fma_f64 v[64:65], -v[10:11], v[80:81], v[64:65]
	v_fma_f64 v[64:65], -v[12:13], v[78:79], v[64:65]
	s_waitcnt lgkmcnt(1)
	v_fma_f64 v[64:65], -v[14:15], v[84:85], v[64:65]
	s_add_i32 s25, s21, 0xffffffb0
	v_fma_f64 v[64:65], -v[16:17], v[82:83], v[64:65]
	v_mov_b32_e32 v78, s25
	ds_read2_b64 v[78:81], v78 offset1:1
	s_waitcnt lgkmcnt(1)
	v_fma_f64 v[64:65], -v[18:19], v[76:77], v[64:65]
	s_add_i32 s25, s21, 0xffffffa0
	v_fma_f64 v[64:65], -v[22:23], v[74:75], v[64:65]
	v_mov_b32_e32 v74, s25
	ds_read2_b64 v[74:77], v74 offset1:1
	s_add_i32 s25, s21, 0xffffff90
	s_waitcnt lgkmcnt(1)
	v_fma_f64 v[64:65], -v[24:25], v[80:81], v[64:65]
	v_mov_b32_e32 v82, s25
	ds_read2_b64 v[82:85], v82 offset1:1
	v_fma_f64 v[64:65], -v[26:27], v[78:79], v[64:65]
	s_waitcnt lgkmcnt(1)
	v_fma_f64 v[64:65], -v[30:31], v[76:77], v[64:65]
	s_add_i32 s25, s21, 0xffffff80
	v_fma_f64 v[64:65], -v[32:33], v[74:75], v[64:65]
	v_mov_b32_e32 v74, s25
	ds_read2_b64 v[74:77], v74 offset1:1
	s_waitcnt lgkmcnt(1)
	v_fma_f64 v[64:65], -v[36:37], v[84:85], v[64:65]
	s_add_i32 s25, s21, 0xffffff70
	v_fma_f64 v[64:65], -v[38:39], v[82:83], v[64:65]
	v_mov_b32_e32 v78, s25
	ds_read2_b64 v[78:81], v78 offset1:1
	s_waitcnt lgkmcnt(1)
	v_fma_f64 v[64:65], -v[42:43], v[76:77], v[64:65]
	s_addk_i32 s21, 0xff60
	v_fma_f64 v[64:65], -v[44:45], v[74:75], v[64:65]
	v_mov_b32_e32 v74, s21
	ds_read2_b64 v[74:77], v74 offset1:1
	s_add_i32 s21, s9, 0xffffe848
	v_mov_b32_e32 v82, s21
	ds_read2_b64 v[82:85], v82 offset1:1
	s_waitcnt lgkmcnt(2)
	v_fma_f64 v[64:65], -v[48:49], v[80:81], v[64:65]
	s_add_i32 s20, s20, s31
	v_fma_f64 v[64:65], -v[52:53], v[78:79], v[64:65]
	s_lshl_b32 s20, s20, 3
	s_waitcnt lgkmcnt(1)
	v_fma_f64 v[64:65], -v[54:55], v[76:77], v[64:65]
	s_add_i32 s21, s20, -8
	v_fma_f64 v[64:65], -v[58:59], v[74:75], v[64:65]
	v_mov_b32_e32 v74, s21
	ds_read2_b64 v[74:77], v74 offset1:1
	s_waitcnt lgkmcnt(1)
	v_fma_f64 v[64:65], -v[62:63], v[84:85], v[64:65]
	v_mul_f64 v[64:65], v[82:83], v[64:65]
	s_sub_i32 s21, s20, 24
	ds_write_b64 v73, v[64:65] offset:8192
	v_mov_b32_e32 v73, s21
	ds_read2_b64 v[78:81], v73 offset1:1
	s_sub_i32 s21, s20, 40
	s_waitcnt lgkmcnt(2)
	v_fma_f64 v[60:61], -v[4:5], v[76:77], v[60:61]
	v_mov_b32_e32 v73, s21
	v_fma_f64 v[60:61], -v[8:9], v[74:75], v[60:61]
	ds_read2_b64 v[74:77], v73 offset1:1
	s_sub_i32 s21, s20, 56
	v_mov_b32_e32 v73, s21
	s_waitcnt lgkmcnt(1)
	v_fma_f64 v[60:61], -v[6:7], v[80:81], v[60:61]
	ds_read2_b64 v[82:85], v73 offset1:1
	v_fma_f64 v[60:61], -v[10:11], v[78:79], v[60:61]
	s_add_i32 s21, s20, 0xffffffb8
	s_waitcnt lgkmcnt(1)
	v_fma_f64 v[60:61], -v[12:13], v[76:77], v[60:61]
	v_mov_b32_e32 v73, s21
	v_fma_f64 v[60:61], -v[14:15], v[74:75], v[60:61]
	ds_read2_b64 v[74:77], v73 offset1:1
	s_add_i32 s21, s20, 0xffffffa8
	s_waitcnt lgkmcnt(1)
	v_fma_f64 v[60:61], -v[16:17], v[84:85], v[60:61]
	v_mov_b32_e32 v73, s21
	v_fma_f64 v[60:61], -v[18:19], v[82:83], v[60:61]
	ds_read2_b64 v[78:81], v73 offset1:1
	;; [unrolled: 6-line block ×3, first 2 shown]
	s_add_i32 s21, s20, 0xffffff88
	v_mov_b32_e32 v73, s21
	s_waitcnt lgkmcnt(1)
	v_fma_f64 v[60:61], -v[26:27], v[80:81], v[60:61]
	ds_read2_b64 v[82:85], v73 offset1:1
	v_fma_f64 v[60:61], -v[30:31], v[78:79], v[60:61]
	s_add_i32 s21, s20, 0xffffff78
	s_waitcnt lgkmcnt(1)
	v_fma_f64 v[60:61], -v[32:33], v[76:77], v[60:61]
	v_mov_b32_e32 v73, s21
	v_fma_f64 v[60:61], -v[36:37], v[74:75], v[60:61]
	ds_read2_b64 v[74:77], v73 offset1:1
	s_add_i32 s21, s20, 0xffffff68
	s_waitcnt lgkmcnt(1)
	v_fma_f64 v[60:61], -v[38:39], v[84:85], v[60:61]
	v_mov_b32_e32 v73, s21
	v_fma_f64 v[60:61], -v[42:43], v[82:83], v[60:61]
	ds_read2_b64 v[78:81], v73 offset1:1
	s_addk_i32 s20, 0xff58
	s_waitcnt lgkmcnt(1)
	v_fma_f64 v[60:61], -v[44:45], v[76:77], v[60:61]
	v_mov_b32_e32 v73, s20
	v_fma_f64 v[60:61], -v[48:49], v[74:75], v[60:61]
	s_add_i32 s20, s9, 0xffffe740
	ds_read2_b64 v[74:77], v73 offset1:1
	v_mov_b32_e32 v73, s20
	ds_read2_b64 v[82:85], v73 offset1:1
	s_waitcnt lgkmcnt(2)
	v_fma_f64 v[60:61], -v[52:53], v[80:81], v[60:61]
	v_fma_f64 v[60:61], -v[54:55], v[78:79], v[60:61]
	s_add_i32 s19, s19, s31
	s_waitcnt lgkmcnt(1)
	v_fma_f64 v[60:61], -v[58:59], v[76:77], v[60:61]
	s_lshl_b32 s19, s19, 3
	v_fma_f64 v[60:61], -v[62:63], v[74:75], v[60:61]
	v_mov_b32_e32 v73, s19
	s_waitcnt lgkmcnt(0)
	v_fma_f64 v[60:61], -v[64:65], v[84:85], v[60:61]
	ds_read_b64 v[76:77], v73
	v_mul_f64 v[60:61], v[82:83], v[60:61]
	s_add_i32 s20, s19, -16
	ds_write_b64 v72, v[60:61] offset:8192
	v_mov_b32_e32 v72, s20
	ds_read2_b64 v[72:75], v72 offset1:1
	s_sub_i32 s20, s19, 32
	s_waitcnt lgkmcnt(2)
	v_fma_f64 v[56:57], -v[4:5], v[76:77], v[56:57]
	v_mov_b32_e32 v76, s20
	ds_read2_b64 v[76:79], v76 offset1:1
	s_sub_i32 s20, s19, 48
	v_mov_b32_e32 v80, s20
	ds_read2_b64 v[80:83], v80 offset1:1
	s_waitcnt lgkmcnt(2)
	v_fma_f64 v[56:57], -v[8:9], v[74:75], v[56:57]
	s_sub_i32 s20, s19, 64
	v_fma_f64 v[56:57], -v[6:7], v[72:73], v[56:57]
	v_mov_b32_e32 v72, s20
	ds_read2_b64 v[72:75], v72 offset1:1
	s_waitcnt lgkmcnt(2)
	v_fma_f64 v[56:57], -v[10:11], v[78:79], v[56:57]
	v_fma_f64 v[56:57], -v[12:13], v[76:77], v[56:57]
	s_waitcnt lgkmcnt(1)
	v_fma_f64 v[56:57], -v[14:15], v[82:83], v[56:57]
	s_add_i32 s20, s19, 0xffffffb0
	v_fma_f64 v[56:57], -v[16:17], v[80:81], v[56:57]
	v_mov_b32_e32 v76, s20
	ds_read2_b64 v[76:79], v76 offset1:1
	s_waitcnt lgkmcnt(1)
	v_fma_f64 v[56:57], -v[18:19], v[74:75], v[56:57]
	s_add_i32 s20, s19, 0xffffffa0
	v_fma_f64 v[56:57], -v[22:23], v[72:73], v[56:57]
	v_mov_b32_e32 v72, s20
	ds_read2_b64 v[72:75], v72 offset1:1
	s_add_i32 s20, s19, 0xffffff90
	s_waitcnt lgkmcnt(1)
	v_fma_f64 v[56:57], -v[24:25], v[78:79], v[56:57]
	v_mov_b32_e32 v80, s20
	ds_read2_b64 v[80:83], v80 offset1:1
	v_fma_f64 v[56:57], -v[26:27], v[76:77], v[56:57]
	s_waitcnt lgkmcnt(1)
	v_fma_f64 v[56:57], -v[30:31], v[74:75], v[56:57]
	s_add_i32 s20, s19, 0xffffff80
	v_fma_f64 v[56:57], -v[32:33], v[72:73], v[56:57]
	v_mov_b32_e32 v72, s20
	ds_read2_b64 v[72:75], v72 offset1:1
	s_waitcnt lgkmcnt(1)
	v_fma_f64 v[56:57], -v[36:37], v[82:83], v[56:57]
	s_add_i32 s20, s19, 0xffffff70
	v_fma_f64 v[56:57], -v[38:39], v[80:81], v[56:57]
	v_mov_b32_e32 v76, s20
	ds_read2_b64 v[76:79], v76 offset1:1
	;; [unrolled: 6-line block ×3, first 2 shown]
	s_addk_i32 s19, 0xff50
	s_waitcnt lgkmcnt(1)
	v_fma_f64 v[56:57], -v[48:49], v[78:79], v[56:57]
	v_mov_b32_e32 v80, s19
	ds_read2_b64 v[80:83], v80 offset1:1
	v_fma_f64 v[56:57], -v[52:53], v[76:77], v[56:57]
	s_waitcnt lgkmcnt(1)
	v_fma_f64 v[56:57], -v[54:55], v[74:75], v[56:57]
	s_add_i32 s19, s9, 0xffffe638
	v_fma_f64 v[56:57], -v[58:59], v[72:73], v[56:57]
	v_mov_b32_e32 v72, s19
	ds_read2_b64 v[72:75], v72 offset1:1
	s_add_i32 s18, s18, s31
	s_waitcnt lgkmcnt(1)
	v_fma_f64 v[56:57], -v[62:63], v[82:83], v[56:57]
	s_lshl_b32 s18, s18, 3
	v_fma_f64 v[56:57], -v[64:65], v[80:81], v[56:57]
	s_add_i32 s19, s18, -8
	v_mov_b32_e32 v76, s19
	s_waitcnt lgkmcnt(0)
	v_fma_f64 v[56:57], -v[60:61], v[74:75], v[56:57]
	ds_read2_b64 v[76:79], v76 offset1:1
	v_mul_f64 v[56:57], v[72:73], v[56:57]
	s_sub_i32 s19, s18, 24
	ds_write_b64 v71, v[56:57] offset:8192
	v_mov_b32_e32 v71, s19
	ds_read2_b64 v[72:75], v71 offset1:1
	s_sub_i32 s19, s18, 40
	v_mov_b32_e32 v71, s19
	s_waitcnt lgkmcnt(2)
	v_fma_f64 v[50:51], -v[4:5], v[78:79], v[50:51]
	ds_read2_b64 v[80:83], v71 offset1:1
	v_fma_f64 v[50:51], -v[8:9], v[76:77], v[50:51]
	s_sub_i32 s19, s18, 56
	s_waitcnt lgkmcnt(1)
	v_fma_f64 v[50:51], -v[6:7], v[74:75], v[50:51]
	v_mov_b32_e32 v71, s19
	v_fma_f64 v[50:51], -v[10:11], v[72:73], v[50:51]
	ds_read2_b64 v[72:75], v71 offset1:1
	s_add_i32 s19, s18, 0xffffffb8
	s_waitcnt lgkmcnt(1)
	v_fma_f64 v[50:51], -v[12:13], v[82:83], v[50:51]
	v_mov_b32_e32 v71, s19
	v_fma_f64 v[50:51], -v[14:15], v[80:81], v[50:51]
	ds_read2_b64 v[76:79], v71 offset1:1
	s_add_i32 s19, s18, 0xffffffa8
	;; [unrolled: 6-line block ×3, first 2 shown]
	v_mov_b32_e32 v71, s19
	s_waitcnt lgkmcnt(1)
	v_fma_f64 v[50:51], -v[22:23], v[78:79], v[50:51]
	ds_read2_b64 v[80:83], v71 offset1:1
	v_fma_f64 v[50:51], -v[24:25], v[76:77], v[50:51]
	s_add_i32 s19, s18, 0xffffff88
	s_waitcnt lgkmcnt(1)
	v_fma_f64 v[50:51], -v[26:27], v[74:75], v[50:51]
	v_mov_b32_e32 v71, s19
	v_fma_f64 v[50:51], -v[30:31], v[72:73], v[50:51]
	ds_read2_b64 v[72:75], v71 offset1:1
	s_add_i32 s19, s18, 0xffffff78
	s_waitcnt lgkmcnt(1)
	v_fma_f64 v[50:51], -v[32:33], v[82:83], v[50:51]
	v_mov_b32_e32 v71, s19
	v_fma_f64 v[50:51], -v[36:37], v[80:81], v[50:51]
	ds_read2_b64 v[76:79], v71 offset1:1
	;; [unrolled: 6-line block ×3, first 2 shown]
	s_add_i32 s19, s18, 0xffffff58
	v_mov_b32_e32 v71, s19
	s_waitcnt lgkmcnt(1)
	v_fma_f64 v[50:51], -v[44:45], v[78:79], v[50:51]
	ds_read2_b64 v[80:83], v71 offset1:1
	v_fma_f64 v[50:51], -v[48:49], v[76:77], v[50:51]
	s_addk_i32 s18, 0xff48
	s_waitcnt lgkmcnt(1)
	v_fma_f64 v[50:51], -v[52:53], v[74:75], v[50:51]
	v_mov_b32_e32 v71, s18
	v_fma_f64 v[50:51], -v[54:55], v[72:73], v[50:51]
	ds_read2_b64 v[72:75], v71 offset1:1
	s_add_i32 s18, s9, 0xffffe530
	s_waitcnt lgkmcnt(1)
	v_fma_f64 v[50:51], -v[58:59], v[82:83], v[50:51]
	v_mov_b32_e32 v71, s18
	s_add_i32 s17, s17, s31
	v_fma_f64 v[50:51], -v[62:63], v[80:81], v[50:51]
	ds_read2_b64 v[76:79], v71 offset1:1
	s_lshl_b32 s17, s17, 3
	s_waitcnt lgkmcnt(1)
	v_fma_f64 v[50:51], -v[64:65], v[74:75], v[50:51]
	s_add_i32 s18, s17, -16
	v_fma_f64 v[50:51], -v[60:61], v[72:73], v[50:51]
	v_mov_b32_e32 v71, s17
	v_mov_b32_e32 v72, s18
	ds_read_b64 v[80:81], v71
	ds_read2_b64 v[72:75], v72 offset1:1
	s_waitcnt lgkmcnt(2)
	v_fma_f64 v[50:51], -v[56:57], v[78:79], v[50:51]
	v_mul_f64 v[50:51], v[76:77], v[50:51]
	s_sub_i32 s18, s17, 32
	ds_write_b64 v70, v[50:51] offset:8192
	s_waitcnt lgkmcnt(2)
	v_fma_f64 v[46:47], -v[4:5], v[80:81], v[46:47]
	v_mov_b32_e32 v70, s18
	s_waitcnt lgkmcnt(1)
	v_fma_f64 v[46:47], -v[8:9], v[74:75], v[46:47]
	ds_read2_b64 v[74:77], v70 offset1:1
	s_sub_i32 s18, s17, 48
	v_mov_b32_e32 v70, s18
	v_fma_f64 v[46:47], -v[6:7], v[72:73], v[46:47]
	ds_read2_b64 v[70:73], v70 offset1:1
	s_waitcnt lgkmcnt(1)
	v_fma_f64 v[46:47], -v[10:11], v[76:77], v[46:47]
	s_sub_i32 s18, s17, 64
	v_fma_f64 v[46:47], -v[12:13], v[74:75], v[46:47]
	v_mov_b32_e32 v74, s18
	ds_read2_b64 v[74:77], v74 offset1:1
	s_add_i32 s18, s17, 0xffffffb0
	v_mov_b32_e32 v78, s18
	ds_read2_b64 v[78:81], v78 offset1:1
	s_waitcnt lgkmcnt(2)
	v_fma_f64 v[46:47], -v[14:15], v[72:73], v[46:47]
	s_add_i32 s18, s17, 0xffffffa0
	v_fma_f64 v[46:47], -v[16:17], v[70:71], v[46:47]
	v_mov_b32_e32 v70, s18
	ds_read2_b64 v[70:73], v70 offset1:1
	s_waitcnt lgkmcnt(2)
	v_fma_f64 v[46:47], -v[18:19], v[76:77], v[46:47]
	v_fma_f64 v[46:47], -v[22:23], v[74:75], v[46:47]
	s_waitcnt lgkmcnt(1)
	v_fma_f64 v[46:47], -v[24:25], v[80:81], v[46:47]
	s_add_i32 s18, s17, 0xffffff90
	v_fma_f64 v[46:47], -v[26:27], v[78:79], v[46:47]
	v_mov_b32_e32 v74, s18
	ds_read2_b64 v[74:77], v74 offset1:1
	s_waitcnt lgkmcnt(1)
	v_fma_f64 v[46:47], -v[30:31], v[72:73], v[46:47]
	s_add_i32 s18, s17, 0xffffff80
	v_fma_f64 v[46:47], -v[32:33], v[70:71], v[46:47]
	v_mov_b32_e32 v70, s18
	ds_read2_b64 v[70:73], v70 offset1:1
	s_add_i32 s18, s17, 0xffffff70
	s_waitcnt lgkmcnt(1)
	v_fma_f64 v[46:47], -v[36:37], v[76:77], v[46:47]
	v_mov_b32_e32 v78, s18
	ds_read2_b64 v[78:81], v78 offset1:1
	v_fma_f64 v[46:47], -v[38:39], v[74:75], v[46:47]
	s_waitcnt lgkmcnt(1)
	v_fma_f64 v[46:47], -v[42:43], v[72:73], v[46:47]
	s_add_i32 s18, s17, 0xffffff60
	v_fma_f64 v[46:47], -v[44:45], v[70:71], v[46:47]
	v_mov_b32_e32 v70, s18
	ds_read2_b64 v[70:73], v70 offset1:1
	s_waitcnt lgkmcnt(1)
	v_fma_f64 v[46:47], -v[48:49], v[80:81], v[46:47]
	s_add_i32 s18, s17, 0xffffff50
	v_fma_f64 v[46:47], -v[52:53], v[78:79], v[46:47]
	v_mov_b32_e32 v74, s18
	ds_read2_b64 v[74:77], v74 offset1:1
	s_waitcnt lgkmcnt(1)
	v_fma_f64 v[46:47], -v[54:55], v[72:73], v[46:47]
	s_addk_i32 s17, 0xff40
	v_fma_f64 v[46:47], -v[58:59], v[70:71], v[46:47]
	v_mov_b32_e32 v70, s17
	ds_read2_b64 v[70:73], v70 offset1:1
	s_add_i32 s17, s9, 0xffffe428
	v_mov_b32_e32 v78, s17
	ds_read2_b64 v[78:81], v78 offset1:1
	s_waitcnt lgkmcnt(2)
	v_fma_f64 v[46:47], -v[62:63], v[76:77], v[46:47]
	s_add_i32 s16, s16, s31
	v_fma_f64 v[46:47], -v[64:65], v[74:75], v[46:47]
	s_lshl_b32 s16, s16, 3
	s_waitcnt lgkmcnt(1)
	v_fma_f64 v[46:47], -v[60:61], v[72:73], v[46:47]
	s_add_i32 s17, s16, -8
	v_fma_f64 v[46:47], -v[56:57], v[70:71], v[46:47]
	v_mov_b32_e32 v70, s17
	ds_read2_b64 v[70:73], v70 offset1:1
	s_waitcnt lgkmcnt(1)
	v_fma_f64 v[46:47], -v[50:51], v[80:81], v[46:47]
	v_mul_f64 v[46:47], v[78:79], v[46:47]
	s_sub_i32 s17, s16, 24
	ds_write_b64 v69, v[46:47] offset:8192
	v_mov_b32_e32 v69, s17
	ds_read2_b64 v[74:77], v69 offset1:1
	s_sub_i32 s17, s16, 40
	s_waitcnt lgkmcnt(2)
	v_fma_f64 v[40:41], -v[4:5], v[72:73], v[40:41]
	v_mov_b32_e32 v69, s17
	v_fma_f64 v[40:41], -v[8:9], v[70:71], v[40:41]
	ds_read2_b64 v[70:73], v69 offset1:1
	s_sub_i32 s17, s16, 56
	v_mov_b32_e32 v69, s17
	s_waitcnt lgkmcnt(1)
	v_fma_f64 v[40:41], -v[6:7], v[76:77], v[40:41]
	ds_read2_b64 v[78:81], v69 offset1:1
	v_fma_f64 v[40:41], -v[10:11], v[74:75], v[40:41]
	s_add_i32 s17, s16, 0xffffffb8
	s_waitcnt lgkmcnt(1)
	v_fma_f64 v[40:41], -v[12:13], v[72:73], v[40:41]
	v_mov_b32_e32 v69, s17
	v_fma_f64 v[40:41], -v[14:15], v[70:71], v[40:41]
	ds_read2_b64 v[70:73], v69 offset1:1
	s_add_i32 s17, s16, 0xffffffa8
	s_waitcnt lgkmcnt(1)
	v_fma_f64 v[40:41], -v[16:17], v[80:81], v[40:41]
	v_mov_b32_e32 v69, s17
	v_fma_f64 v[40:41], -v[18:19], v[78:79], v[40:41]
	ds_read2_b64 v[74:77], v69 offset1:1
	;; [unrolled: 6-line block ×3, first 2 shown]
	s_add_i32 s17, s16, 0xffffff88
	v_mov_b32_e32 v69, s17
	s_waitcnt lgkmcnt(1)
	v_fma_f64 v[40:41], -v[26:27], v[76:77], v[40:41]
	ds_read2_b64 v[78:81], v69 offset1:1
	v_fma_f64 v[40:41], -v[30:31], v[74:75], v[40:41]
	s_add_i32 s17, s16, 0xffffff78
	s_waitcnt lgkmcnt(1)
	v_fma_f64 v[40:41], -v[32:33], v[72:73], v[40:41]
	v_mov_b32_e32 v69, s17
	v_fma_f64 v[40:41], -v[36:37], v[70:71], v[40:41]
	ds_read2_b64 v[70:73], v69 offset1:1
	s_add_i32 s17, s16, 0xffffff68
	s_waitcnt lgkmcnt(1)
	v_fma_f64 v[40:41], -v[38:39], v[80:81], v[40:41]
	v_mov_b32_e32 v69, s17
	v_fma_f64 v[40:41], -v[42:43], v[78:79], v[40:41]
	ds_read2_b64 v[74:77], v69 offset1:1
	;; [unrolled: 6-line block ×3, first 2 shown]
	s_add_i32 s17, s16, 0xffffff48
	v_mov_b32_e32 v69, s17
	s_waitcnt lgkmcnt(1)
	v_fma_f64 v[40:41], -v[52:53], v[76:77], v[40:41]
	ds_read2_b64 v[78:81], v69 offset1:1
	v_fma_f64 v[40:41], -v[54:55], v[74:75], v[40:41]
	s_addk_i32 s16, 0xff38
	s_waitcnt lgkmcnt(1)
	v_fma_f64 v[40:41], -v[58:59], v[72:73], v[40:41]
	v_mov_b32_e32 v69, s16
	v_fma_f64 v[40:41], -v[62:63], v[70:71], v[40:41]
	ds_read2_b64 v[70:73], v69 offset1:1
	s_add_i32 s16, s9, 0xffffe320
	s_waitcnt lgkmcnt(1)
	v_fma_f64 v[40:41], -v[64:65], v[80:81], v[40:41]
	v_mov_b32_e32 v69, s16
	s_add_i32 s13, s13, s31
	v_fma_f64 v[40:41], -v[60:61], v[78:79], v[40:41]
	ds_read2_b64 v[74:77], v69 offset1:1
	s_lshl_b32 s13, s13, 3
	s_waitcnt lgkmcnt(1)
	v_fma_f64 v[40:41], -v[56:57], v[72:73], v[40:41]
	s_add_i32 s16, s13, -16
	v_fma_f64 v[40:41], -v[50:51], v[70:71], v[40:41]
	v_mov_b32_e32 v69, s13
	v_mov_b32_e32 v70, s16
	ds_read_b64 v[78:79], v69
	ds_read2_b64 v[70:73], v70 offset1:1
	s_waitcnt lgkmcnt(2)
	v_fma_f64 v[40:41], -v[46:47], v[76:77], v[40:41]
	v_mul_f64 v[40:41], v[74:75], v[40:41]
	s_sub_i32 s16, s13, 32
	ds_write_b64 v68, v[40:41] offset:8192
	s_waitcnt lgkmcnt(2)
	v_fma_f64 v[34:35], -v[4:5], v[78:79], v[34:35]
	v_mov_b32_e32 v68, s16
	s_waitcnt lgkmcnt(1)
	v_fma_f64 v[34:35], -v[8:9], v[72:73], v[34:35]
	ds_read2_b64 v[72:75], v68 offset1:1
	s_sub_i32 s16, s13, 48
	v_mov_b32_e32 v68, s16
	v_fma_f64 v[34:35], -v[6:7], v[70:71], v[34:35]
	ds_read2_b64 v[68:71], v68 offset1:1
	s_waitcnt lgkmcnt(1)
	v_fma_f64 v[34:35], -v[10:11], v[74:75], v[34:35]
	s_sub_i32 s16, s13, 64
	v_fma_f64 v[34:35], -v[12:13], v[72:73], v[34:35]
	v_mov_b32_e32 v72, s16
	ds_read2_b64 v[72:75], v72 offset1:1
	s_add_i32 s16, s13, 0xffffffb0
	v_mov_b32_e32 v76, s16
	ds_read2_b64 v[76:79], v76 offset1:1
	s_waitcnt lgkmcnt(2)
	v_fma_f64 v[34:35], -v[14:15], v[70:71], v[34:35]
	s_add_i32 s16, s13, 0xffffffa0
	v_fma_f64 v[34:35], -v[16:17], v[68:69], v[34:35]
	v_mov_b32_e32 v68, s16
	ds_read2_b64 v[68:71], v68 offset1:1
	s_waitcnt lgkmcnt(2)
	v_fma_f64 v[34:35], -v[18:19], v[74:75], v[34:35]
	v_fma_f64 v[34:35], -v[22:23], v[72:73], v[34:35]
	s_waitcnt lgkmcnt(1)
	v_fma_f64 v[34:35], -v[24:25], v[78:79], v[34:35]
	s_add_i32 s16, s13, 0xffffff90
	v_fma_f64 v[34:35], -v[26:27], v[76:77], v[34:35]
	v_mov_b32_e32 v72, s16
	ds_read2_b64 v[72:75], v72 offset1:1
	s_waitcnt lgkmcnt(1)
	v_fma_f64 v[34:35], -v[30:31], v[70:71], v[34:35]
	s_add_i32 s16, s13, 0xffffff80
	v_fma_f64 v[34:35], -v[32:33], v[68:69], v[34:35]
	v_mov_b32_e32 v68, s16
	ds_read2_b64 v[68:71], v68 offset1:1
	s_add_i32 s16, s13, 0xffffff70
	s_waitcnt lgkmcnt(1)
	v_fma_f64 v[34:35], -v[36:37], v[74:75], v[34:35]
	v_mov_b32_e32 v76, s16
	ds_read2_b64 v[76:79], v76 offset1:1
	v_fma_f64 v[34:35], -v[38:39], v[72:73], v[34:35]
	s_waitcnt lgkmcnt(1)
	v_fma_f64 v[34:35], -v[42:43], v[70:71], v[34:35]
	s_add_i32 s16, s13, 0xffffff60
	v_fma_f64 v[34:35], -v[44:45], v[68:69], v[34:35]
	v_mov_b32_e32 v68, s16
	ds_read2_b64 v[68:71], v68 offset1:1
	s_waitcnt lgkmcnt(1)
	v_fma_f64 v[34:35], -v[48:49], v[78:79], v[34:35]
	s_add_i32 s16, s13, 0xffffff50
	v_fma_f64 v[34:35], -v[52:53], v[76:77], v[34:35]
	v_mov_b32_e32 v72, s16
	ds_read2_b64 v[72:75], v72 offset1:1
	;; [unrolled: 6-line block ×3, first 2 shown]
	s_addk_i32 s13, 0xff30
	s_waitcnt lgkmcnt(1)
	v_fma_f64 v[34:35], -v[62:63], v[74:75], v[34:35]
	v_mov_b32_e32 v76, s13
	ds_read2_b64 v[76:79], v76 offset1:1
	v_fma_f64 v[34:35], -v[64:65], v[72:73], v[34:35]
	s_waitcnt lgkmcnt(1)
	v_fma_f64 v[34:35], -v[60:61], v[70:71], v[34:35]
	s_add_i32 s13, s9, 0xffffe218
	v_fma_f64 v[34:35], -v[56:57], v[68:69], v[34:35]
	v_mov_b32_e32 v68, s13
	ds_read2_b64 v[68:71], v68 offset1:1
	s_add_i32 s12, s12, s31
	s_waitcnt lgkmcnt(1)
	v_fma_f64 v[34:35], -v[50:51], v[78:79], v[34:35]
	s_lshl_b32 s12, s12, 3
	v_fma_f64 v[34:35], -v[46:47], v[76:77], v[34:35]
	s_add_i32 s13, s12, -8
	v_mov_b32_e32 v72, s13
	s_waitcnt lgkmcnt(0)
	v_fma_f64 v[34:35], -v[40:41], v[70:71], v[34:35]
	ds_read2_b64 v[72:75], v72 offset1:1
	v_mul_f64 v[34:35], v[68:69], v[34:35]
	s_sub_i32 s13, s12, 24
	ds_write_b64 v67, v[34:35] offset:8192
	v_mov_b32_e32 v67, s13
	ds_read2_b64 v[68:71], v67 offset1:1
	s_sub_i32 s13, s12, 40
	v_mov_b32_e32 v67, s13
	s_waitcnt lgkmcnt(2)
	v_fma_f64 v[28:29], -v[4:5], v[74:75], v[28:29]
	ds_read2_b64 v[76:79], v67 offset1:1
	v_fma_f64 v[28:29], -v[8:9], v[72:73], v[28:29]
	s_sub_i32 s13, s12, 56
	s_waitcnt lgkmcnt(1)
	v_fma_f64 v[28:29], -v[6:7], v[70:71], v[28:29]
	v_mov_b32_e32 v67, s13
	v_fma_f64 v[28:29], -v[10:11], v[68:69], v[28:29]
	ds_read2_b64 v[68:71], v67 offset1:1
	s_add_i32 s13, s12, 0xffffffb8
	s_waitcnt lgkmcnt(1)
	v_fma_f64 v[28:29], -v[12:13], v[78:79], v[28:29]
	v_mov_b32_e32 v67, s13
	v_fma_f64 v[28:29], -v[14:15], v[76:77], v[28:29]
	ds_read2_b64 v[72:75], v67 offset1:1
	s_add_i32 s13, s12, 0xffffffa8
	;; [unrolled: 6-line block ×3, first 2 shown]
	v_mov_b32_e32 v67, s13
	s_waitcnt lgkmcnt(1)
	v_fma_f64 v[28:29], -v[22:23], v[74:75], v[28:29]
	ds_read2_b64 v[76:79], v67 offset1:1
	v_fma_f64 v[28:29], -v[24:25], v[72:73], v[28:29]
	s_add_i32 s13, s12, 0xffffff88
	s_waitcnt lgkmcnt(1)
	v_fma_f64 v[28:29], -v[26:27], v[70:71], v[28:29]
	v_mov_b32_e32 v67, s13
	v_fma_f64 v[28:29], -v[30:31], v[68:69], v[28:29]
	ds_read2_b64 v[68:71], v67 offset1:1
	s_add_i32 s13, s12, 0xffffff78
	s_waitcnt lgkmcnt(1)
	v_fma_f64 v[28:29], -v[32:33], v[78:79], v[28:29]
	v_mov_b32_e32 v67, s13
	v_fma_f64 v[28:29], -v[36:37], v[76:77], v[28:29]
	ds_read2_b64 v[72:75], v67 offset1:1
	;; [unrolled: 6-line block ×3, first 2 shown]
	s_add_i32 s13, s12, 0xffffff58
	v_mov_b32_e32 v67, s13
	s_waitcnt lgkmcnt(1)
	v_fma_f64 v[28:29], -v[44:45], v[74:75], v[28:29]
	ds_read2_b64 v[76:79], v67 offset1:1
	v_fma_f64 v[28:29], -v[48:49], v[72:73], v[28:29]
	s_add_i32 s13, s12, 0xffffff48
	s_waitcnt lgkmcnt(1)
	v_fma_f64 v[28:29], -v[52:53], v[70:71], v[28:29]
	v_mov_b32_e32 v67, s13
	v_fma_f64 v[28:29], -v[54:55], v[68:69], v[28:29]
	ds_read2_b64 v[68:71], v67 offset1:1
	s_add_i32 s13, s12, 0xffffff38
	s_waitcnt lgkmcnt(1)
	v_fma_f64 v[28:29], -v[58:59], v[78:79], v[28:29]
	v_mov_b32_e32 v67, s13
	v_fma_f64 v[28:29], -v[62:63], v[76:77], v[28:29]
	ds_read2_b64 v[72:75], v67 offset1:1
	s_addk_i32 s12, 0xff28
	s_waitcnt lgkmcnt(1)
	v_fma_f64 v[28:29], -v[64:65], v[70:71], v[28:29]
	v_mov_b32_e32 v67, s12
	v_fma_f64 v[28:29], -v[60:61], v[68:69], v[28:29]
	s_add_i32 s12, s9, 0xffffe110
	ds_read2_b64 v[68:71], v67 offset1:1
	v_mov_b32_e32 v67, s12
	ds_read2_b64 v[76:79], v67 offset1:1
	s_waitcnt lgkmcnt(2)
	v_fma_f64 v[28:29], -v[56:57], v[74:75], v[28:29]
	v_fma_f64 v[28:29], -v[50:51], v[72:73], v[28:29]
	s_add_i32 s8, s8, s31
	s_waitcnt lgkmcnt(1)
	v_fma_f64 v[28:29], -v[46:47], v[70:71], v[28:29]
	s_lshl_b32 s8, s8, 3
	v_fma_f64 v[28:29], -v[40:41], v[68:69], v[28:29]
	v_mov_b32_e32 v67, s8
	s_waitcnt lgkmcnt(0)
	v_fma_f64 v[28:29], -v[34:35], v[78:79], v[28:29]
	ds_read_b64 v[70:71], v67
	v_mul_f64 v[28:29], v[76:77], v[28:29]
	s_add_i32 s12, s8, -16
	ds_write_b64 v66, v[28:29] offset:8192
	v_mov_b32_e32 v66, s12
	ds_read2_b64 v[66:69], v66 offset1:1
	s_sub_i32 s12, s8, 32
	s_waitcnt lgkmcnt(2)
	v_fma_f64 v[20:21], -v[4:5], v[70:71], v[20:21]
	v_mov_b32_e32 v70, s12
	ds_read2_b64 v[70:73], v70 offset1:1
	s_sub_i32 s12, s8, 48
	v_mov_b32_e32 v74, s12
	ds_read2_b64 v[74:77], v74 offset1:1
	s_waitcnt lgkmcnt(2)
	v_fma_f64 v[20:21], -v[8:9], v[68:69], v[20:21]
	s_sub_i32 s12, s8, 64
	v_fma_f64 v[20:21], -v[6:7], v[66:67], v[20:21]
	v_mov_b32_e32 v66, s12
	ds_read2_b64 v[66:69], v66 offset1:1
	s_waitcnt lgkmcnt(2)
	v_fma_f64 v[20:21], -v[10:11], v[72:73], v[20:21]
	v_fma_f64 v[20:21], -v[12:13], v[70:71], v[20:21]
	s_waitcnt lgkmcnt(1)
	v_fma_f64 v[20:21], -v[14:15], v[76:77], v[20:21]
	s_add_i32 s12, s8, 0xffffffb0
	v_fma_f64 v[20:21], -v[16:17], v[74:75], v[20:21]
	v_mov_b32_e32 v70, s12
	ds_read2_b64 v[70:73], v70 offset1:1
	s_waitcnt lgkmcnt(1)
	v_fma_f64 v[20:21], -v[18:19], v[68:69], v[20:21]
	s_add_i32 s12, s8, 0xffffffa0
	v_fma_f64 v[20:21], -v[22:23], v[66:67], v[20:21]
	v_mov_b32_e32 v66, s12
	ds_read2_b64 v[66:69], v66 offset1:1
	s_add_i32 s12, s8, 0xffffff90
	s_waitcnt lgkmcnt(1)
	v_fma_f64 v[20:21], -v[24:25], v[72:73], v[20:21]
	v_mov_b32_e32 v74, s12
	ds_read2_b64 v[74:77], v74 offset1:1
	v_fma_f64 v[20:21], -v[26:27], v[70:71], v[20:21]
	s_waitcnt lgkmcnt(1)
	v_fma_f64 v[20:21], -v[30:31], v[68:69], v[20:21]
	s_add_i32 s12, s8, 0xffffff80
	v_fma_f64 v[20:21], -v[32:33], v[66:67], v[20:21]
	v_mov_b32_e32 v66, s12
	ds_read2_b64 v[66:69], v66 offset1:1
	s_waitcnt lgkmcnt(1)
	v_fma_f64 v[20:21], -v[36:37], v[76:77], v[20:21]
	s_add_i32 s12, s8, 0xffffff70
	v_fma_f64 v[20:21], -v[38:39], v[74:75], v[20:21]
	v_mov_b32_e32 v70, s12
	ds_read2_b64 v[70:73], v70 offset1:1
	;; [unrolled: 6-line block ×3, first 2 shown]
	s_add_i32 s12, s8, 0xffffff50
	s_waitcnt lgkmcnt(1)
	v_fma_f64 v[20:21], -v[48:49], v[72:73], v[20:21]
	v_mov_b32_e32 v74, s12
	ds_read2_b64 v[74:77], v74 offset1:1
	v_fma_f64 v[20:21], -v[52:53], v[70:71], v[20:21]
	s_waitcnt lgkmcnt(1)
	v_fma_f64 v[20:21], -v[54:55], v[68:69], v[20:21]
	s_add_i32 s12, s8, 0xffffff40
	v_fma_f64 v[20:21], -v[58:59], v[66:67], v[20:21]
	v_mov_b32_e32 v66, s12
	ds_read2_b64 v[66:69], v66 offset1:1
	s_waitcnt lgkmcnt(1)
	v_fma_f64 v[20:21], -v[62:63], v[76:77], v[20:21]
	s_add_i32 s12, s8, 0xffffff30
	v_fma_f64 v[20:21], -v[64:65], v[74:75], v[20:21]
	v_mov_b32_e32 v70, s12
	ds_read2_b64 v[70:73], v70 offset1:1
	s_waitcnt lgkmcnt(1)
	v_fma_f64 v[20:21], -v[60:61], v[68:69], v[20:21]
	s_addk_i32 s8, 0xff20
	v_fma_f64 v[20:21], -v[56:57], v[66:67], v[20:21]
	v_mov_b32_e32 v66, s8
	s_add_i32 s8, s9, 0xffffe008
	ds_read2_b64 v[66:69], v66 offset1:1
	v_mov_b32_e32 v74, s8
	ds_read2_b64 v[74:77], v74 offset1:1
	s_sub_i32 s8, s30, 32
	s_lshl_b32 s8, s8, 5
	s_waitcnt lgkmcnt(2)
	v_fma_f64 v[20:21], -v[50:51], v[72:73], v[20:21]
	s_add_i32 s12, s8, s31
	v_fma_f64 v[20:21], -v[46:47], v[70:71], v[20:21]
	s_lshl_b32 s12, s12, 3
	s_waitcnt lgkmcnt(1)
	v_fma_f64 v[20:21], -v[40:41], v[68:69], v[20:21]
	s_add_i32 s13, s12, -8
	v_fma_f64 v[20:21], -v[34:35], v[66:67], v[20:21]
	v_mov_b32_e32 v66, s13
	ds_read2_b64 v[66:69], v66 offset1:1
	s_waitcnt lgkmcnt(1)
	v_fma_f64 v[20:21], -v[28:29], v[76:77], v[20:21]
	v_mul_f64 v[20:21], v[74:75], v[20:21]
	s_sub_i32 s13, s12, 24
	ds_write_b64 v1, v[20:21] offset:8192
	v_mov_b32_e32 v1, s13
	ds_read2_b64 v[70:73], v1 offset1:1
	s_sub_i32 s13, s12, 40
	s_waitcnt lgkmcnt(2)
	v_fma_f64 v[2:3], -v[4:5], v[68:69], v[2:3]
	v_mov_b32_e32 v1, s13
	v_fma_f64 v[8:9], -v[8:9], v[66:67], v[2:3]
	s_sub_i32 s13, s12, 56
	ds_read2_b64 v[2:5], v1 offset1:1
	v_mov_b32_e32 v1, s13
	ds_read2_b64 v[66:69], v1 offset1:1
	s_waitcnt lgkmcnt(2)
	v_fma_f64 v[6:7], -v[6:7], v[72:73], v[8:9]
	v_fma_f64 v[6:7], -v[10:11], v[70:71], v[6:7]
	s_waitcnt lgkmcnt(1)
	v_fma_f64 v[4:5], -v[12:13], v[4:5], v[6:7]
	s_add_i32 s13, s12, 0xffffffb8
	v_fma_f64 v[2:3], -v[14:15], v[2:3], v[4:5]
	v_mov_b32_e32 v1, s13
	s_waitcnt lgkmcnt(0)
	v_fma_f64 v[6:7], -v[16:17], v[68:69], v[2:3]
	ds_read2_b64 v[2:5], v1 offset1:1
	s_add_i32 s13, s12, 0xffffffa8
	v_mov_b32_e32 v1, s13
	v_fma_f64 v[10:11], -v[18:19], v[66:67], v[6:7]
	ds_read2_b64 v[6:9], v1 offset1:1
	s_add_i32 s13, s12, 0xffffff98
	s_waitcnt lgkmcnt(1)
	v_fma_f64 v[4:5], -v[22:23], v[4:5], v[10:11]
	v_mov_b32_e32 v1, s13
	v_fma_f64 v[14:15], -v[24:25], v[2:3], v[4:5]
	s_add_i32 s13, s12, 0xffffff88
	ds_read2_b64 v[2:5], v1 offset1:1
	v_mov_b32_e32 v1, s13
	ds_read2_b64 v[10:13], v1 offset1:1
	s_waitcnt lgkmcnt(2)
	v_fma_f64 v[8:9], -v[26:27], v[8:9], v[14:15]
	v_fma_f64 v[6:7], -v[30:31], v[6:7], v[8:9]
	s_waitcnt lgkmcnt(1)
	v_fma_f64 v[4:5], -v[32:33], v[4:5], v[6:7]
	s_add_i32 s13, s12, 0xffffff78
	v_fma_f64 v[2:3], -v[36:37], v[2:3], v[4:5]
	v_mov_b32_e32 v1, s13
	s_waitcnt lgkmcnt(0)
	v_fma_f64 v[6:7], -v[38:39], v[12:13], v[2:3]
	ds_read2_b64 v[2:5], v1 offset1:1
	s_add_i32 s13, s12, 0xffffff68
	v_mov_b32_e32 v1, s13
	v_fma_f64 v[10:11], -v[42:43], v[10:11], v[6:7]
	ds_read2_b64 v[6:9], v1 offset1:1
	s_add_i32 s13, s12, 0xffffff58
	s_waitcnt lgkmcnt(1)
	v_fma_f64 v[4:5], -v[44:45], v[4:5], v[10:11]
	v_mov_b32_e32 v1, s13
	v_fma_f64 v[14:15], -v[48:49], v[2:3], v[4:5]
	s_add_i32 s13, s12, 0xffffff48
	ds_read2_b64 v[2:5], v1 offset1:1
	v_mov_b32_e32 v1, s13
	ds_read2_b64 v[10:13], v1 offset1:1
	s_waitcnt lgkmcnt(2)
	v_fma_f64 v[8:9], -v[52:53], v[8:9], v[14:15]
	v_fma_f64 v[6:7], -v[54:55], v[6:7], v[8:9]
	s_waitcnt lgkmcnt(1)
	v_fma_f64 v[4:5], -v[58:59], v[4:5], v[6:7]
	s_add_i32 s13, s12, 0xffffff38
	v_fma_f64 v[2:3], -v[62:63], v[2:3], v[4:5]
	v_mov_b32_e32 v1, s13
	s_waitcnt lgkmcnt(0)
	v_fma_f64 v[6:7], -v[64:65], v[12:13], v[2:3]
	ds_read2_b64 v[2:5], v1 offset1:1
	s_add_i32 s13, s12, 0xffffff28
	v_mov_b32_e32 v1, s13
	v_fma_f64 v[10:11], -v[60:61], v[10:11], v[6:7]
	ds_read2_b64 v[6:9], v1 offset1:1
	s_addk_i32 s12, 0xff18
	s_waitcnt lgkmcnt(1)
	v_fma_f64 v[4:5], -v[56:57], v[4:5], v[10:11]
	v_mov_b32_e32 v1, s12
	v_fma_f64 v[14:15], -v[50:51], v[2:3], v[4:5]
	s_addk_i32 s9, 0xdf00
	ds_read2_b64 v[2:5], v1 offset1:1
	v_mov_b32_e32 v1, s9
	ds_read2_b64 v[10:13], v1 offset1:1
	s_waitcnt lgkmcnt(2)
	v_fma_f64 v[8:9], -v[46:47], v[8:9], v[14:15]
	v_fma_f64 v[6:7], -v[40:41], v[6:7], v[8:9]
	s_waitcnt lgkmcnt(1)
	v_fma_f64 v[4:5], -v[34:35], v[4:5], v[6:7]
	v_fma_f64 v[2:3], -v[28:29], v[2:3], v[4:5]
	s_waitcnt lgkmcnt(0)
	v_fma_f64 v[2:3], -v[20:21], v[12:13], v[2:3]
	v_or_b32_e32 v1, s8, v0
	v_mul_f64 v[2:3], v[10:11], v[2:3]
	v_lshlrev_b32_e32 v1, 3, v1
	s_sub_i32 s8, s30, 33
	ds_write_b64 v1, v[2:3] offset:8192
.LBB104_20:
	s_cmp_gt_i32 s8, -1
	s_cbranch_scc0 .LBB104_39
; %bb.21:
	s_cmp_lt_u32 s8, 27
	s_cbranch_scc1 .LBB104_26
; %bb.22:
	s_lshl_b32 s9, s8, 5
	v_or_b32_e32 v1, s9, v0
	s_sub_i32 s12, s9, 32
	s_sub_i32 s44, s9, 64
	v_lshlrev_b32_e32 v82, 3, v1
	v_or_b32_e32 v1, s12, v0
	v_or_b32_e32 v2, s44, v0
	s_add_i32 s43, s9, 0xffffffa0
	v_lshlrev_b32_e32 v1, 3, v1
	v_lshlrev_b32_e32 v81, 3, v2
	v_or_b32_e32 v2, s43, v0
	s_add_i32 s42, s9, 0xffffff80
	v_lshlrev_b32_e32 v80, 3, v2
	ds_read_b64 v[6:7], v82 offset:8192
	ds_read_b64 v[8:9], v1 offset:8192
	;; [unrolled: 1-line block ×4, first 2 shown]
	v_or_b32_e32 v1, s42, v0
	s_add_i32 s41, s9, 0xffffff60
	v_lshlrev_b32_e32 v79, 3, v1
	v_or_b32_e32 v1, s41, v0
	s_add_i32 s40, s9, 0xffffff40
	v_lshlrev_b32_e32 v78, 3, v1
	;; [unrolled: 3-line block ×20, first 2 shown]
	v_or_b32_e32 v1, s16, v0
	s_add_i32 s13, s9, 0xfffffce0
	s_add_i32 s12, s9, 0xfffffcc0
	s_addk_i32 s9, 0xfca0
	v_lshlrev_b32_e32 v59, 3, v1
	v_or_b32_e32 v1, s13, v0
	v_or_b32_e32 v2, s9, v0
	v_lshlrev_b32_e32 v58, 3, v1
	v_or_b32_e32 v1, s12, v0
	v_lshlrev_b32_e32 v2, 3, v2
	ds_read_b64 v[16:17], v79 offset:8192
	ds_read_b64 v[18:19], v78 offset:8192
	;; [unrolled: 1-line block ×20, first 2 shown]
	v_lshlrev_b32_e32 v1, 3, v1
	ds_read_b64 v[26:27], v59 offset:8192
	ds_read_b64 v[14:15], v58 offset:8192
	;; [unrolled: 1-line block ×4, first 2 shown]
	s_cmp_le_i32 s31, s8
	s_cbranch_scc1 .LBB104_25
; %bb.23:
	s_lshl_b32 s9, s8, 8
	s_lshl_b32 s45, s30, 3
	v_lshlrev_b32_e32 v83, 3, v0
	s_add_i32 s9, s9, s45
	v_lshl_or_b32 v83, s30, 8, v83
	s_addk_i32 s9, 0xe4f8
	v_add_u32_e32 v83, 0x1f00, v83
	s_mov_b32 s45, s31
.LBB104_24:                             ; =>This Inner Loop Header: Depth=1
	v_mov_b32_e32 v96, s9
	v_add_u32_e32 v104, 0x1800, v96
	v_add_u32_e32 v120, 0x1000, v96
	;; [unrolled: 1-line block ×3, first 2 shown]
	ds_read_b64 v[140:141], v83
	ds_read2_b64 v[84:87], v96 offset0:192 offset1:224
	ds_read2_b64 v[88:91], v96 offset0:128 offset1:160
	ds_read2_b64 v[92:95], v96 offset0:64 offset1:96
	ds_read2_b64 v[96:99], v96 offset1:32
	ds_read2_b64 v[100:103], v104 offset0:64 offset1:96
	ds_read2_b64 v[104:107], v104 offset1:32
	ds_read2_b64 v[108:111], v120 offset0:192 offset1:224
	ds_read2_b64 v[112:115], v120 offset0:128 offset1:160
	;; [unrolled: 1-line block ×3, first 2 shown]
	ds_read2_b64 v[120:123], v120 offset1:32
	ds_read2_b64 v[124:127], v136 offset0:192 offset1:224
	ds_read2_b64 v[128:131], v136 offset0:128 offset1:160
	;; [unrolled: 1-line block ×3, first 2 shown]
	ds_read2_b64 v[136:139], v136 offset1:32
	s_add_i32 s45, s45, -1
	s_add_i32 s9, s9, -8
	v_add_u32_e32 v83, 0xffffff00, v83
	s_cmp_gt_i32 s45, s8
	s_waitcnt lgkmcnt(13)
	v_fma_f64 v[48:49], -v[140:141], v[86:87], v[48:49]
	v_fma_f64 v[42:43], -v[140:141], v[84:85], v[42:43]
	s_waitcnt lgkmcnt(12)
	v_fma_f64 v[38:39], -v[140:141], v[90:91], v[38:39]
	v_fma_f64 v[32:33], -v[140:141], v[88:89], v[32:33]
	;; [unrolled: 3-line block ×14, first 2 shown]
	s_cbranch_scc1 .LBB104_24
.LBB104_25:
	s_mul_i32 s9, s8, 0x108
	v_mov_b32_e32 v83, s9
	s_add_i32 s45, s9, 0xfffffef8
	ds_read_b64 v[88:89], v83
	v_mov_b32_e32 v83, s45
	ds_read2_b64 v[84:87], v83 offset1:1
	s_add_i32 s44, s44, s8
	v_add_u32_e32 v82, 0x2000, v82
	s_waitcnt lgkmcnt(1)
	v_mul_f64 v[6:7], v[88:89], v[6:7]
	s_lshl_b32 s44, s44, 3
	ds_write_b64 v82, v[6:7]
	v_mov_b32_e32 v82, s44
	s_add_i32 s44, s9, 0xfffffdf0
	s_waitcnt lgkmcnt(1)
	v_fma_f64 v[8:9], -v[6:7], v[86:87], v[8:9]
	v_mov_b32_e32 v83, s44
	v_mul_f64 v[8:9], v[84:85], v[8:9]
	ds_read_b64 v[86:87], v82
	ds_read2_b64 v[82:85], v83 offset1:1
	s_add_i32 s43, s43, s8
	s_lshl_b32 s43, s43, 3
	s_add_i32 s43, s43, -8
	s_waitcnt lgkmcnt(1)
	v_fma_f64 v[10:11], -v[6:7], v[86:87], v[10:11]
	s_waitcnt lgkmcnt(0)
	v_fma_f64 v[10:11], -v[8:9], v[84:85], v[10:11]
	v_mul_f64 v[10:11], v[82:83], v[10:11]
	v_mov_b32_e32 v82, s43
	ds_read2_b64 v[82:85], v82 offset1:1
	s_lshl_b32 s45, s8, 8
	s_addk_i32 s45, 0xff00
	s_add_i32 s43, s9, 0xfffffce8
	s_add_i32 s42, s42, s8
	v_lshl_or_b32 v88, v0, 3, s45
	ds_write_b64 v81, v[10:11] offset:8192
	v_mov_b32_e32 v81, s43
	s_lshl_b32 s42, s42, 3
	ds_write_b64 v88, v[8:9] offset:8192
	ds_read2_b64 v[86:89], v81 offset1:1
	s_waitcnt lgkmcnt(3)
	v_fma_f64 v[12:13], -v[6:7], v[84:85], v[12:13]
	v_mov_b32_e32 v81, s42
	s_add_i32 s42, s42, -16
	v_fma_f64 v[12:13], -v[8:9], v[82:83], v[12:13]
	v_mov_b32_e32 v82, s42
	ds_read_b64 v[90:91], v81
	ds_read2_b64 v[82:85], v82 offset1:1
	s_waitcnt lgkmcnt(2)
	v_fma_f64 v[12:13], -v[10:11], v[88:89], v[12:13]
	v_mul_f64 v[12:13], v[86:87], v[12:13]
	s_add_i32 s42, s9, 0xfffffbe0
	s_waitcnt lgkmcnt(1)
	v_fma_f64 v[16:17], -v[6:7], v[90:91], v[16:17]
	ds_write_b64 v80, v[12:13] offset:8192
	s_waitcnt lgkmcnt(1)
	v_fma_f64 v[16:17], -v[8:9], v[84:85], v[16:17]
	v_mov_b32_e32 v80, s42
	v_fma_f64 v[16:17], -v[10:11], v[82:83], v[16:17]
	ds_read2_b64 v[80:83], v80 offset1:1
	s_add_i32 s41, s41, s8
	s_lshl_b32 s41, s41, 3
	s_add_i32 s42, s41, -8
	v_mov_b32_e32 v84, s42
	s_waitcnt lgkmcnt(0)
	v_fma_f64 v[16:17], -v[12:13], v[82:83], v[16:17]
	ds_read2_b64 v[84:87], v84 offset1:1
	v_mul_f64 v[16:17], v[80:81], v[16:17]
	s_sub_i32 s41, s41, 24
	ds_write_b64 v79, v[16:17] offset:8192
	v_mov_b32_e32 v79, s41
	ds_read2_b64 v[80:83], v79 offset1:1
	s_add_i32 s41, s9, 0xfffffad8
	v_mov_b32_e32 v79, s41
	ds_read2_b64 v[88:91], v79 offset1:1
	s_waitcnt lgkmcnt(3)
	v_fma_f64 v[18:19], -v[6:7], v[86:87], v[18:19]
	v_fma_f64 v[18:19], -v[8:9], v[84:85], v[18:19]
	s_waitcnt lgkmcnt(1)
	v_fma_f64 v[18:19], -v[10:11], v[82:83], v[18:19]
	v_fma_f64 v[18:19], -v[12:13], v[80:81], v[18:19]
	s_add_i32 s40, s40, s8
	s_waitcnt lgkmcnt(0)
	v_fma_f64 v[18:19], -v[16:17], v[90:91], v[18:19]
	s_lshl_b32 s40, s40, 3
	v_mul_f64 v[18:19], v[88:89], v[18:19]
	s_add_i32 s41, s40, -8
	ds_write_b64 v78, v[18:19] offset:8192
	v_mov_b32_e32 v78, s41
	s_sub_i32 s41, s40, 24
	v_mov_b32_e32 v82, s41
	ds_read2_b64 v[78:81], v78 offset1:1
	ds_read2_b64 v[82:85], v82 offset1:1
	s_sub_i32 s40, s40, 40
	v_mov_b32_e32 v86, s40
	s_add_i32 s39, s39, s8
	s_waitcnt lgkmcnt(1)
	v_fma_f64 v[20:21], -v[6:7], v[80:81], v[20:21]
	ds_read2_b64 v[86:89], v86 offset1:1
	v_fma_f64 v[20:21], -v[8:9], v[78:79], v[20:21]
	s_add_i32 s40, s9, 0xfffff9d0
	s_lshl_b32 s39, s39, 3
	s_waitcnt lgkmcnt(1)
	v_fma_f64 v[20:21], -v[10:11], v[84:85], v[20:21]
	v_mov_b32_e32 v78, s40
	s_add_i32 s40, s39, -16
	v_fma_f64 v[20:21], -v[12:13], v[82:83], v[20:21]
	ds_read_b64 v[82:83], v78
	v_mov_b32_e32 v78, s39
	v_mov_b32_e32 v79, s40
	ds_read_b64 v[84:85], v78
	ds_read2_b64 v[78:81], v79 offset1:1
	s_waitcnt lgkmcnt(3)
	v_fma_f64 v[20:21], -v[16:17], v[88:89], v[20:21]
	v_fma_f64 v[20:21], -v[18:19], v[86:87], v[20:21]
	s_waitcnt lgkmcnt(2)
	v_mul_f64 v[20:21], v[82:83], v[20:21]
	s_waitcnt lgkmcnt(1)
	v_fma_f64 v[22:23], -v[6:7], v[84:85], v[22:23]
	s_sub_i32 s40, s39, 32
	s_sub_i32 s39, s39, 48
	ds_write_b64 v77, v[20:21] offset:8192
	s_waitcnt lgkmcnt(1)
	v_fma_f64 v[22:23], -v[8:9], v[80:81], v[22:23]
	v_mov_b32_e32 v77, s40
	v_mov_b32_e32 v82, s39
	v_fma_f64 v[22:23], -v[10:11], v[78:79], v[22:23]
	ds_read2_b64 v[78:81], v77 offset1:1
	ds_read2_b64 v[82:85], v82 offset1:1
	s_add_i32 s39, s9, 0xfffff8c8
	v_mov_b32_e32 v77, s39
	s_add_i32 s38, s38, s8
	ds_read_b64 v[86:87], v77
	s_lshl_b32 s38, s38, 3
	s_waitcnt lgkmcnt(2)
	v_fma_f64 v[22:23], -v[12:13], v[80:81], v[22:23]
	s_add_i32 s39, s38, -8
	v_fma_f64 v[22:23], -v[16:17], v[78:79], v[22:23]
	v_mov_b32_e32 v77, s39
	s_waitcnt lgkmcnt(1)
	v_fma_f64 v[22:23], -v[18:19], v[84:85], v[22:23]
	ds_read2_b64 v[78:81], v77 offset1:1
	v_fma_f64 v[22:23], -v[20:21], v[82:83], v[22:23]
	s_waitcnt lgkmcnt(1)
	v_mul_f64 v[22:23], v[86:87], v[22:23]
	s_sub_i32 s39, s38, 24
	ds_write_b64 v76, v[22:23] offset:8192
	v_mov_b32_e32 v76, s39
	ds_read2_b64 v[82:85], v76 offset1:1
	s_sub_i32 s39, s38, 40
	s_waitcnt lgkmcnt(2)
	v_fma_f64 v[24:25], -v[6:7], v[80:81], v[24:25]
	v_mov_b32_e32 v76, s39
	v_fma_f64 v[24:25], -v[8:9], v[78:79], v[24:25]
	ds_read2_b64 v[76:79], v76 offset1:1
	s_sub_i32 s38, s38, 56
	s_waitcnt lgkmcnt(1)
	v_fma_f64 v[24:25], -v[10:11], v[84:85], v[24:25]
	v_mov_b32_e32 v80, s38
	ds_read2_b64 v[86:89], v80 offset1:1
	v_fma_f64 v[24:25], -v[12:13], v[82:83], v[24:25]
	s_waitcnt lgkmcnt(1)
	v_fma_f64 v[24:25], -v[16:17], v[78:79], v[24:25]
	s_add_i32 s38, s9, 0xfffff7c0
	s_add_i32 s37, s37, s8
	v_fma_f64 v[24:25], -v[18:19], v[76:77], v[24:25]
	v_mov_b32_e32 v76, s38
	s_lshl_b32 s37, s37, 3
	ds_read_b64 v[80:81], v76
	s_add_i32 s38, s37, -16
	v_mov_b32_e32 v76, s37
	v_mov_b32_e32 v77, s38
	ds_read_b64 v[82:83], v76
	ds_read2_b64 v[76:79], v77 offset1:1
	s_waitcnt lgkmcnt(3)
	v_fma_f64 v[24:25], -v[20:21], v[88:89], v[24:25]
	v_fma_f64 v[24:25], -v[22:23], v[86:87], v[24:25]
	s_waitcnt lgkmcnt(2)
	v_mul_f64 v[24:25], v[80:81], v[24:25]
	s_sub_i32 s38, s37, 32
	ds_write_b64 v75, v[24:25] offset:8192
	s_waitcnt lgkmcnt(2)
	v_fma_f64 v[28:29], -v[6:7], v[82:83], v[28:29]
	v_mov_b32_e32 v75, s38
	s_sub_i32 s38, s37, 48
	s_waitcnt lgkmcnt(1)
	v_fma_f64 v[28:29], -v[8:9], v[78:79], v[28:29]
	v_mov_b32_e32 v80, s38
	v_fma_f64 v[28:29], -v[10:11], v[76:77], v[28:29]
	ds_read2_b64 v[76:79], v75 offset1:1
	ds_read2_b64 v[80:83], v80 offset1:1
	s_sub_i32 s37, s37, 64
	v_mov_b32_e32 v75, s37
	ds_read2_b64 v[84:87], v75 offset1:1
	s_waitcnt lgkmcnt(2)
	v_fma_f64 v[28:29], -v[12:13], v[78:79], v[28:29]
	v_fma_f64 v[28:29], -v[16:17], v[76:77], v[28:29]
	s_add_i32 s37, s9, 0xfffff6b8
	s_add_i32 s36, s36, s8
	s_waitcnt lgkmcnt(1)
	v_fma_f64 v[28:29], -v[18:19], v[82:83], v[28:29]
	v_mov_b32_e32 v75, s37
	s_lshl_b32 s36, s36, 3
	v_fma_f64 v[28:29], -v[20:21], v[80:81], v[28:29]
	ds_read_b64 v[80:81], v75
	s_add_i32 s37, s36, -16
	v_mov_b32_e32 v75, s36
	v_mov_b32_e32 v76, s37
	ds_read_b64 v[82:83], v75
	ds_read2_b64 v[76:79], v76 offset1:1
	s_waitcnt lgkmcnt(3)
	v_fma_f64 v[28:29], -v[22:23], v[86:87], v[28:29]
	v_fma_f64 v[28:29], -v[24:25], v[84:85], v[28:29]
	s_waitcnt lgkmcnt(2)
	v_mul_f64 v[28:29], v[80:81], v[28:29]
	s_sub_i32 s37, s36, 32
	ds_write_b64 v74, v[28:29] offset:8192
	s_waitcnt lgkmcnt(2)
	v_fma_f64 v[30:31], -v[6:7], v[82:83], v[30:31]
	v_mov_b32_e32 v74, s37
	s_waitcnt lgkmcnt(1)
	v_fma_f64 v[30:31], -v[8:9], v[78:79], v[30:31]
	ds_read2_b64 v[78:81], v74 offset1:1
	s_sub_i32 s37, s36, 48
	v_fma_f64 v[30:31], -v[10:11], v[76:77], v[30:31]
	v_mov_b32_e32 v74, s37
	ds_read2_b64 v[74:77], v74 offset1:1
	s_waitcnt lgkmcnt(1)
	v_fma_f64 v[30:31], -v[12:13], v[80:81], v[30:31]
	s_sub_i32 s36, s36, 64
	v_fma_f64 v[30:31], -v[16:17], v[78:79], v[30:31]
	v_mov_b32_e32 v78, s36
	ds_read2_b64 v[78:81], v78 offset1:1
	s_add_i32 s36, s9, 0xfffff5b0
	v_mov_b32_e32 v82, s36
	ds_read2_b64 v[82:85], v82 offset1:1
	s_add_i32 s35, s35, s8
	s_waitcnt lgkmcnt(2)
	v_fma_f64 v[30:31], -v[18:19], v[76:77], v[30:31]
	s_lshl_b32 s35, s35, 3
	v_fma_f64 v[30:31], -v[20:21], v[74:75], v[30:31]
	s_add_i32 s36, s35, -8
	s_waitcnt lgkmcnt(1)
	v_fma_f64 v[30:31], -v[22:23], v[80:81], v[30:31]
	v_mov_b32_e32 v74, s36
	v_fma_f64 v[30:31], -v[24:25], v[78:79], v[30:31]
	ds_read2_b64 v[74:77], v74 offset1:1
	s_waitcnt lgkmcnt(1)
	v_fma_f64 v[30:31], -v[28:29], v[84:85], v[30:31]
	v_mul_f64 v[30:31], v[82:83], v[30:31]
	s_sub_i32 s36, s35, 24
	ds_write_b64 v73, v[30:31] offset:8192
	v_mov_b32_e32 v73, s36
	ds_read2_b64 v[78:81], v73 offset1:1
	s_sub_i32 s36, s35, 40
	s_waitcnt lgkmcnt(2)
	v_fma_f64 v[34:35], -v[6:7], v[76:77], v[34:35]
	v_mov_b32_e32 v73, s36
	v_fma_f64 v[34:35], -v[8:9], v[74:75], v[34:35]
	ds_read2_b64 v[74:77], v73 offset1:1
	s_sub_i32 s36, s35, 56
	v_mov_b32_e32 v73, s36
	s_waitcnt lgkmcnt(1)
	v_fma_f64 v[34:35], -v[10:11], v[80:81], v[34:35]
	ds_read2_b64 v[82:85], v73 offset1:1
	v_fma_f64 v[34:35], -v[12:13], v[78:79], v[34:35]
	s_addk_i32 s35, 0xffb8
	s_waitcnt lgkmcnt(1)
	v_fma_f64 v[34:35], -v[16:17], v[76:77], v[34:35]
	v_mov_b32_e32 v73, s35
	v_fma_f64 v[34:35], -v[18:19], v[74:75], v[34:35]
	ds_read2_b64 v[74:77], v73 offset1:1
	s_add_i32 s35, s9, 0xfffff4a8
	s_waitcnt lgkmcnt(1)
	v_fma_f64 v[34:35], -v[20:21], v[84:85], v[34:35]
	v_mov_b32_e32 v73, s35
	s_add_i32 s34, s34, s8
	v_fma_f64 v[34:35], -v[22:23], v[82:83], v[34:35]
	ds_read2_b64 v[78:81], v73 offset1:1
	s_lshl_b32 s34, s34, 3
	s_waitcnt lgkmcnt(1)
	v_fma_f64 v[34:35], -v[24:25], v[76:77], v[34:35]
	s_add_i32 s35, s34, -16
	v_fma_f64 v[34:35], -v[28:29], v[74:75], v[34:35]
	v_mov_b32_e32 v73, s34
	v_mov_b32_e32 v74, s35
	ds_read_b64 v[82:83], v73
	ds_read2_b64 v[74:77], v74 offset1:1
	s_waitcnt lgkmcnt(2)
	v_fma_f64 v[34:35], -v[30:31], v[80:81], v[34:35]
	v_mul_f64 v[34:35], v[78:79], v[34:35]
	s_sub_i32 s35, s34, 32
	ds_write_b64 v72, v[34:35] offset:8192
	s_waitcnt lgkmcnt(2)
	v_fma_f64 v[36:37], -v[6:7], v[82:83], v[36:37]
	v_mov_b32_e32 v72, s35
	s_waitcnt lgkmcnt(1)
	v_fma_f64 v[36:37], -v[8:9], v[76:77], v[36:37]
	ds_read2_b64 v[76:79], v72 offset1:1
	s_sub_i32 s35, s34, 48
	v_mov_b32_e32 v72, s35
	v_fma_f64 v[36:37], -v[10:11], v[74:75], v[36:37]
	ds_read2_b64 v[72:75], v72 offset1:1
	s_waitcnt lgkmcnt(1)
	v_fma_f64 v[36:37], -v[12:13], v[78:79], v[36:37]
	s_sub_i32 s35, s34, 64
	v_fma_f64 v[36:37], -v[16:17], v[76:77], v[36:37]
	v_mov_b32_e32 v76, s35
	ds_read2_b64 v[76:79], v76 offset1:1
	s_addk_i32 s34, 0xffb0
	v_mov_b32_e32 v80, s34
	ds_read2_b64 v[80:83], v80 offset1:1
	s_waitcnt lgkmcnt(2)
	v_fma_f64 v[36:37], -v[18:19], v[74:75], v[36:37]
	s_add_i32 s34, s9, 0xfffff3a0
	v_fma_f64 v[36:37], -v[20:21], v[72:73], v[36:37]
	v_mov_b32_e32 v72, s34
	ds_read2_b64 v[72:75], v72 offset1:1
	s_waitcnt lgkmcnt(2)
	v_fma_f64 v[36:37], -v[22:23], v[78:79], v[36:37]
	v_fma_f64 v[36:37], -v[24:25], v[76:77], v[36:37]
	s_add_i32 s33, s33, s8
	s_waitcnt lgkmcnt(1)
	v_fma_f64 v[36:37], -v[28:29], v[82:83], v[36:37]
	s_lshl_b32 s33, s33, 3
	v_fma_f64 v[36:37], -v[30:31], v[80:81], v[36:37]
	s_add_i32 s34, s33, -8
	v_mov_b32_e32 v76, s34
	s_waitcnt lgkmcnt(0)
	v_fma_f64 v[36:37], -v[34:35], v[74:75], v[36:37]
	ds_read2_b64 v[76:79], v76 offset1:1
	v_mul_f64 v[36:37], v[72:73], v[36:37]
	s_sub_i32 s34, s33, 24
	ds_write_b64 v71, v[36:37] offset:8192
	v_mov_b32_e32 v71, s34
	ds_read2_b64 v[72:75], v71 offset1:1
	s_sub_i32 s34, s33, 40
	v_mov_b32_e32 v71, s34
	s_waitcnt lgkmcnt(2)
	v_fma_f64 v[40:41], -v[6:7], v[78:79], v[40:41]
	ds_read2_b64 v[80:83], v71 offset1:1
	v_fma_f64 v[40:41], -v[8:9], v[76:77], v[40:41]
	s_sub_i32 s34, s33, 56
	s_waitcnt lgkmcnt(1)
	v_fma_f64 v[40:41], -v[10:11], v[74:75], v[40:41]
	v_mov_b32_e32 v71, s34
	v_fma_f64 v[40:41], -v[12:13], v[72:73], v[40:41]
	ds_read2_b64 v[72:75], v71 offset1:1
	s_add_i32 s34, s33, 0xffffffb8
	s_waitcnt lgkmcnt(1)
	v_fma_f64 v[40:41], -v[16:17], v[82:83], v[40:41]
	v_mov_b32_e32 v71, s34
	v_fma_f64 v[40:41], -v[18:19], v[80:81], v[40:41]
	ds_read2_b64 v[76:79], v71 offset1:1
	s_addk_i32 s33, 0xffa8
	s_waitcnt lgkmcnt(1)
	v_fma_f64 v[40:41], -v[20:21], v[74:75], v[40:41]
	v_mov_b32_e32 v71, s33
	v_fma_f64 v[40:41], -v[22:23], v[72:73], v[40:41]
	s_add_i32 s33, s9, 0xfffff298
	ds_read2_b64 v[72:75], v71 offset1:1
	v_mov_b32_e32 v71, s33
	ds_read2_b64 v[80:83], v71 offset1:1
	s_waitcnt lgkmcnt(2)
	v_fma_f64 v[40:41], -v[24:25], v[78:79], v[40:41]
	v_fma_f64 v[40:41], -v[28:29], v[76:77], v[40:41]
	s_add_i32 s29, s29, s8
	s_waitcnt lgkmcnt(1)
	v_fma_f64 v[40:41], -v[30:31], v[74:75], v[40:41]
	s_lshl_b32 s29, s29, 3
	v_fma_f64 v[40:41], -v[34:35], v[72:73], v[40:41]
	v_mov_b32_e32 v71, s29
	s_waitcnt lgkmcnt(0)
	v_fma_f64 v[40:41], -v[36:37], v[82:83], v[40:41]
	ds_read_b64 v[74:75], v71
	v_mul_f64 v[40:41], v[80:81], v[40:41]
	s_add_i32 s33, s29, -16
	ds_write_b64 v70, v[40:41] offset:8192
	v_mov_b32_e32 v70, s33
	ds_read2_b64 v[70:73], v70 offset1:1
	s_sub_i32 s33, s29, 32
	s_waitcnt lgkmcnt(2)
	v_fma_f64 v[44:45], -v[6:7], v[74:75], v[44:45]
	v_mov_b32_e32 v74, s33
	ds_read2_b64 v[74:77], v74 offset1:1
	s_sub_i32 s33, s29, 48
	v_mov_b32_e32 v78, s33
	ds_read2_b64 v[78:81], v78 offset1:1
	s_waitcnt lgkmcnt(2)
	v_fma_f64 v[44:45], -v[8:9], v[72:73], v[44:45]
	s_sub_i32 s33, s29, 64
	v_fma_f64 v[44:45], -v[10:11], v[70:71], v[44:45]
	v_mov_b32_e32 v70, s33
	ds_read2_b64 v[70:73], v70 offset1:1
	s_waitcnt lgkmcnt(2)
	v_fma_f64 v[44:45], -v[12:13], v[76:77], v[44:45]
	v_fma_f64 v[44:45], -v[16:17], v[74:75], v[44:45]
	s_waitcnt lgkmcnt(1)
	v_fma_f64 v[44:45], -v[18:19], v[80:81], v[44:45]
	s_add_i32 s33, s29, 0xffffffb0
	v_fma_f64 v[44:45], -v[20:21], v[78:79], v[44:45]
	v_mov_b32_e32 v74, s33
	ds_read2_b64 v[74:77], v74 offset1:1
	s_waitcnt lgkmcnt(1)
	v_fma_f64 v[44:45], -v[22:23], v[72:73], v[44:45]
	s_addk_i32 s29, 0xffa0
	v_fma_f64 v[44:45], -v[24:25], v[70:71], v[44:45]
	v_mov_b32_e32 v70, s29
	ds_read2_b64 v[70:73], v70 offset1:1
	s_add_i32 s29, s9, 0xfffff190
	v_mov_b32_e32 v78, s29
	ds_read2_b64 v[78:81], v78 offset1:1
	s_waitcnt lgkmcnt(2)
	v_fma_f64 v[44:45], -v[28:29], v[76:77], v[44:45]
	s_add_i32 s28, s28, s8
	v_fma_f64 v[44:45], -v[30:31], v[74:75], v[44:45]
	s_lshl_b32 s28, s28, 3
	s_waitcnt lgkmcnt(1)
	v_fma_f64 v[44:45], -v[34:35], v[72:73], v[44:45]
	s_add_i32 s29, s28, -8
	v_fma_f64 v[44:45], -v[36:37], v[70:71], v[44:45]
	v_mov_b32_e32 v70, s29
	ds_read2_b64 v[70:73], v70 offset1:1
	s_waitcnt lgkmcnt(1)
	v_fma_f64 v[44:45], -v[40:41], v[80:81], v[44:45]
	v_mul_f64 v[44:45], v[78:79], v[44:45]
	s_sub_i32 s29, s28, 24
	ds_write_b64 v69, v[44:45] offset:8192
	v_mov_b32_e32 v69, s29
	ds_read2_b64 v[74:77], v69 offset1:1
	s_sub_i32 s29, s28, 40
	s_waitcnt lgkmcnt(2)
	v_fma_f64 v[46:47], -v[6:7], v[72:73], v[46:47]
	v_mov_b32_e32 v69, s29
	v_fma_f64 v[46:47], -v[8:9], v[70:71], v[46:47]
	ds_read2_b64 v[70:73], v69 offset1:1
	s_sub_i32 s29, s28, 56
	v_mov_b32_e32 v69, s29
	s_waitcnt lgkmcnt(1)
	v_fma_f64 v[46:47], -v[10:11], v[76:77], v[46:47]
	ds_read2_b64 v[78:81], v69 offset1:1
	v_fma_f64 v[46:47], -v[12:13], v[74:75], v[46:47]
	s_add_i32 s29, s28, 0xffffffb8
	s_waitcnt lgkmcnt(1)
	v_fma_f64 v[46:47], -v[16:17], v[72:73], v[46:47]
	v_mov_b32_e32 v69, s29
	v_fma_f64 v[46:47], -v[18:19], v[70:71], v[46:47]
	ds_read2_b64 v[70:73], v69 offset1:1
	s_add_i32 s29, s28, 0xffffffa8
	s_waitcnt lgkmcnt(1)
	v_fma_f64 v[46:47], -v[20:21], v[80:81], v[46:47]
	v_mov_b32_e32 v69, s29
	v_fma_f64 v[46:47], -v[22:23], v[78:79], v[46:47]
	ds_read2_b64 v[74:77], v69 offset1:1
	s_addk_i32 s28, 0xff98
	s_waitcnt lgkmcnt(1)
	v_fma_f64 v[46:47], -v[24:25], v[72:73], v[46:47]
	v_mov_b32_e32 v69, s28
	v_fma_f64 v[46:47], -v[28:29], v[70:71], v[46:47]
	s_add_i32 s28, s9, 0xfffff088
	ds_read2_b64 v[70:73], v69 offset1:1
	v_mov_b32_e32 v69, s28
	ds_read2_b64 v[78:81], v69 offset1:1
	s_waitcnt lgkmcnt(2)
	v_fma_f64 v[46:47], -v[30:31], v[76:77], v[46:47]
	v_fma_f64 v[46:47], -v[34:35], v[74:75], v[46:47]
	s_add_i32 s27, s27, s8
	s_waitcnt lgkmcnt(1)
	v_fma_f64 v[46:47], -v[36:37], v[72:73], v[46:47]
	s_lshl_b32 s27, s27, 3
	v_fma_f64 v[46:47], -v[40:41], v[70:71], v[46:47]
	v_mov_b32_e32 v69, s27
	s_waitcnt lgkmcnt(0)
	v_fma_f64 v[46:47], -v[44:45], v[80:81], v[46:47]
	ds_read_b64 v[72:73], v69
	v_mul_f64 v[46:47], v[78:79], v[46:47]
	s_add_i32 s28, s27, -16
	ds_write_b64 v68, v[46:47] offset:8192
	v_mov_b32_e32 v68, s28
	ds_read2_b64 v[68:71], v68 offset1:1
	s_sub_i32 s28, s27, 32
	s_waitcnt lgkmcnt(2)
	v_fma_f64 v[50:51], -v[6:7], v[72:73], v[50:51]
	v_mov_b32_e32 v72, s28
	ds_read2_b64 v[72:75], v72 offset1:1
	s_sub_i32 s28, s27, 48
	v_mov_b32_e32 v76, s28
	ds_read2_b64 v[76:79], v76 offset1:1
	s_waitcnt lgkmcnt(2)
	v_fma_f64 v[50:51], -v[8:9], v[70:71], v[50:51]
	s_sub_i32 s28, s27, 64
	v_fma_f64 v[50:51], -v[10:11], v[68:69], v[50:51]
	v_mov_b32_e32 v68, s28
	ds_read2_b64 v[68:71], v68 offset1:1
	s_waitcnt lgkmcnt(2)
	v_fma_f64 v[50:51], -v[12:13], v[74:75], v[50:51]
	v_fma_f64 v[50:51], -v[16:17], v[72:73], v[50:51]
	s_waitcnt lgkmcnt(1)
	v_fma_f64 v[50:51], -v[18:19], v[78:79], v[50:51]
	s_add_i32 s28, s27, 0xffffffb0
	v_fma_f64 v[50:51], -v[20:21], v[76:77], v[50:51]
	v_mov_b32_e32 v72, s28
	ds_read2_b64 v[72:75], v72 offset1:1
	s_waitcnt lgkmcnt(1)
	v_fma_f64 v[50:51], -v[22:23], v[70:71], v[50:51]
	s_add_i32 s28, s27, 0xffffffa0
	v_fma_f64 v[50:51], -v[24:25], v[68:69], v[50:51]
	v_mov_b32_e32 v68, s28
	ds_read2_b64 v[68:71], v68 offset1:1
	s_addk_i32 s27, 0xff90
	s_waitcnt lgkmcnt(1)
	v_fma_f64 v[50:51], -v[28:29], v[74:75], v[50:51]
	v_mov_b32_e32 v76, s27
	ds_read2_b64 v[76:79], v76 offset1:1
	v_fma_f64 v[50:51], -v[30:31], v[72:73], v[50:51]
	s_waitcnt lgkmcnt(1)
	v_fma_f64 v[50:51], -v[34:35], v[70:71], v[50:51]
	s_add_i32 s27, s9, 0xffffef80
	v_fma_f64 v[50:51], -v[36:37], v[68:69], v[50:51]
	v_mov_b32_e32 v68, s27
	ds_read2_b64 v[68:71], v68 offset1:1
	s_add_i32 s26, s26, s8
	s_waitcnt lgkmcnt(1)
	v_fma_f64 v[50:51], -v[40:41], v[78:79], v[50:51]
	s_lshl_b32 s26, s26, 3
	v_fma_f64 v[50:51], -v[44:45], v[76:77], v[50:51]
	s_add_i32 s27, s26, -8
	v_mov_b32_e32 v72, s27
	s_waitcnt lgkmcnt(0)
	v_fma_f64 v[50:51], -v[46:47], v[70:71], v[50:51]
	ds_read2_b64 v[72:75], v72 offset1:1
	v_mul_f64 v[50:51], v[68:69], v[50:51]
	s_sub_i32 s27, s26, 24
	ds_write_b64 v67, v[50:51] offset:8192
	v_mov_b32_e32 v67, s27
	ds_read2_b64 v[68:71], v67 offset1:1
	s_sub_i32 s27, s26, 40
	v_mov_b32_e32 v67, s27
	s_waitcnt lgkmcnt(2)
	v_fma_f64 v[54:55], -v[6:7], v[74:75], v[54:55]
	ds_read2_b64 v[76:79], v67 offset1:1
	v_fma_f64 v[54:55], -v[8:9], v[72:73], v[54:55]
	s_sub_i32 s27, s26, 56
	s_waitcnt lgkmcnt(1)
	v_fma_f64 v[54:55], -v[10:11], v[70:71], v[54:55]
	v_mov_b32_e32 v67, s27
	v_fma_f64 v[54:55], -v[12:13], v[68:69], v[54:55]
	ds_read2_b64 v[68:71], v67 offset1:1
	s_add_i32 s27, s26, 0xffffffb8
	s_waitcnt lgkmcnt(1)
	v_fma_f64 v[54:55], -v[16:17], v[78:79], v[54:55]
	v_mov_b32_e32 v67, s27
	v_fma_f64 v[54:55], -v[18:19], v[76:77], v[54:55]
	ds_read2_b64 v[72:75], v67 offset1:1
	s_add_i32 s27, s26, 0xffffffa8
	;; [unrolled: 6-line block ×3, first 2 shown]
	v_mov_b32_e32 v67, s27
	s_waitcnt lgkmcnt(1)
	v_fma_f64 v[54:55], -v[24:25], v[74:75], v[54:55]
	ds_read2_b64 v[76:79], v67 offset1:1
	v_fma_f64 v[54:55], -v[28:29], v[72:73], v[54:55]
	s_addk_i32 s26, 0xff88
	s_waitcnt lgkmcnt(1)
	v_fma_f64 v[54:55], -v[30:31], v[70:71], v[54:55]
	v_mov_b32_e32 v67, s26
	v_fma_f64 v[54:55], -v[34:35], v[68:69], v[54:55]
	ds_read2_b64 v[68:71], v67 offset1:1
	s_add_i32 s26, s9, 0xffffee78
	s_waitcnt lgkmcnt(1)
	v_fma_f64 v[54:55], -v[36:37], v[78:79], v[54:55]
	v_mov_b32_e32 v67, s26
	s_add_i32 s25, s25, s8
	v_fma_f64 v[54:55], -v[40:41], v[76:77], v[54:55]
	ds_read2_b64 v[72:75], v67 offset1:1
	s_lshl_b32 s25, s25, 3
	s_waitcnt lgkmcnt(1)
	v_fma_f64 v[54:55], -v[44:45], v[70:71], v[54:55]
	s_add_i32 s26, s25, -16
	v_fma_f64 v[54:55], -v[46:47], v[68:69], v[54:55]
	v_mov_b32_e32 v67, s25
	v_mov_b32_e32 v68, s26
	ds_read_b64 v[76:77], v67
	ds_read2_b64 v[68:71], v68 offset1:1
	s_waitcnt lgkmcnt(2)
	v_fma_f64 v[54:55], -v[50:51], v[74:75], v[54:55]
	v_mul_f64 v[54:55], v[72:73], v[54:55]
	s_sub_i32 s26, s25, 32
	ds_write_b64 v66, v[54:55] offset:8192
	s_waitcnt lgkmcnt(2)
	v_fma_f64 v[56:57], -v[6:7], v[76:77], v[56:57]
	v_mov_b32_e32 v66, s26
	s_waitcnt lgkmcnt(1)
	v_fma_f64 v[56:57], -v[8:9], v[70:71], v[56:57]
	ds_read2_b64 v[70:73], v66 offset1:1
	s_sub_i32 s26, s25, 48
	v_mov_b32_e32 v66, s26
	v_fma_f64 v[56:57], -v[10:11], v[68:69], v[56:57]
	ds_read2_b64 v[66:69], v66 offset1:1
	s_waitcnt lgkmcnt(1)
	v_fma_f64 v[56:57], -v[12:13], v[72:73], v[56:57]
	s_sub_i32 s26, s25, 64
	v_fma_f64 v[56:57], -v[16:17], v[70:71], v[56:57]
	v_mov_b32_e32 v70, s26
	ds_read2_b64 v[70:73], v70 offset1:1
	s_add_i32 s26, s25, 0xffffffb0
	v_mov_b32_e32 v74, s26
	ds_read2_b64 v[74:77], v74 offset1:1
	s_waitcnt lgkmcnt(2)
	v_fma_f64 v[56:57], -v[18:19], v[68:69], v[56:57]
	s_add_i32 s26, s25, 0xffffffa0
	v_fma_f64 v[56:57], -v[20:21], v[66:67], v[56:57]
	v_mov_b32_e32 v66, s26
	ds_read2_b64 v[66:69], v66 offset1:1
	s_waitcnt lgkmcnt(2)
	v_fma_f64 v[56:57], -v[22:23], v[72:73], v[56:57]
	v_fma_f64 v[56:57], -v[24:25], v[70:71], v[56:57]
	s_waitcnt lgkmcnt(1)
	v_fma_f64 v[56:57], -v[28:29], v[76:77], v[56:57]
	s_add_i32 s26, s25, 0xffffff90
	v_fma_f64 v[56:57], -v[30:31], v[74:75], v[56:57]
	v_mov_b32_e32 v70, s26
	ds_read2_b64 v[70:73], v70 offset1:1
	s_waitcnt lgkmcnt(1)
	v_fma_f64 v[56:57], -v[34:35], v[68:69], v[56:57]
	s_addk_i32 s25, 0xff80
	v_fma_f64 v[56:57], -v[36:37], v[66:67], v[56:57]
	v_mov_b32_e32 v66, s25
	ds_read2_b64 v[66:69], v66 offset1:1
	s_add_i32 s25, s9, 0xffffed70
	v_mov_b32_e32 v74, s25
	ds_read2_b64 v[74:77], v74 offset1:1
	s_waitcnt lgkmcnt(2)
	v_fma_f64 v[56:57], -v[40:41], v[72:73], v[56:57]
	s_add_i32 s21, s21, s8
	v_fma_f64 v[56:57], -v[44:45], v[70:71], v[56:57]
	s_lshl_b32 s21, s21, 3
	s_waitcnt lgkmcnt(1)
	v_fma_f64 v[56:57], -v[46:47], v[68:69], v[56:57]
	s_add_i32 s25, s21, -8
	v_fma_f64 v[56:57], -v[50:51], v[66:67], v[56:57]
	v_mov_b32_e32 v66, s25
	ds_read2_b64 v[66:69], v66 offset1:1
	s_waitcnt lgkmcnt(1)
	v_fma_f64 v[56:57], -v[54:55], v[76:77], v[56:57]
	v_mul_f64 v[56:57], v[74:75], v[56:57]
	s_sub_i32 s25, s21, 24
	ds_write_b64 v65, v[56:57] offset:8192
	v_mov_b32_e32 v65, s25
	ds_read2_b64 v[70:73], v65 offset1:1
	s_sub_i32 s25, s21, 40
	s_waitcnt lgkmcnt(2)
	v_fma_f64 v[52:53], -v[6:7], v[68:69], v[52:53]
	v_mov_b32_e32 v65, s25
	v_fma_f64 v[52:53], -v[8:9], v[66:67], v[52:53]
	ds_read2_b64 v[66:69], v65 offset1:1
	s_sub_i32 s25, s21, 56
	v_mov_b32_e32 v65, s25
	s_waitcnt lgkmcnt(1)
	v_fma_f64 v[52:53], -v[10:11], v[72:73], v[52:53]
	ds_read2_b64 v[74:77], v65 offset1:1
	v_fma_f64 v[52:53], -v[12:13], v[70:71], v[52:53]
	s_add_i32 s25, s21, 0xffffffb8
	s_waitcnt lgkmcnt(1)
	v_fma_f64 v[52:53], -v[16:17], v[68:69], v[52:53]
	v_mov_b32_e32 v65, s25
	v_fma_f64 v[52:53], -v[18:19], v[66:67], v[52:53]
	ds_read2_b64 v[66:69], v65 offset1:1
	s_add_i32 s25, s21, 0xffffffa8
	s_waitcnt lgkmcnt(1)
	v_fma_f64 v[52:53], -v[20:21], v[76:77], v[52:53]
	v_mov_b32_e32 v65, s25
	v_fma_f64 v[52:53], -v[22:23], v[74:75], v[52:53]
	ds_read2_b64 v[70:73], v65 offset1:1
	;; [unrolled: 6-line block ×3, first 2 shown]
	s_add_i32 s25, s21, 0xffffff88
	v_mov_b32_e32 v65, s25
	s_waitcnt lgkmcnt(1)
	v_fma_f64 v[52:53], -v[30:31], v[72:73], v[52:53]
	ds_read2_b64 v[74:77], v65 offset1:1
	v_fma_f64 v[52:53], -v[34:35], v[70:71], v[52:53]
	s_addk_i32 s21, 0xff78
	s_waitcnt lgkmcnt(1)
	v_fma_f64 v[52:53], -v[36:37], v[68:69], v[52:53]
	v_mov_b32_e32 v65, s21
	v_fma_f64 v[52:53], -v[40:41], v[66:67], v[52:53]
	ds_read2_b64 v[66:69], v65 offset1:1
	s_add_i32 s21, s9, 0xffffec68
	s_waitcnt lgkmcnt(1)
	v_fma_f64 v[52:53], -v[44:45], v[76:77], v[52:53]
	v_mov_b32_e32 v65, s21
	s_add_i32 s20, s20, s8
	v_fma_f64 v[52:53], -v[46:47], v[74:75], v[52:53]
	ds_read2_b64 v[70:73], v65 offset1:1
	s_lshl_b32 s20, s20, 3
	s_waitcnt lgkmcnt(1)
	v_fma_f64 v[52:53], -v[50:51], v[68:69], v[52:53]
	s_add_i32 s21, s20, -16
	v_fma_f64 v[52:53], -v[54:55], v[66:67], v[52:53]
	v_mov_b32_e32 v65, s20
	v_mov_b32_e32 v66, s21
	ds_read_b64 v[74:75], v65
	ds_read2_b64 v[66:69], v66 offset1:1
	s_waitcnt lgkmcnt(2)
	v_fma_f64 v[52:53], -v[56:57], v[72:73], v[52:53]
	v_mul_f64 v[52:53], v[70:71], v[52:53]
	s_sub_i32 s21, s20, 32
	ds_write_b64 v64, v[52:53] offset:8192
	s_waitcnt lgkmcnt(2)
	v_fma_f64 v[48:49], -v[6:7], v[74:75], v[48:49]
	v_mov_b32_e32 v64, s21
	s_waitcnt lgkmcnt(1)
	v_fma_f64 v[48:49], -v[8:9], v[68:69], v[48:49]
	ds_read2_b64 v[68:71], v64 offset1:1
	s_sub_i32 s21, s20, 48
	v_mov_b32_e32 v64, s21
	v_fma_f64 v[48:49], -v[10:11], v[66:67], v[48:49]
	ds_read2_b64 v[64:67], v64 offset1:1
	s_waitcnt lgkmcnt(1)
	v_fma_f64 v[48:49], -v[12:13], v[70:71], v[48:49]
	s_sub_i32 s21, s20, 64
	v_fma_f64 v[48:49], -v[16:17], v[68:69], v[48:49]
	v_mov_b32_e32 v68, s21
	ds_read2_b64 v[68:71], v68 offset1:1
	s_add_i32 s21, s20, 0xffffffb0
	v_mov_b32_e32 v72, s21
	ds_read2_b64 v[72:75], v72 offset1:1
	s_waitcnt lgkmcnt(2)
	v_fma_f64 v[48:49], -v[18:19], v[66:67], v[48:49]
	s_add_i32 s21, s20, 0xffffffa0
	v_fma_f64 v[48:49], -v[20:21], v[64:65], v[48:49]
	v_mov_b32_e32 v64, s21
	ds_read2_b64 v[64:67], v64 offset1:1
	s_waitcnt lgkmcnt(2)
	v_fma_f64 v[48:49], -v[22:23], v[70:71], v[48:49]
	v_fma_f64 v[48:49], -v[24:25], v[68:69], v[48:49]
	s_waitcnt lgkmcnt(1)
	v_fma_f64 v[48:49], -v[28:29], v[74:75], v[48:49]
	s_add_i32 s21, s20, 0xffffff90
	v_fma_f64 v[48:49], -v[30:31], v[72:73], v[48:49]
	v_mov_b32_e32 v68, s21
	ds_read2_b64 v[68:71], v68 offset1:1
	s_waitcnt lgkmcnt(1)
	v_fma_f64 v[48:49], -v[34:35], v[66:67], v[48:49]
	s_add_i32 s21, s20, 0xffffff80
	v_fma_f64 v[48:49], -v[36:37], v[64:65], v[48:49]
	v_mov_b32_e32 v64, s21
	ds_read2_b64 v[64:67], v64 offset1:1
	s_addk_i32 s20, 0xff70
	s_waitcnt lgkmcnt(1)
	v_fma_f64 v[48:49], -v[40:41], v[70:71], v[48:49]
	v_mov_b32_e32 v72, s20
	ds_read2_b64 v[72:75], v72 offset1:1
	v_fma_f64 v[48:49], -v[44:45], v[68:69], v[48:49]
	s_waitcnt lgkmcnt(1)
	v_fma_f64 v[48:49], -v[46:47], v[66:67], v[48:49]
	s_add_i32 s20, s9, 0xffffeb60
	v_fma_f64 v[48:49], -v[50:51], v[64:65], v[48:49]
	v_mov_b32_e32 v64, s20
	ds_read2_b64 v[64:67], v64 offset1:1
	s_add_i32 s19, s19, s8
	s_waitcnt lgkmcnt(1)
	v_fma_f64 v[48:49], -v[54:55], v[74:75], v[48:49]
	s_lshl_b32 s19, s19, 3
	v_fma_f64 v[48:49], -v[56:57], v[72:73], v[48:49]
	s_add_i32 s20, s19, -8
	v_mov_b32_e32 v68, s20
	s_waitcnt lgkmcnt(0)
	v_fma_f64 v[48:49], -v[52:53], v[66:67], v[48:49]
	ds_read2_b64 v[68:71], v68 offset1:1
	v_mul_f64 v[48:49], v[64:65], v[48:49]
	s_sub_i32 s20, s19, 24
	ds_write_b64 v63, v[48:49] offset:8192
	v_mov_b32_e32 v63, s20
	ds_read2_b64 v[64:67], v63 offset1:1
	s_sub_i32 s20, s19, 40
	v_mov_b32_e32 v63, s20
	s_waitcnt lgkmcnt(2)
	v_fma_f64 v[42:43], -v[6:7], v[70:71], v[42:43]
	ds_read2_b64 v[72:75], v63 offset1:1
	v_fma_f64 v[42:43], -v[8:9], v[68:69], v[42:43]
	s_sub_i32 s20, s19, 56
	s_waitcnt lgkmcnt(1)
	v_fma_f64 v[42:43], -v[10:11], v[66:67], v[42:43]
	v_mov_b32_e32 v63, s20
	v_fma_f64 v[42:43], -v[12:13], v[64:65], v[42:43]
	ds_read2_b64 v[64:67], v63 offset1:1
	s_add_i32 s20, s19, 0xffffffb8
	s_waitcnt lgkmcnt(1)
	v_fma_f64 v[42:43], -v[16:17], v[74:75], v[42:43]
	v_mov_b32_e32 v63, s20
	v_fma_f64 v[42:43], -v[18:19], v[72:73], v[42:43]
	ds_read2_b64 v[68:71], v63 offset1:1
	s_add_i32 s20, s19, 0xffffffa8
	;; [unrolled: 6-line block ×3, first 2 shown]
	v_mov_b32_e32 v63, s20
	s_waitcnt lgkmcnt(1)
	v_fma_f64 v[42:43], -v[24:25], v[70:71], v[42:43]
	ds_read2_b64 v[72:75], v63 offset1:1
	v_fma_f64 v[42:43], -v[28:29], v[68:69], v[42:43]
	s_add_i32 s20, s19, 0xffffff88
	s_waitcnt lgkmcnt(1)
	v_fma_f64 v[42:43], -v[30:31], v[66:67], v[42:43]
	v_mov_b32_e32 v63, s20
	v_fma_f64 v[42:43], -v[34:35], v[64:65], v[42:43]
	ds_read2_b64 v[64:67], v63 offset1:1
	s_add_i32 s20, s19, 0xffffff78
	s_waitcnt lgkmcnt(1)
	v_fma_f64 v[42:43], -v[36:37], v[74:75], v[42:43]
	v_mov_b32_e32 v63, s20
	v_fma_f64 v[42:43], -v[40:41], v[72:73], v[42:43]
	ds_read2_b64 v[68:71], v63 offset1:1
	s_addk_i32 s19, 0xff68
	s_waitcnt lgkmcnt(1)
	v_fma_f64 v[42:43], -v[44:45], v[66:67], v[42:43]
	v_mov_b32_e32 v63, s19
	v_fma_f64 v[42:43], -v[46:47], v[64:65], v[42:43]
	s_add_i32 s19, s9, 0xffffea58
	ds_read2_b64 v[64:67], v63 offset1:1
	v_mov_b32_e32 v63, s19
	ds_read2_b64 v[72:75], v63 offset1:1
	s_waitcnt lgkmcnt(2)
	v_fma_f64 v[42:43], -v[50:51], v[70:71], v[42:43]
	v_fma_f64 v[42:43], -v[54:55], v[68:69], v[42:43]
	s_add_i32 s18, s18, s8
	s_waitcnt lgkmcnt(1)
	v_fma_f64 v[42:43], -v[56:57], v[66:67], v[42:43]
	s_lshl_b32 s18, s18, 3
	v_fma_f64 v[42:43], -v[52:53], v[64:65], v[42:43]
	v_mov_b32_e32 v63, s18
	s_waitcnt lgkmcnt(0)
	v_fma_f64 v[42:43], -v[48:49], v[74:75], v[42:43]
	ds_read_b64 v[66:67], v63
	v_mul_f64 v[42:43], v[72:73], v[42:43]
	s_add_i32 s19, s18, -16
	ds_write_b64 v62, v[42:43] offset:8192
	v_mov_b32_e32 v62, s19
	ds_read2_b64 v[62:65], v62 offset1:1
	s_sub_i32 s19, s18, 32
	s_waitcnt lgkmcnt(2)
	v_fma_f64 v[38:39], -v[6:7], v[66:67], v[38:39]
	v_mov_b32_e32 v66, s19
	ds_read2_b64 v[66:69], v66 offset1:1
	s_sub_i32 s19, s18, 48
	v_mov_b32_e32 v70, s19
	ds_read2_b64 v[70:73], v70 offset1:1
	s_waitcnt lgkmcnt(2)
	v_fma_f64 v[38:39], -v[8:9], v[64:65], v[38:39]
	s_sub_i32 s19, s18, 64
	v_fma_f64 v[38:39], -v[10:11], v[62:63], v[38:39]
	v_mov_b32_e32 v62, s19
	ds_read2_b64 v[62:65], v62 offset1:1
	s_waitcnt lgkmcnt(2)
	v_fma_f64 v[38:39], -v[12:13], v[68:69], v[38:39]
	v_fma_f64 v[38:39], -v[16:17], v[66:67], v[38:39]
	s_waitcnt lgkmcnt(1)
	v_fma_f64 v[38:39], -v[18:19], v[72:73], v[38:39]
	s_add_i32 s19, s18, 0xffffffb0
	v_fma_f64 v[38:39], -v[20:21], v[70:71], v[38:39]
	v_mov_b32_e32 v66, s19
	ds_read2_b64 v[66:69], v66 offset1:1
	s_waitcnt lgkmcnt(1)
	v_fma_f64 v[38:39], -v[22:23], v[64:65], v[38:39]
	s_add_i32 s19, s18, 0xffffffa0
	v_fma_f64 v[38:39], -v[24:25], v[62:63], v[38:39]
	v_mov_b32_e32 v62, s19
	ds_read2_b64 v[62:65], v62 offset1:1
	s_add_i32 s19, s18, 0xffffff90
	s_waitcnt lgkmcnt(1)
	v_fma_f64 v[38:39], -v[28:29], v[68:69], v[38:39]
	v_mov_b32_e32 v70, s19
	ds_read2_b64 v[70:73], v70 offset1:1
	v_fma_f64 v[38:39], -v[30:31], v[66:67], v[38:39]
	s_waitcnt lgkmcnt(1)
	v_fma_f64 v[38:39], -v[34:35], v[64:65], v[38:39]
	s_add_i32 s19, s18, 0xffffff80
	v_fma_f64 v[38:39], -v[36:37], v[62:63], v[38:39]
	v_mov_b32_e32 v62, s19
	ds_read2_b64 v[62:65], v62 offset1:1
	s_waitcnt lgkmcnt(1)
	v_fma_f64 v[38:39], -v[40:41], v[72:73], v[38:39]
	s_add_i32 s19, s18, 0xffffff70
	v_fma_f64 v[38:39], -v[44:45], v[70:71], v[38:39]
	v_mov_b32_e32 v66, s19
	ds_read2_b64 v[66:69], v66 offset1:1
	s_waitcnt lgkmcnt(1)
	v_fma_f64 v[38:39], -v[46:47], v[64:65], v[38:39]
	s_addk_i32 s18, 0xff60
	v_fma_f64 v[38:39], -v[50:51], v[62:63], v[38:39]
	v_mov_b32_e32 v62, s18
	ds_read2_b64 v[62:65], v62 offset1:1
	s_add_i32 s18, s9, 0xffffe950
	v_mov_b32_e32 v70, s18
	ds_read2_b64 v[70:73], v70 offset1:1
	s_waitcnt lgkmcnt(2)
	v_fma_f64 v[38:39], -v[54:55], v[68:69], v[38:39]
	s_add_i32 s17, s17, s8
	v_fma_f64 v[38:39], -v[56:57], v[66:67], v[38:39]
	s_lshl_b32 s17, s17, 3
	s_waitcnt lgkmcnt(1)
	v_fma_f64 v[38:39], -v[52:53], v[64:65], v[38:39]
	s_add_i32 s18, s17, -8
	v_fma_f64 v[38:39], -v[48:49], v[62:63], v[38:39]
	v_mov_b32_e32 v62, s18
	ds_read2_b64 v[62:65], v62 offset1:1
	s_waitcnt lgkmcnt(1)
	v_fma_f64 v[38:39], -v[42:43], v[72:73], v[38:39]
	v_mul_f64 v[38:39], v[70:71], v[38:39]
	s_sub_i32 s18, s17, 24
	ds_write_b64 v61, v[38:39] offset:8192
	v_mov_b32_e32 v61, s18
	ds_read2_b64 v[66:69], v61 offset1:1
	s_sub_i32 s18, s17, 40
	s_waitcnt lgkmcnt(2)
	v_fma_f64 v[32:33], -v[6:7], v[64:65], v[32:33]
	v_mov_b32_e32 v61, s18
	v_fma_f64 v[32:33], -v[8:9], v[62:63], v[32:33]
	ds_read2_b64 v[62:65], v61 offset1:1
	s_sub_i32 s18, s17, 56
	v_mov_b32_e32 v61, s18
	s_waitcnt lgkmcnt(1)
	v_fma_f64 v[32:33], -v[10:11], v[68:69], v[32:33]
	ds_read2_b64 v[70:73], v61 offset1:1
	v_fma_f64 v[32:33], -v[12:13], v[66:67], v[32:33]
	s_add_i32 s18, s17, 0xffffffb8
	s_waitcnt lgkmcnt(1)
	v_fma_f64 v[32:33], -v[16:17], v[64:65], v[32:33]
	v_mov_b32_e32 v61, s18
	v_fma_f64 v[32:33], -v[18:19], v[62:63], v[32:33]
	ds_read2_b64 v[62:65], v61 offset1:1
	s_add_i32 s18, s17, 0xffffffa8
	s_waitcnt lgkmcnt(1)
	v_fma_f64 v[32:33], -v[20:21], v[72:73], v[32:33]
	v_mov_b32_e32 v61, s18
	v_fma_f64 v[32:33], -v[22:23], v[70:71], v[32:33]
	ds_read2_b64 v[66:69], v61 offset1:1
	;; [unrolled: 6-line block ×3, first 2 shown]
	s_add_i32 s18, s17, 0xffffff88
	v_mov_b32_e32 v61, s18
	s_waitcnt lgkmcnt(1)
	v_fma_f64 v[32:33], -v[30:31], v[68:69], v[32:33]
	ds_read2_b64 v[70:73], v61 offset1:1
	v_fma_f64 v[32:33], -v[34:35], v[66:67], v[32:33]
	s_add_i32 s18, s17, 0xffffff78
	s_waitcnt lgkmcnt(1)
	v_fma_f64 v[32:33], -v[36:37], v[64:65], v[32:33]
	v_mov_b32_e32 v61, s18
	v_fma_f64 v[32:33], -v[40:41], v[62:63], v[32:33]
	ds_read2_b64 v[62:65], v61 offset1:1
	s_add_i32 s18, s17, 0xffffff68
	s_waitcnt lgkmcnt(1)
	v_fma_f64 v[32:33], -v[44:45], v[72:73], v[32:33]
	v_mov_b32_e32 v61, s18
	v_fma_f64 v[32:33], -v[46:47], v[70:71], v[32:33]
	ds_read2_b64 v[66:69], v61 offset1:1
	s_addk_i32 s17, 0xff58
	s_waitcnt lgkmcnt(1)
	v_fma_f64 v[32:33], -v[50:51], v[64:65], v[32:33]
	v_mov_b32_e32 v61, s17
	v_fma_f64 v[32:33], -v[54:55], v[62:63], v[32:33]
	s_add_i32 s17, s9, 0xffffe848
	ds_read2_b64 v[62:65], v61 offset1:1
	v_mov_b32_e32 v61, s17
	ds_read2_b64 v[70:73], v61 offset1:1
	s_waitcnt lgkmcnt(2)
	v_fma_f64 v[32:33], -v[56:57], v[68:69], v[32:33]
	v_fma_f64 v[32:33], -v[52:53], v[66:67], v[32:33]
	s_add_i32 s16, s16, s8
	s_waitcnt lgkmcnt(1)
	v_fma_f64 v[32:33], -v[48:49], v[64:65], v[32:33]
	s_lshl_b32 s16, s16, 3
	v_fma_f64 v[32:33], -v[42:43], v[62:63], v[32:33]
	v_mov_b32_e32 v61, s16
	s_waitcnt lgkmcnt(0)
	v_fma_f64 v[32:33], -v[38:39], v[72:73], v[32:33]
	ds_read_b64 v[64:65], v61
	v_mul_f64 v[32:33], v[70:71], v[32:33]
	s_add_i32 s17, s16, -16
	ds_write_b64 v60, v[32:33] offset:8192
	v_mov_b32_e32 v60, s17
	ds_read2_b64 v[60:63], v60 offset1:1
	s_sub_i32 s17, s16, 32
	s_waitcnt lgkmcnt(2)
	v_fma_f64 v[26:27], -v[6:7], v[64:65], v[26:27]
	v_mov_b32_e32 v64, s17
	ds_read2_b64 v[64:67], v64 offset1:1
	s_sub_i32 s17, s16, 48
	v_mov_b32_e32 v68, s17
	ds_read2_b64 v[68:71], v68 offset1:1
	s_waitcnt lgkmcnt(2)
	v_fma_f64 v[26:27], -v[8:9], v[62:63], v[26:27]
	s_sub_i32 s17, s16, 64
	v_fma_f64 v[26:27], -v[10:11], v[60:61], v[26:27]
	v_mov_b32_e32 v60, s17
	ds_read2_b64 v[60:63], v60 offset1:1
	s_waitcnt lgkmcnt(2)
	v_fma_f64 v[26:27], -v[12:13], v[66:67], v[26:27]
	v_fma_f64 v[26:27], -v[16:17], v[64:65], v[26:27]
	s_waitcnt lgkmcnt(1)
	v_fma_f64 v[26:27], -v[18:19], v[70:71], v[26:27]
	s_add_i32 s17, s16, 0xffffffb0
	v_fma_f64 v[26:27], -v[20:21], v[68:69], v[26:27]
	v_mov_b32_e32 v64, s17
	ds_read2_b64 v[64:67], v64 offset1:1
	s_waitcnt lgkmcnt(1)
	v_fma_f64 v[26:27], -v[22:23], v[62:63], v[26:27]
	s_add_i32 s17, s16, 0xffffffa0
	v_fma_f64 v[26:27], -v[24:25], v[60:61], v[26:27]
	v_mov_b32_e32 v60, s17
	ds_read2_b64 v[60:63], v60 offset1:1
	s_add_i32 s17, s16, 0xffffff90
	s_waitcnt lgkmcnt(1)
	v_fma_f64 v[26:27], -v[28:29], v[66:67], v[26:27]
	v_mov_b32_e32 v68, s17
	ds_read2_b64 v[68:71], v68 offset1:1
	v_fma_f64 v[26:27], -v[30:31], v[64:65], v[26:27]
	s_waitcnt lgkmcnt(1)
	v_fma_f64 v[26:27], -v[34:35], v[62:63], v[26:27]
	s_add_i32 s17, s16, 0xffffff80
	v_fma_f64 v[26:27], -v[36:37], v[60:61], v[26:27]
	v_mov_b32_e32 v60, s17
	ds_read2_b64 v[60:63], v60 offset1:1
	s_waitcnt lgkmcnt(1)
	v_fma_f64 v[26:27], -v[40:41], v[70:71], v[26:27]
	s_add_i32 s17, s16, 0xffffff70
	v_fma_f64 v[26:27], -v[44:45], v[68:69], v[26:27]
	v_mov_b32_e32 v64, s17
	ds_read2_b64 v[64:67], v64 offset1:1
	;; [unrolled: 6-line block ×3, first 2 shown]
	s_addk_i32 s16, 0xff50
	s_waitcnt lgkmcnt(1)
	v_fma_f64 v[26:27], -v[54:55], v[66:67], v[26:27]
	v_mov_b32_e32 v68, s16
	ds_read2_b64 v[68:71], v68 offset1:1
	v_fma_f64 v[26:27], -v[56:57], v[64:65], v[26:27]
	s_waitcnt lgkmcnt(1)
	v_fma_f64 v[26:27], -v[52:53], v[62:63], v[26:27]
	s_add_i32 s16, s9, 0xffffe740
	v_fma_f64 v[26:27], -v[48:49], v[60:61], v[26:27]
	v_mov_b32_e32 v60, s16
	ds_read2_b64 v[60:63], v60 offset1:1
	s_add_i32 s13, s13, s8
	s_waitcnt lgkmcnt(1)
	v_fma_f64 v[26:27], -v[42:43], v[70:71], v[26:27]
	s_lshl_b32 s13, s13, 3
	v_fma_f64 v[26:27], -v[38:39], v[68:69], v[26:27]
	s_add_i32 s16, s13, -8
	v_mov_b32_e32 v64, s16
	s_waitcnt lgkmcnt(0)
	v_fma_f64 v[26:27], -v[32:33], v[62:63], v[26:27]
	ds_read2_b64 v[64:67], v64 offset1:1
	v_mul_f64 v[26:27], v[60:61], v[26:27]
	s_sub_i32 s16, s13, 24
	ds_write_b64 v59, v[26:27] offset:8192
	v_mov_b32_e32 v59, s16
	ds_read2_b64 v[60:63], v59 offset1:1
	s_sub_i32 s16, s13, 40
	v_mov_b32_e32 v59, s16
	s_waitcnt lgkmcnt(2)
	v_fma_f64 v[14:15], -v[6:7], v[66:67], v[14:15]
	ds_read2_b64 v[68:71], v59 offset1:1
	v_fma_f64 v[14:15], -v[8:9], v[64:65], v[14:15]
	s_sub_i32 s16, s13, 56
	s_waitcnt lgkmcnt(1)
	v_fma_f64 v[14:15], -v[10:11], v[62:63], v[14:15]
	v_mov_b32_e32 v59, s16
	v_fma_f64 v[14:15], -v[12:13], v[60:61], v[14:15]
	ds_read2_b64 v[60:63], v59 offset1:1
	s_add_i32 s16, s13, 0xffffffb8
	s_waitcnt lgkmcnt(1)
	v_fma_f64 v[14:15], -v[16:17], v[70:71], v[14:15]
	v_mov_b32_e32 v59, s16
	v_fma_f64 v[14:15], -v[18:19], v[68:69], v[14:15]
	ds_read2_b64 v[64:67], v59 offset1:1
	s_add_i32 s16, s13, 0xffffffa8
	;; [unrolled: 6-line block ×3, first 2 shown]
	v_mov_b32_e32 v59, s16
	s_waitcnt lgkmcnt(1)
	v_fma_f64 v[14:15], -v[24:25], v[66:67], v[14:15]
	ds_read2_b64 v[68:71], v59 offset1:1
	v_fma_f64 v[14:15], -v[28:29], v[64:65], v[14:15]
	s_add_i32 s16, s13, 0xffffff88
	s_waitcnt lgkmcnt(1)
	v_fma_f64 v[14:15], -v[30:31], v[62:63], v[14:15]
	v_mov_b32_e32 v59, s16
	v_fma_f64 v[14:15], -v[34:35], v[60:61], v[14:15]
	ds_read2_b64 v[60:63], v59 offset1:1
	s_add_i32 s16, s13, 0xffffff78
	s_waitcnt lgkmcnt(1)
	v_fma_f64 v[14:15], -v[36:37], v[70:71], v[14:15]
	v_mov_b32_e32 v59, s16
	v_fma_f64 v[14:15], -v[40:41], v[68:69], v[14:15]
	ds_read2_b64 v[64:67], v59 offset1:1
	s_add_i32 s16, s13, 0xffffff68
	s_waitcnt lgkmcnt(1)
	v_fma_f64 v[14:15], -v[44:45], v[62:63], v[14:15]
	v_mov_b32_e32 v59, s16
	v_fma_f64 v[14:15], -v[46:47], v[60:61], v[14:15]
	ds_read2_b64 v[60:63], v59 offset1:1
	s_add_i32 s16, s13, 0xffffff58
	v_mov_b32_e32 v59, s16
	s_waitcnt lgkmcnt(1)
	v_fma_f64 v[14:15], -v[50:51], v[66:67], v[14:15]
	ds_read2_b64 v[68:71], v59 offset1:1
	v_fma_f64 v[14:15], -v[54:55], v[64:65], v[14:15]
	s_addk_i32 s13, 0xff48
	s_waitcnt lgkmcnt(1)
	v_fma_f64 v[14:15], -v[56:57], v[62:63], v[14:15]
	v_mov_b32_e32 v59, s13
	v_fma_f64 v[14:15], -v[52:53], v[60:61], v[14:15]
	ds_read2_b64 v[60:63], v59 offset1:1
	s_add_i32 s13, s9, 0xffffe638
	s_waitcnt lgkmcnt(1)
	v_fma_f64 v[14:15], -v[48:49], v[70:71], v[14:15]
	v_mov_b32_e32 v59, s13
	s_add_i32 s12, s12, s8
	v_fma_f64 v[14:15], -v[42:43], v[68:69], v[14:15]
	ds_read2_b64 v[64:67], v59 offset1:1
	s_lshl_b32 s12, s12, 3
	s_waitcnt lgkmcnt(1)
	v_fma_f64 v[14:15], -v[38:39], v[62:63], v[14:15]
	s_add_i32 s13, s12, -16
	v_fma_f64 v[14:15], -v[32:33], v[60:61], v[14:15]
	v_mov_b32_e32 v59, s12
	v_mov_b32_e32 v60, s13
	ds_read_b64 v[68:69], v59
	ds_read2_b64 v[60:63], v60 offset1:1
	s_waitcnt lgkmcnt(2)
	v_fma_f64 v[14:15], -v[26:27], v[66:67], v[14:15]
	v_mul_f64 v[14:15], v[64:65], v[14:15]
	s_sub_i32 s13, s12, 32
	ds_write_b64 v58, v[14:15] offset:8192
	s_waitcnt lgkmcnt(2)
	v_fma_f64 v[4:5], -v[6:7], v[68:69], v[4:5]
	v_mov_b32_e32 v58, s13
	s_waitcnt lgkmcnt(1)
	v_fma_f64 v[4:5], -v[8:9], v[62:63], v[4:5]
	ds_read2_b64 v[62:65], v58 offset1:1
	s_sub_i32 s13, s12, 48
	v_mov_b32_e32 v58, s13
	v_fma_f64 v[4:5], -v[10:11], v[60:61], v[4:5]
	ds_read2_b64 v[58:61], v58 offset1:1
	s_waitcnt lgkmcnt(1)
	v_fma_f64 v[4:5], -v[12:13], v[64:65], v[4:5]
	s_sub_i32 s13, s12, 64
	v_fma_f64 v[4:5], -v[16:17], v[62:63], v[4:5]
	v_mov_b32_e32 v62, s13
	ds_read2_b64 v[62:65], v62 offset1:1
	s_add_i32 s13, s12, 0xffffffb0
	v_mov_b32_e32 v66, s13
	ds_read2_b64 v[66:69], v66 offset1:1
	s_waitcnt lgkmcnt(2)
	v_fma_f64 v[4:5], -v[18:19], v[60:61], v[4:5]
	s_add_i32 s13, s12, 0xffffffa0
	v_fma_f64 v[4:5], -v[20:21], v[58:59], v[4:5]
	v_mov_b32_e32 v58, s13
	ds_read2_b64 v[58:61], v58 offset1:1
	s_waitcnt lgkmcnt(2)
	v_fma_f64 v[4:5], -v[22:23], v[64:65], v[4:5]
	v_fma_f64 v[4:5], -v[24:25], v[62:63], v[4:5]
	s_waitcnt lgkmcnt(1)
	v_fma_f64 v[4:5], -v[28:29], v[68:69], v[4:5]
	s_add_i32 s13, s12, 0xffffff90
	v_fma_f64 v[4:5], -v[30:31], v[66:67], v[4:5]
	v_mov_b32_e32 v62, s13
	ds_read2_b64 v[62:65], v62 offset1:1
	s_waitcnt lgkmcnt(1)
	v_fma_f64 v[4:5], -v[34:35], v[60:61], v[4:5]
	s_add_i32 s13, s12, 0xffffff80
	v_fma_f64 v[4:5], -v[36:37], v[58:59], v[4:5]
	v_mov_b32_e32 v58, s13
	ds_read2_b64 v[58:61], v58 offset1:1
	s_add_i32 s13, s12, 0xffffff70
	s_waitcnt lgkmcnt(1)
	v_fma_f64 v[4:5], -v[40:41], v[64:65], v[4:5]
	v_mov_b32_e32 v66, s13
	ds_read2_b64 v[66:69], v66 offset1:1
	v_fma_f64 v[4:5], -v[44:45], v[62:63], v[4:5]
	s_waitcnt lgkmcnt(1)
	v_fma_f64 v[4:5], -v[46:47], v[60:61], v[4:5]
	s_add_i32 s13, s12, 0xffffff60
	v_fma_f64 v[4:5], -v[50:51], v[58:59], v[4:5]
	v_mov_b32_e32 v58, s13
	ds_read2_b64 v[58:61], v58 offset1:1
	s_waitcnt lgkmcnt(1)
	v_fma_f64 v[4:5], -v[54:55], v[68:69], v[4:5]
	s_add_i32 s13, s12, 0xffffff50
	v_fma_f64 v[4:5], -v[56:57], v[66:67], v[4:5]
	v_mov_b32_e32 v62, s13
	ds_read2_b64 v[62:65], v62 offset1:1
	s_waitcnt lgkmcnt(1)
	v_fma_f64 v[4:5], -v[52:53], v[60:61], v[4:5]
	s_addk_i32 s12, 0xff40
	v_fma_f64 v[4:5], -v[48:49], v[58:59], v[4:5]
	v_mov_b32_e32 v58, s12
	s_add_i32 s12, s9, 0xffffe530
	ds_read2_b64 v[58:61], v58 offset1:1
	v_mov_b32_e32 v66, s12
	ds_read2_b64 v[66:69], v66 offset1:1
	s_sub_i32 s12, s8, 27
	s_lshl_b32 s12, s12, 5
	s_waitcnt lgkmcnt(2)
	v_fma_f64 v[4:5], -v[42:43], v[64:65], v[4:5]
	s_add_i32 s13, s12, s8
	v_fma_f64 v[4:5], -v[38:39], v[62:63], v[4:5]
	s_lshl_b32 s13, s13, 3
	s_waitcnt lgkmcnt(1)
	v_fma_f64 v[4:5], -v[32:33], v[60:61], v[4:5]
	s_add_i32 s16, s13, -8
	v_fma_f64 v[4:5], -v[26:27], v[58:59], v[4:5]
	v_mov_b32_e32 v58, s16
	s_sub_i32 s16, s13, 24
	ds_read2_b64 v[58:61], v58 offset1:1
	v_mov_b32_e32 v62, s16
	ds_read2_b64 v[62:65], v62 offset1:1
	s_waitcnt lgkmcnt(2)
	v_fma_f64 v[4:5], -v[14:15], v[68:69], v[4:5]
	v_mul_f64 v[66:67], v[66:67], v[4:5]
	s_waitcnt lgkmcnt(1)
	v_fma_f64 v[2:3], -v[6:7], v[60:61], v[2:3]
	s_sub_i32 s16, s13, 40
	ds_write_b64 v1, v[66:67] offset:8192
	v_fma_f64 v[2:3], -v[8:9], v[58:59], v[2:3]
	v_mov_b32_e32 v1, s16
	s_waitcnt lgkmcnt(1)
	v_fma_f64 v[6:7], -v[10:11], v[64:65], v[2:3]
	ds_read2_b64 v[2:5], v1 offset1:1
	s_sub_i32 s16, s13, 56
	v_mov_b32_e32 v1, s16
	v_fma_f64 v[10:11], -v[12:13], v[62:63], v[6:7]
	ds_read2_b64 v[6:9], v1 offset1:1
	s_add_i32 s16, s13, 0xffffffb8
	s_waitcnt lgkmcnt(1)
	v_fma_f64 v[4:5], -v[16:17], v[4:5], v[10:11]
	v_mov_b32_e32 v1, s16
	v_fma_f64 v[16:17], -v[18:19], v[2:3], v[4:5]
	s_add_i32 s16, s13, 0xffffffa8
	ds_read2_b64 v[2:5], v1 offset1:1
	v_mov_b32_e32 v1, s16
	ds_read2_b64 v[10:13], v1 offset1:1
	s_waitcnt lgkmcnt(2)
	v_fma_f64 v[8:9], -v[20:21], v[8:9], v[16:17]
	v_fma_f64 v[6:7], -v[22:23], v[6:7], v[8:9]
	s_waitcnt lgkmcnt(1)
	v_fma_f64 v[4:5], -v[24:25], v[4:5], v[6:7]
	s_add_i32 s16, s13, 0xffffff98
	v_fma_f64 v[2:3], -v[28:29], v[2:3], v[4:5]
	v_mov_b32_e32 v1, s16
	s_waitcnt lgkmcnt(0)
	v_fma_f64 v[6:7], -v[30:31], v[12:13], v[2:3]
	ds_read2_b64 v[2:5], v1 offset1:1
	s_add_i32 s16, s13, 0xffffff88
	v_mov_b32_e32 v1, s16
	v_fma_f64 v[10:11], -v[34:35], v[10:11], v[6:7]
	ds_read2_b64 v[6:9], v1 offset1:1
	s_add_i32 s16, s13, 0xffffff78
	s_waitcnt lgkmcnt(1)
	v_fma_f64 v[4:5], -v[36:37], v[4:5], v[10:11]
	v_mov_b32_e32 v1, s16
	v_fma_f64 v[16:17], -v[40:41], v[2:3], v[4:5]
	s_add_i32 s16, s13, 0xffffff68
	ds_read2_b64 v[2:5], v1 offset1:1
	v_mov_b32_e32 v1, s16
	ds_read2_b64 v[10:13], v1 offset1:1
	s_waitcnt lgkmcnt(2)
	v_fma_f64 v[8:9], -v[44:45], v[8:9], v[16:17]
	v_fma_f64 v[6:7], -v[46:47], v[6:7], v[8:9]
	s_waitcnt lgkmcnt(1)
	v_fma_f64 v[4:5], -v[50:51], v[4:5], v[6:7]
	s_add_i32 s16, s13, 0xffffff58
	v_fma_f64 v[2:3], -v[54:55], v[2:3], v[4:5]
	v_mov_b32_e32 v1, s16
	s_waitcnt lgkmcnt(0)
	v_fma_f64 v[6:7], -v[56:57], v[12:13], v[2:3]
	ds_read2_b64 v[2:5], v1 offset1:1
	s_add_i32 s16, s13, 0xffffff48
	v_mov_b32_e32 v1, s16
	v_fma_f64 v[10:11], -v[52:53], v[10:11], v[6:7]
	ds_read2_b64 v[6:9], v1 offset1:1
	s_addk_i32 s13, 0xff38
	s_waitcnt lgkmcnt(1)
	v_fma_f64 v[4:5], -v[48:49], v[4:5], v[10:11]
	v_mov_b32_e32 v1, s13
	v_fma_f64 v[16:17], -v[42:43], v[2:3], v[4:5]
	s_addk_i32 s9, 0xe428
	ds_read2_b64 v[2:5], v1 offset1:1
	v_mov_b32_e32 v1, s9
	ds_read2_b64 v[10:13], v1 offset1:1
	s_waitcnt lgkmcnt(2)
	v_fma_f64 v[8:9], -v[38:39], v[8:9], v[16:17]
	v_fma_f64 v[6:7], -v[32:33], v[6:7], v[8:9]
	s_waitcnt lgkmcnt(1)
	v_fma_f64 v[4:5], -v[26:27], v[4:5], v[6:7]
	v_fma_f64 v[2:3], -v[14:15], v[2:3], v[4:5]
	s_waitcnt lgkmcnt(0)
	v_fma_f64 v[2:3], -v[66:67], v[12:13], v[2:3]
	v_or_b32_e32 v1, s12, v0
	v_mul_f64 v[2:3], v[10:11], v[2:3]
	v_lshlrev_b32_e32 v1, 3, v1
	s_sub_i32 s8, s8, 28
	ds_write_b64 v1, v[2:3] offset:8192
.LBB104_26:
	s_cmp_lt_i32 s8, 0
	s_cbranch_scc1 .LBB104_39
; %bb.27:
	s_bitcmp1_b32 s8, 0
	s_cselect_b64 s[12:13], -1, 0
	s_and_b64 vcc, exec, s[12:13]
	s_mov_b32 s9, s8
	s_cbranch_vccnz .LBB104_32
; %bb.28:
	v_lshlrev_b32_e32 v4, 3, v0
	v_lshl_or_b32 v1, s8, 8, v4
	ds_read_b64 v[2:3], v1 offset:8192
	s_cmp_le_i32 s31, s8
	s_cbranch_scc1 .LBB104_31
; %bb.29:
	s_lshl_b32 s9, s8, 8
	s_lshl_b32 s12, s30, 3
	s_add_i32 s9, s9, s12
	v_lshl_or_b32 v4, s30, 8, v4
	s_add_i32 s9, s9, -8
	v_add_u32_e32 v4, 0x1f00, v4
	s_mov_b32 s12, s31
.LBB104_30:                             ; =>This Inner Loop Header: Depth=1
	v_mov_b32_e32 v5, s9
	ds_read_b64 v[6:7], v4
	ds_read_b64 v[8:9], v5
	s_add_i32 s12, s12, -1
	s_add_i32 s9, s9, -8
	v_add_u32_e32 v4, 0xffffff00, v4
	s_cmp_gt_i32 s12, s8
	s_waitcnt lgkmcnt(0)
	v_fma_f64 v[2:3], -v[6:7], v[8:9], v[2:3]
	s_cbranch_scc1 .LBB104_30
.LBB104_31:
	s_mul_i32 s9, s8, 0x108
	v_mov_b32_e32 v4, s9
	ds_read_b64 v[4:5], v4
	v_add_u32_e32 v1, 0x2000, v1
	s_add_i32 s9, s8, -1
	s_waitcnt lgkmcnt(0)
	v_mul_f64 v[2:3], v[4:5], v[2:3]
	ds_write_b64 v1, v[2:3]
.LBB104_32:
	s_cmp_eq_u32 s8, 0
	s_cbranch_scc1 .LBB104_39
; %bb.33:
	s_lshl_b32 s8, s9, 8
	s_lshl_b32 s12, s30, 3
	v_lshlrev_b32_e32 v1, 3, v0
	s_add_i32 s12, s8, s12
	v_lshl_or_b32 v2, s30, 8, v1
	s_add_i32 s8, s12, -8
	v_add_u32_e32 v6, 0x1f00, v2
	s_addk_i32 s12, 0xfef8
	s_branch .LBB104_35
.LBB104_34:                             ;   in Loop: Header=BB104_35 Depth=1
	s_addk_i32 s13, 0xfef8
	v_mov_b32_e32 v5, s13
	ds_read_b64 v[8:9], v5
	s_add_i32 s13, s9, -2
	s_addk_i32 s8, 0xfe00
	s_addk_i32 s12, 0xfe00
	v_add_u32_e32 v4, 0x2000, v7
	s_cmp_lt_i32 s9, 2
	s_waitcnt lgkmcnt(0)
	v_mul_f64 v[2:3], v[8:9], v[2:3]
	s_mov_b32 s9, s13
	ds_write_b64 v4, v[2:3]
	s_cbranch_scc1 .LBB104_39
.LBB104_35:                             ; =>This Loop Header: Depth=1
                                        ;     Child Loop BB104_36 Depth 2
                                        ;     Child Loop BB104_38 Depth 2
	v_lshl_or_b32 v2, s9, 8, v1
	ds_read_b64 v[4:5], v2 offset:8192
	s_cmp_le_i32 s31, s9
	v_mov_b32_e32 v3, v6
	s_mov_b32 s13, s8
	s_mov_b32 s16, s31
	s_cbranch_scc1 .LBB104_37
.LBB104_36:                             ;   Parent Loop BB104_35 Depth=1
                                        ; =>  This Inner Loop Header: Depth=2
	v_mov_b32_e32 v7, s13
	ds_read_b64 v[8:9], v3
	ds_read_b64 v[10:11], v7
	s_add_i32 s16, s16, -1
	s_add_i32 s13, s13, -8
	v_add_u32_e32 v3, 0xffffff00, v3
	s_cmp_gt_i32 s16, s9
	s_waitcnt lgkmcnt(0)
	v_fma_f64 v[4:5], -v[8:9], v[10:11], v[4:5]
	s_cbranch_scc1 .LBB104_36
.LBB104_37:                             ;   in Loop: Header=BB104_35 Depth=1
	s_mul_i32 s13, s9, 0x108
	v_add_u32_e32 v8, 0x2000, v2
	v_mov_b32_e32 v2, s13
	s_lshl_b32 s16, s9, 8
	ds_read_b64 v[10:11], v2
	s_addk_i32 s16, 0xff00
	v_lshl_or_b32 v7, v0, 3, s16
	ds_read_b64 v[2:3], v7 offset:8192
	s_cmp_lt_i32 s31, s9
	s_waitcnt lgkmcnt(1)
	v_mul_f64 v[4:5], v[10:11], v[4:5]
	ds_write_b64 v8, v[4:5]
	v_mov_b32_e32 v4, v6
	s_mov_b32 s16, s12
	s_mov_b32 s17, s30
	s_cbranch_scc1 .LBB104_34
.LBB104_38:                             ;   Parent Loop BB104_35 Depth=1
                                        ; =>  This Inner Loop Header: Depth=2
	v_mov_b32_e32 v5, s16
	ds_read_b64 v[8:9], v4
	ds_read_b64 v[10:11], v5
	s_add_i32 s17, s17, -1
	s_add_i32 s16, s16, -8
	v_add_u32_e32 v4, 0xffffff00, v4
	s_cmp_gt_i32 s17, s9
	s_waitcnt lgkmcnt(0)
	v_fma_f64 v[2:3], -v[8:9], v[10:11], v[2:3]
	s_cbranch_scc1 .LBB104_38
	s_branch .LBB104_34
.LBB104_39:
	s_mov_b64 s[8:9], 0
.LBB104_40:
	s_and_b64 vcc, exec, s[8:9]
	s_cbranch_vccz .LBB104_60
; %bb.41:
	s_cmp_gt_i32 s10, 31
	s_cselect_b64 s[8:9], -1, 0
	s_mov_b32 s12, 0
	s_and_b64 vcc, exec, s[8:9]
	s_cbranch_vccz .LBB104_43
; %bb.42:
	v_lshlrev_b32_e32 v1, 3, v0
	v_add_u32_e32 v78, 0x2000, v1
	v_add_u32_e32 v116, 0x2800, v1
	;; [unrolled: 1-line block ×4, first 2 shown]
	v_mov_b32_e32 v114, 0
	ds_read2_b64 v[66:69], v78 offset1:32
	ds_read2_b64 v[58:61], v78 offset0:64 offset1:96
	ds_read2_b64 v[54:57], v78 offset0:128 offset1:160
	ds_read2_b64 v[50:53], v78 offset0:192 offset1:224
	ds_read2_b64 v[46:49], v116 offset1:32
	ds_read2_b64 v[42:45], v116 offset0:64 offset1:96
	ds_read2_b64 v[38:41], v116 offset0:128 offset1:160
	ds_read2_b64 v[34:37], v116 offset0:192 offset1:224
	;; [unrolled: 4-line block ×3, first 2 shown]
	ds_read2_b64 v[14:17], v1 offset1:32
	ds_read2_b64 v[10:13], v1 offset0:64 offset1:96
	ds_read_b128 v[70:73], v114
	ds_read2_b64 v[6:9], v1 offset0:128 offset1:160
	ds_read2_b64 v[2:5], v1 offset0:192 offset1:224
	;; [unrolled: 1-line block ×3, first 2 shown]
	ds_read_b128 v[62:65], v114 offset:16
	s_waitcnt lgkmcnt(4)
	v_mul_f64 v[90:91], v[70:71], v[66:67]
	v_fma_f64 v[70:71], -v[90:91], v[72:73], v[68:69]
	ds_read2_b64 v[66:69], v114 offset0:35 offset1:36
	s_waitcnt lgkmcnt(2)
	v_mul_f64 v[92:93], v[74:75], v[70:71]
	ds_read_b128 v[70:73], v114 offset:528
	s_waitcnt lgkmcnt(2)
	v_fma_f64 v[58:59], -v[90:91], v[62:63], v[58:59]
	v_fma_f64 v[58:59], -v[92:93], v[76:77], v[58:59]
	ds_read2_b64 v[74:77], v114 offset0:61 offset1:62
	v_fma_f64 v[62:63], -v[90:91], v[64:65], v[60:61]
	s_waitcnt lgkmcnt(1)
	v_mul_f64 v[94:95], v[70:71], v[58:59]
	ds_read2_b64 v[58:61], v114 offset0:99 offset1:100
	v_fma_f64 v[62:63], -v[92:93], v[66:67], v[62:63]
	ds_write2_b64 v78, v[90:91], v[92:93] offset1:32
	v_fma_f64 v[66:67], -v[94:95], v[72:73], v[62:63]
	ds_read2_b64 v[62:65], v114 offset0:101 offset1:102
	ds_read_b128 v[70:73], v114 offset:32
	s_waitcnt lgkmcnt(3)
	v_mul_f64 v[96:97], v[58:59], v[66:67]
	ds_write2_b64 v78, v[94:95], v[96:97] offset0:64 offset1:96
	ds_read_b128 v[80:83], v114 offset:48
	ds_read_b128 v[84:87], v114 offset:544
	s_movk_i32 s12, 0x1f8
	s_waitcnt lgkmcnt(3)
	v_fma_f64 v[54:55], -v[90:91], v[70:71], v[54:55]
	v_fma_f64 v[54:55], -v[92:93], v[68:69], v[54:55]
	ds_read_b128 v[66:69], v114 offset:560
	ds_read_b128 v[98:101], v114 offset:1056
	s_waitcnt lgkmcnt(2)
	v_fma_f64 v[54:55], -v[94:95], v[84:85], v[54:55]
	v_fma_f64 v[54:55], -v[96:97], v[60:61], v[54:55]
	ds_read2_b64 v[58:61], v114 offset0:37 offset1:38
	ds_read_b128 v[102:105], v114 offset:1072
	v_fma_f64 v[50:51], -v[90:91], v[80:81], v[50:51]
	s_waitcnt lgkmcnt(2)
	v_mul_f64 v[98:99], v[98:99], v[54:55]
	v_fma_f64 v[54:55], -v[90:91], v[72:73], v[56:57]
	s_waitcnt lgkmcnt(1)
	v_fma_f64 v[58:59], -v[92:93], v[58:59], v[54:55]
	ds_read2_b64 v[54:57], v114 offset0:165 offset1:166
	v_fma_f64 v[58:59], -v[94:95], v[86:87], v[58:59]
	v_fma_f64 v[58:59], -v[96:97], v[62:63], v[58:59]
	v_fma_f64 v[58:59], -v[98:99], v[100:101], v[58:59]
	v_fma_f64 v[50:51], -v[92:93], v[60:61], v[50:51]
	s_waitcnt lgkmcnt(0)
	v_mul_f64 v[100:101], v[54:55], v[58:59]
	ds_read_b128 v[58:61], v114 offset:1584
	ds_read2_b64 v[70:73], v114 offset0:39 offset1:40
	v_fma_f64 v[50:51], -v[94:95], v[66:67], v[50:51]
	v_fma_f64 v[50:51], -v[96:97], v[64:65], v[50:51]
	ds_read2_b64 v[62:65], v114 offset0:103 offset1:104
	v_fma_f64 v[50:51], -v[98:99], v[102:103], v[50:51]
	v_fma_f64 v[50:51], -v[100:101], v[56:57], v[50:51]
	ds_read2_b64 v[84:87], v114 offset0:167 offset1:168
	ds_read2_b64 v[54:57], v114 offset0:189 offset1:190
	s_waitcnt lgkmcnt(4)
	v_mul_f64 v[102:103], v[58:59], v[50:51]
	v_fma_f64 v[50:51], -v[90:91], v[82:83], v[52:53]
	s_waitcnt lgkmcnt(3)
	v_fma_f64 v[50:51], -v[92:93], v[70:71], v[50:51]
	v_fma_f64 v[58:59], -v[94:95], v[68:69], v[50:51]
	ds_read2_b64 v[50:53], v114 offset0:105 offset1:106
	ds_read2_b64 v[66:69], v114 offset0:231 offset1:232
	s_waitcnt lgkmcnt(4)
	v_fma_f64 v[58:59], -v[96:97], v[62:63], v[58:59]
	v_fma_f64 v[58:59], -v[98:99], v[104:105], v[58:59]
	s_waitcnt lgkmcnt(3)
	v_fma_f64 v[58:59], -v[100:101], v[84:85], v[58:59]
	ds_write2_b64 v78, v[98:99], v[100:101] offset0:128 offset1:160
	v_fma_f64 v[62:63], -v[102:103], v[60:61], v[58:59]
	ds_read2_b64 v[58:61], v114 offset0:233 offset1:234
	ds_read_b128 v[80:83], v114 offset:64
	s_waitcnt lgkmcnt(3)
	v_mul_f64 v[104:105], v[66:67], v[62:63]
	ds_write2_b64 v78, v[102:103], v[104:105] offset0:192 offset1:224
	ds_read_b128 v[110:113], v114 offset:80
	ds_read_b128 v[106:109], v114 offset:576
	s_waitcnt lgkmcnt(3)
	v_fma_f64 v[46:47], -v[90:91], v[80:81], v[46:47]
	v_fma_f64 v[46:47], -v[92:93], v[72:73], v[46:47]
	ds_read_b128 v[70:73], v114 offset:592
	ds_read_b128 v[78:81], v114 offset:1088
	s_waitcnt lgkmcnt(2)
	v_fma_f64 v[46:47], -v[94:95], v[106:107], v[46:47]
	v_fma_f64 v[46:47], -v[96:97], v[64:65], v[46:47]
	ds_read_b128 v[62:65], v114 offset:1104
	ds_read_b128 v[118:121], v114 offset:1600
	v_fma_f64 v[42:43], -v[90:91], v[110:111], v[42:43]
	s_waitcnt lgkmcnt(2)
	v_fma_f64 v[46:47], -v[98:99], v[78:79], v[46:47]
	v_fma_f64 v[46:47], -v[100:101], v[86:87], v[46:47]
	ds_read_b128 v[84:87], v114 offset:1616
	ds_read_b128 v[122:125], v114 offset:2112
	s_waitcnt lgkmcnt(2)
	v_fma_f64 v[46:47], -v[102:103], v[118:119], v[46:47]
	v_fma_f64 v[46:47], -v[104:105], v[68:69], v[46:47]
	ds_read2_b64 v[66:69], v114 offset0:41 offset1:42
	ds_read_b128 v[126:129], v114 offset:2128
	ds_read2_b64 v[134:137], v114 offset0:171 offset1:172
	s_waitcnt lgkmcnt(3)
	v_mul_f64 v[106:107], v[122:123], v[46:47]
	v_fma_f64 v[46:47], -v[90:91], v[82:83], v[48:49]
	s_waitcnt lgkmcnt(2)
	v_fma_f64 v[66:67], -v[92:93], v[66:67], v[46:47]
	ds_read2_b64 v[46:49], v114 offset0:169 offset1:170
	v_fma_f64 v[66:67], -v[94:95], v[108:109], v[66:67]
	v_fma_f64 v[50:51], -v[96:97], v[50:51], v[66:67]
	;; [unrolled: 1-line block ×3, first 2 shown]
	ds_read2_b64 v[130:133], v114 offset0:43 offset1:44
	s_waitcnt lgkmcnt(1)
	v_fma_f64 v[46:47], -v[100:101], v[46:47], v[50:51]
	v_mov_b32_e32 v50, 0x948
	ds_read2_b64 v[78:81], v50 offset1:1
	v_fma_f64 v[42:43], -v[92:93], v[68:69], v[42:43]
	v_fma_f64 v[46:47], -v[102:103], v[120:121], v[46:47]
	v_fma_f64 v[42:43], -v[94:95], v[70:71], v[42:43]
	v_fma_f64 v[46:47], -v[104:105], v[58:59], v[46:47]
	v_fma_f64 v[42:43], -v[96:97], v[52:53], v[42:43]
	v_fma_f64 v[46:47], -v[106:107], v[124:125], v[46:47]
	v_fma_f64 v[42:43], -v[98:99], v[62:63], v[42:43]
	s_waitcnt lgkmcnt(0)
	v_mul_f64 v[108:109], v[78:79], v[46:47]
	v_fma_f64 v[42:43], -v[100:101], v[48:49], v[42:43]
	ds_read_b128 v[46:49], v114 offset:2640
	v_fma_f64 v[42:43], -v[102:103], v[84:85], v[42:43]
	v_fma_f64 v[42:43], -v[104:105], v[60:61], v[42:43]
	v_fma_f64 v[42:43], -v[106:107], v[126:127], v[42:43]
	ds_read2_b64 v[58:61], v114 offset0:107 offset1:108
	v_fma_f64 v[42:43], -v[108:109], v[80:81], v[42:43]
	ds_read_b128 v[78:81], v114 offset:2656
	s_waitcnt lgkmcnt(2)
	v_mul_f64 v[110:111], v[46:47], v[42:43]
	v_fma_f64 v[42:43], -v[90:91], v[112:113], v[44:45]
	v_fma_f64 v[42:43], -v[92:93], v[130:131], v[42:43]
	;; [unrolled: 1-line block ×3, first 2 shown]
	ds_read2_b64 v[70:73], v114 offset0:109 offset1:110
	s_waitcnt lgkmcnt(2)
	v_fma_f64 v[46:47], -v[96:97], v[58:59], v[42:43]
	ds_read2_b64 v[42:45], v114 offset0:235 offset1:236
	ds_read2_b64 v[82:85], v114 offset0:237 offset1:238
	v_fma_f64 v[46:47], -v[98:99], v[64:65], v[46:47]
	v_mov_b32_e32 v50, 0x958
	v_fma_f64 v[46:47], -v[100:101], v[134:135], v[46:47]
	ds_read2_b64 v[118:121], v50 offset1:1
	v_fma_f64 v[46:47], -v[102:103], v[86:87], v[46:47]
	s_waitcnt lgkmcnt(2)
	v_fma_f64 v[42:43], -v[104:105], v[42:43], v[46:47]
	v_mov_b32_e32 v46, 0xb58
	ds_read2_b64 v[122:125], v46 offset1:1
	v_fma_f64 v[42:43], -v[106:107], v[128:129], v[42:43]
	ds_write2_b64 v116, v[106:107], v[108:109] offset1:32
	s_waitcnt lgkmcnt(2)
	v_fma_f64 v[42:43], -v[108:109], v[118:119], v[42:43]
	v_mov_b32_e32 v46, 0x968
	v_fma_f64 v[42:43], -v[110:111], v[48:49], v[42:43]
	ds_read2_b64 v[86:89], v46 offset1:1
	ds_read_b128 v[126:129], v114 offset:96
	s_waitcnt lgkmcnt(3)
	v_mul_f64 v[112:113], v[122:123], v[42:43]
	ds_write2_b64 v116, v[110:111], v[112:113] offset0:64 offset1:96
	ds_read_b128 v[46:49], v114 offset:112
	ds_read_b128 v[138:141], v114 offset:608
	s_waitcnt lgkmcnt(3)
	v_fma_f64 v[38:39], -v[90:91], v[126:127], v[38:39]
	v_fma_f64 v[38:39], -v[92:93], v[132:133], v[38:39]
	ds_read_b128 v[50:53], v114 offset:624
	ds_read_b128 v[130:133], v114 offset:1120
	s_waitcnt lgkmcnt(2)
	v_fma_f64 v[38:39], -v[94:95], v[138:139], v[38:39]
	v_fma_f64 v[38:39], -v[96:97], v[60:61], v[38:39]
	ds_read_b128 v[58:61], v114 offset:1136
	ds_read_b128 v[142:145], v114 offset:1632
	v_fma_f64 v[34:35], -v[90:91], v[46:47], v[34:35]
	s_waitcnt lgkmcnt(2)
	v_fma_f64 v[38:39], -v[98:99], v[130:131], v[38:39]
	v_fma_f64 v[38:39], -v[100:101], v[136:137], v[38:39]
	ds_read_b128 v[134:137], v114 offset:2144
	ds_read_b128 v[66:69], v114 offset:1648
	s_waitcnt lgkmcnt(2)
	v_fma_f64 v[38:39], -v[102:103], v[142:143], v[38:39]
	v_fma_f64 v[38:39], -v[104:105], v[44:45], v[38:39]
	ds_read_b128 v[62:65], v114 offset:2160
	s_waitcnt lgkmcnt(2)
	v_fma_f64 v[38:39], -v[106:107], v[134:135], v[38:39]
	v_fma_f64 v[38:39], -v[108:109], v[120:121], v[38:39]
	ds_read_b128 v[118:121], v114 offset:3168
	v_fma_f64 v[38:39], -v[110:111], v[78:79], v[38:39]
	v_fma_f64 v[38:39], -v[112:113], v[124:125], v[38:39]
	ds_read2_b64 v[122:125], v114 offset0:45 offset1:46
	ds_read_b128 v[42:45], v114 offset:2800
	v_fma_f64 v[36:37], -v[90:91], v[48:49], v[36:37]
	s_waitcnt lgkmcnt(2)
	v_mul_f64 v[78:79], v[118:119], v[38:39]
	v_fma_f64 v[38:39], -v[90:91], v[128:129], v[40:41]
	s_waitcnt lgkmcnt(1)
	v_fma_f64 v[118:119], -v[92:93], v[122:123], v[38:39]
	ds_read2_b64 v[38:41], v114 offset0:173 offset1:174
	v_fma_f64 v[118:119], -v[94:95], v[140:141], v[118:119]
	v_fma_f64 v[70:71], -v[96:97], v[70:71], v[118:119]
	;; [unrolled: 1-line block ×3, first 2 shown]
	ds_read2_b64 v[126:129], v114 offset0:47 offset1:48
	s_waitcnt lgkmcnt(1)
	v_fma_f64 v[38:39], -v[100:101], v[38:39], v[70:71]
	v_fma_f64 v[38:39], -v[102:103], v[144:145], v[38:39]
	;; [unrolled: 1-line block ×3, first 2 shown]
	v_mov_b32_e32 v70, 0xb68
	v_fma_f64 v[38:39], -v[106:107], v[136:137], v[38:39]
	ds_read2_b64 v[134:137], v70 offset1:1
	v_mov_b32_e32 v70, 0xd68
	ds_read2_b64 v[130:133], v114 offset0:175 offset1:176
	ds_read2_b64 v[138:141], v70 offset1:1
	v_fma_f64 v[38:39], -v[108:109], v[86:87], v[38:39]
	v_fma_f64 v[34:35], -v[92:93], v[124:125], v[34:35]
	;; [unrolled: 1-line block ×4, first 2 shown]
	s_waitcnt lgkmcnt(2)
	v_fma_f64 v[38:39], -v[112:113], v[134:135], v[38:39]
	v_fma_f64 v[34:35], -v[96:97], v[72:73], v[34:35]
	;; [unrolled: 1-line block ×4, first 2 shown]
	s_waitcnt lgkmcnt(0)
	v_mul_f64 v[70:71], v[138:139], v[38:39]
	v_fma_f64 v[34:35], -v[100:101], v[40:41], v[34:35]
	ds_read_b128 v[80:83], v114 offset:2672
	ds_write2_b64 v116, v[78:79], v[70:71] offset0:128 offset1:160
	v_fma_f64 v[34:35], -v[102:103], v[66:67], v[34:35]
	v_fma_f64 v[34:35], -v[104:105], v[84:85], v[34:35]
	ds_read_b128 v[84:87], v114 offset:2688
	ds_read_b128 v[118:121], v114 offset:3184
	v_fma_f64 v[34:35], -v[106:107], v[62:63], v[34:35]
	v_fma_f64 v[34:35], -v[108:109], v[88:89], v[34:35]
	s_waitcnt lgkmcnt(3)
	v_fma_f64 v[34:35], -v[110:111], v[80:81], v[34:35]
	v_fma_f64 v[34:35], -v[112:113], v[136:137], v[34:35]
	s_waitcnt lgkmcnt(0)
	v_fma_f64 v[34:35], -v[78:79], v[118:119], v[34:35]
	ds_read_b128 v[122:125], v114 offset:3696
	ds_read_b128 v[134:137], v114 offset:3200
	v_fma_f64 v[34:35], -v[70:71], v[140:141], v[34:35]
	ds_read2_b64 v[138:141], v114 offset0:111 offset1:112
	ds_read2_b64 v[46:49], v114 offset0:113 offset1:114
	v_fma_f64 v[36:37], -v[92:93], v[126:127], v[36:37]
	ds_read_b128 v[38:41], v114 offset:3312
	v_fma_f64 v[36:37], -v[94:95], v[52:53], v[36:37]
	ds_read2_b64 v[50:53], v114 offset0:239 offset1:240
	s_waitcnt lgkmcnt(3)
	v_fma_f64 v[36:37], -v[96:97], v[138:139], v[36:37]
	v_fma_f64 v[36:37], -v[98:99], v[60:61], v[36:37]
	;; [unrolled: 1-line block ×4, first 2 shown]
	v_mov_b32_e32 v62, 0x978
	ds_read2_b64 v[58:61], v114 offset0:241 offset1:242
	ds_read2_b64 v[66:69], v62 offset1:1
	s_waitcnt lgkmcnt(2)
	v_fma_f64 v[36:37], -v[104:105], v[50:51], v[36:37]
	v_mov_b32_e32 v50, 0xb78
	v_fma_f64 v[36:37], -v[106:107], v[64:65], v[36:37]
	ds_read2_b64 v[62:65], v50 offset1:1
	s_waitcnt lgkmcnt(1)
	v_fma_f64 v[36:37], -v[108:109], v[66:67], v[36:37]
	v_fma_f64 v[36:37], -v[110:111], v[82:83], v[36:37]
	v_mov_b32_e32 v50, 0xd78
	ds_read2_b64 v[80:83], v50 offset1:1
	s_waitcnt lgkmcnt(1)
	v_fma_f64 v[36:37], -v[112:113], v[62:63], v[36:37]
	v_fma_f64 v[36:37], -v[78:79], v[120:121], v[36:37]
	ds_read_b128 v[118:121], v114 offset:128
	v_mov_b32_e32 v50, 0xf78
	ds_read2_b64 v[142:145], v50 offset1:1
	v_mul_f64 v[34:35], v[122:123], v[34:35]
	s_waitcnt lgkmcnt(2)
	v_fma_f64 v[36:37], -v[70:71], v[80:81], v[36:37]
	v_fma_f64 v[36:37], -v[34:35], v[124:125], v[36:37]
	s_waitcnt lgkmcnt(1)
	v_fma_f64 v[30:31], -v[90:91], v[118:119], v[30:31]
	s_waitcnt lgkmcnt(0)
	v_mul_f64 v[36:37], v[142:143], v[36:37]
	ds_write2_b64 v116, v[34:35], v[36:37] offset0:192 offset1:224
	ds_read_b128 v[122:125], v114 offset:144
	ds_read_b128 v[146:149], v114 offset:640
	v_fma_f64 v[30:31], -v[92:93], v[128:129], v[30:31]
	ds_read_b128 v[116:119], v114 offset:656
	ds_read_b128 v[126:129], v114 offset:1152
	v_fma_f64 v[32:33], -v[90:91], v[120:121], v[32:33]
	s_waitcnt lgkmcnt(3)
	v_fma_f64 v[26:27], -v[90:91], v[122:123], v[26:27]
	s_waitcnt lgkmcnt(2)
	v_fma_f64 v[30:31], -v[94:95], v[146:147], v[30:31]
	v_fma_f64 v[30:31], -v[96:97], v[140:141], v[30:31]
	ds_read_b128 v[138:141], v114 offset:1168
	ds_read_b128 v[150:153], v114 offset:1664
	s_waitcnt lgkmcnt(2)
	v_fma_f64 v[30:31], -v[98:99], v[126:127], v[30:31]
	v_fma_f64 v[30:31], -v[100:101], v[132:133], v[30:31]
	ds_read_b128 v[130:133], v114 offset:2176
	ds_read_b128 v[154:157], v114 offset:1680
	v_mov_b32_e32 v72, 0x15c8
	s_waitcnt lgkmcnt(2)
	v_fma_f64 v[30:31], -v[102:103], v[150:151], v[30:31]
	v_fma_f64 v[30:31], -v[104:105], v[52:53], v[30:31]
	s_waitcnt lgkmcnt(1)
	v_fma_f64 v[30:31], -v[106:107], v[130:131], v[30:31]
	v_fma_f64 v[30:31], -v[108:109], v[68:69], v[30:31]
	;; [unrolled: 1-line block ×3, first 2 shown]
	ds_read_b128 v[50:53], v114 offset:2192
	v_fma_f64 v[30:31], -v[112:113], v[64:65], v[30:31]
	ds_read_b128 v[62:65], v114 offset:3712
	v_fma_f64 v[30:31], -v[78:79], v[134:135], v[30:31]
	v_fma_f64 v[30:31], -v[70:71], v[82:83], v[30:31]
	ds_read_b128 v[66:69], v114 offset:3728
	ds_read_b128 v[80:83], v114 offset:4224
	s_waitcnt lgkmcnt(2)
	v_fma_f64 v[30:31], -v[34:35], v[62:63], v[30:31]
	v_fma_f64 v[30:31], -v[36:37], v[144:145], v[30:31]
	ds_read2_b64 v[142:145], v114 offset0:49 offset1:50
	ds_read_b128 v[158:161], v114 offset:4240
	ds_read2_b64 v[166:169], v114 offset0:177 offset1:178
	ds_read2_b64 v[162:165], v114 offset0:51 offset1:52
	s_waitcnt lgkmcnt(4)
	v_mul_f64 v[30:31], v[80:81], v[30:31]
	s_waitcnt lgkmcnt(3)
	v_fma_f64 v[32:33], -v[92:93], v[142:143], v[32:33]
	v_fma_f64 v[32:33], -v[94:95], v[148:149], v[32:33]
	;; [unrolled: 1-line block ×3, first 2 shown]
	v_mov_b32_e32 v46, 0x988
	ds_read2_b64 v[146:149], v46 offset1:1
	v_fma_f64 v[32:33], -v[98:99], v[128:129], v[32:33]
	s_waitcnt lgkmcnt(2)
	v_fma_f64 v[32:33], -v[100:101], v[166:167], v[32:33]
	v_fma_f64 v[32:33], -v[102:103], v[152:153], v[32:33]
	v_fma_f64 v[32:33], -v[104:105], v[58:59], v[32:33]
	v_mov_b32_e32 v46, 0xb88
	ds_read2_b64 v[126:129], v114 offset0:179 offset1:180
	v_fma_f64 v[32:33], -v[106:107], v[132:133], v[32:33]
	ds_read2_b64 v[130:133], v46 offset1:1
	s_waitcnt lgkmcnt(2)
	v_fma_f64 v[32:33], -v[108:109], v[146:147], v[32:33]
	v_mov_b32_e32 v46, 0xd88
	v_fma_f64 v[32:33], -v[110:111], v[86:87], v[32:33]
	ds_read2_b64 v[84:87], v46 offset1:1
	s_waitcnt lgkmcnt(1)
	v_fma_f64 v[32:33], -v[112:113], v[130:131], v[32:33]
	v_mov_b32_e32 v46, 0xf88
	;; [unrolled: 5-line block ×3, first 2 shown]
	v_fma_f64 v[32:33], -v[34:35], v[64:65], v[32:33]
	ds_read2_b64 v[62:65], v46 offset1:1
	v_fma_f64 v[26:27], -v[92:93], v[144:145], v[26:27]
	v_fma_f64 v[26:27], -v[94:95], v[116:117], v[26:27]
	;; [unrolled: 1-line block ×3, first 2 shown]
	s_waitcnt lgkmcnt(1)
	v_fma_f64 v[32:33], -v[36:37], v[134:135], v[32:33]
	v_mov_b32_e32 v46, 0x998
	v_fma_f64 v[26:27], -v[98:99], v[138:139], v[26:27]
	v_fma_f64 v[32:33], -v[30:31], v[82:83], v[32:33]
	ds_read2_b64 v[80:83], v46 offset1:1
	v_fma_f64 v[26:27], -v[100:101], v[168:169], v[26:27]
	ds_read_b128 v[46:49], v114 offset:2704
	s_waitcnt lgkmcnt(2)
	v_mul_f64 v[32:33], v[62:63], v[32:33]
	v_fma_f64 v[26:27], -v[102:103], v[154:155], v[26:27]
	ds_write2_b64 v115, v[30:31], v[32:33] offset1:32
	v_fma_f64 v[26:27], -v[104:105], v[60:61], v[26:27]
	v_fma_f64 v[26:27], -v[106:107], v[50:51], v[26:27]
	ds_read_b128 v[58:61], v114 offset:3216
	ds_read_b128 v[120:123], v114 offset:2720
	v_fma_f64 v[26:27], -v[108:109], v[148:149], v[26:27]
	s_waitcnt lgkmcnt(3)
	v_fma_f64 v[26:27], -v[110:111], v[46:47], v[26:27]
	v_fma_f64 v[26:27], -v[112:113], v[132:133], v[26:27]
	s_waitcnt lgkmcnt(1)
	v_fma_f64 v[26:27], -v[78:79], v[58:59], v[26:27]
	v_fma_f64 v[26:27], -v[70:71], v[86:87], v[26:27]
	ds_read_b128 v[84:87], v114 offset:4752
	v_fma_f64 v[26:27], -v[34:35], v[66:67], v[26:27]
	v_fma_f64 v[26:27], -v[36:37], v[136:137], v[26:27]
	ds_read_b128 v[130:133], v114 offset:3232
	ds_read2_b64 v[134:137], v114 offset0:115 offset1:116
	v_fma_f64 v[26:27], -v[30:31], v[158:159], v[26:27]
	v_fma_f64 v[26:27], -v[32:33], v[64:65], v[26:27]
	ds_read_b128 v[62:65], v114 offset:4768
	s_waitcnt lgkmcnt(3)
	v_mul_f64 v[46:47], v[84:85], v[26:27]
	v_fma_f64 v[26:27], -v[90:91], v[124:125], v[28:29]
	v_fma_f64 v[26:27], -v[92:93], v[162:163], v[26:27]
	;; [unrolled: 1-line block ×3, first 2 shown]
	s_waitcnt lgkmcnt(1)
	v_fma_f64 v[50:51], -v[96:97], v[134:135], v[26:27]
	ds_read2_b64 v[26:29], v114 offset0:243 offset1:244
	v_fma_f64 v[50:51], -v[98:99], v[140:141], v[50:51]
	v_fma_f64 v[50:51], -v[100:101], v[126:127], v[50:51]
	ds_read2_b64 v[124:127], v114 offset0:245 offset1:246
	v_fma_f64 v[50:51], -v[102:103], v[156:157], v[50:51]
	s_waitcnt lgkmcnt(1)
	v_fma_f64 v[26:27], -v[104:105], v[26:27], v[50:51]
	v_mov_b32_e32 v50, 0xb98
	v_fma_f64 v[26:27], -v[106:107], v[52:53], v[26:27]
	ds_read2_b64 v[50:53], v50 offset1:1
	v_fma_f64 v[26:27], -v[108:109], v[80:81], v[26:27]
	v_fma_f64 v[26:27], -v[110:111], v[48:49], v[26:27]
	v_mov_b32_e32 v48, 0xd98
	ds_read2_b64 v[138:141], v48 offset1:1
	v_mov_b32_e32 v48, 0xf98
	s_waitcnt lgkmcnt(1)
	v_fma_f64 v[26:27], -v[112:113], v[50:51], v[26:27]
	ds_read2_b64 v[48:51], v48 offset1:1
	v_fma_f64 v[26:27], -v[78:79], v[60:61], v[26:27]
	v_mov_b32_e32 v58, 0x1198
	ds_read2_b64 v[58:61], v58 offset1:1
	s_waitcnt lgkmcnt(2)
	v_fma_f64 v[26:27], -v[70:71], v[138:139], v[26:27]
	v_fma_f64 v[26:27], -v[34:35], v[68:69], v[26:27]
	s_waitcnt lgkmcnt(1)
	v_fma_f64 v[26:27], -v[36:37], v[48:49], v[26:27]
	v_mov_b32_e32 v48, 0x1398
	ds_read2_b64 v[116:119], v114 offset0:117 offset1:118
	ds_read2_b64 v[66:69], v48 offset1:1
	v_fma_f64 v[26:27], -v[30:31], v[160:161], v[26:27]
	s_waitcnt lgkmcnt(2)
	v_fma_f64 v[26:27], -v[32:33], v[58:59], v[26:27]
	v_fma_f64 v[26:27], -v[46:47], v[86:87], v[26:27]
	v_mov_b32_e32 v48, 0x9a8
	ds_read2_b64 v[84:87], v48 offset1:1
	ds_read_b128 v[142:145], v114 offset:160
	s_waitcnt lgkmcnt(2)
	v_mul_f64 v[48:49], v[66:67], v[26:27]
	ds_write2_b64 v115, v[46:47], v[48:49] offset0:64 offset1:96
	ds_read_b128 v[146:149], v114 offset:176
	ds_read_b128 v[150:153], v114 offset:672
	;; [unrolled: 1-line block ×4, first 2 shown]
	s_waitcnt lgkmcnt(5)
	v_fma_f64 v[22:23], -v[90:91], v[142:143], v[22:23]
	v_fma_f64 v[22:23], -v[92:93], v[164:165], v[22:23]
	s_waitcnt lgkmcnt(3)
	v_fma_f64 v[18:19], -v[90:91], v[146:147], v[18:19]
	s_waitcnt lgkmcnt(2)
	v_fma_f64 v[22:23], -v[94:95], v[150:151], v[22:23]
	v_fma_f64 v[22:23], -v[96:97], v[136:137], v[22:23]
	ds_read_b128 v[134:137], v114 offset:1200
	ds_read_b128 v[162:165], v114 offset:1696
	s_waitcnt lgkmcnt(2)
	v_fma_f64 v[22:23], -v[98:99], v[158:159], v[22:23]
	ds_read_b128 v[166:169], v114 offset:2208
	ds_read_b128 v[170:173], v114 offset:1712
	v_fma_f64 v[22:23], -v[100:101], v[128:129], v[22:23]
	ds_read_b128 v[174:177], v114 offset:2224
	s_waitcnt lgkmcnt(3)
	v_fma_f64 v[22:23], -v[102:103], v[162:163], v[22:23]
	v_fma_f64 v[22:23], -v[104:105], v[28:29], v[22:23]
	s_waitcnt lgkmcnt(2)
	v_fma_f64 v[22:23], -v[106:107], v[166:167], v[22:23]
	v_fma_f64 v[22:23], -v[108:109], v[82:83], v[22:23]
	ds_read_b128 v[80:83], v114 offset:3744
	v_fma_f64 v[22:23], -v[110:111], v[120:121], v[22:23]
	v_fma_f64 v[22:23], -v[112:113], v[52:53], v[22:23]
	;; [unrolled: 1-line block ×4, first 2 shown]
	ds_read_b128 v[128:131], v114 offset:4256
	ds_read_b128 v[138:141], v114 offset:3760
	s_waitcnt lgkmcnt(2)
	v_fma_f64 v[22:23], -v[34:35], v[80:81], v[22:23]
	v_fma_f64 v[22:23], -v[36:37], v[50:51], v[22:23]
	ds_read_b128 v[178:181], v114 offset:4272
	ds_read_b128 v[50:53], v114 offset:5280
	s_waitcnt lgkmcnt(3)
	v_fma_f64 v[22:23], -v[30:31], v[128:129], v[22:23]
	v_fma_f64 v[22:23], -v[32:33], v[60:61], v[22:23]
	ds_read2_b64 v[58:61], v114 offset0:53 offset1:54
	ds_read_b128 v[26:29], v114 offset:4848
	v_fma_f64 v[22:23], -v[46:47], v[62:63], v[22:23]
	v_fma_f64 v[22:23], -v[48:49], v[68:69], v[22:23]
	s_waitcnt lgkmcnt(2)
	v_mul_f64 v[50:51], v[50:51], v[22:23]
	v_fma_f64 v[22:23], -v[90:91], v[144:145], v[24:25]
	s_waitcnt lgkmcnt(1)
	v_fma_f64 v[58:59], -v[92:93], v[58:59], v[22:23]
	ds_read2_b64 v[22:25], v114 offset0:181 offset1:182
	v_fma_f64 v[58:59], -v[94:95], v[152:153], v[58:59]
	v_fma_f64 v[58:59], -v[96:97], v[116:117], v[58:59]
	v_fma_f64 v[58:59], -v[98:99], v[160:161], v[58:59]
	ds_read2_b64 v[66:69], v114 offset0:55 offset1:56
	s_waitcnt lgkmcnt(1)
	v_fma_f64 v[22:23], -v[100:101], v[22:23], v[58:59]
	v_fma_f64 v[22:23], -v[102:103], v[164:165], v[22:23]
	;; [unrolled: 1-line block ×3, first 2 shown]
	v_mov_b32_e32 v58, 0xba8
	ds_read2_b64 v[150:153], v58 offset1:1
	v_fma_f64 v[22:23], -v[106:107], v[168:169], v[22:23]
	v_fma_f64 v[22:23], -v[108:109], v[84:85], v[22:23]
	v_mov_b32_e32 v58, 0xda8
	ds_read2_b64 v[142:145], v114 offset0:183 offset1:184
	v_fma_f64 v[22:23], -v[110:111], v[122:123], v[22:23]
	ds_read2_b64 v[120:123], v58 offset1:1
	v_mov_b32_e32 v58, 0xfa8
	ds_read2_b64 v[158:161], v58 offset1:1
	s_waitcnt lgkmcnt(3)
	v_fma_f64 v[22:23], -v[112:113], v[150:151], v[22:23]
	v_fma_f64 v[22:23], -v[78:79], v[132:133], v[22:23]
	s_waitcnt lgkmcnt(1)
	v_fma_f64 v[22:23], -v[70:71], v[120:121], v[22:23]
	v_mov_b32_e32 v58, 0x11a8
	v_fma_f64 v[22:23], -v[34:35], v[82:83], v[22:23]
	ds_read2_b64 v[80:83], v58 offset1:1
	s_waitcnt lgkmcnt(1)
	v_fma_f64 v[22:23], -v[36:37], v[158:159], v[22:23]
	v_mov_b32_e32 v58, 0x13a8
	v_fma_f64 v[22:23], -v[30:31], v[130:131], v[22:23]
	ds_read2_b64 v[128:131], v58 offset1:1
	v_mov_b32_e32 v58, 0x15a8
	v_fma_f64 v[18:19], -v[92:93], v[60:61], v[18:19]
	ds_read2_b64 v[162:165], v58 offset1:1
	v_fma_f64 v[18:19], -v[94:95], v[154:155], v[18:19]
	s_waitcnt lgkmcnt(2)
	v_fma_f64 v[22:23], -v[32:33], v[80:81], v[22:23]
	v_fma_f64 v[18:19], -v[96:97], v[118:119], v[18:19]
	;; [unrolled: 1-line block ×4, first 2 shown]
	s_waitcnt lgkmcnt(1)
	v_fma_f64 v[22:23], -v[48:49], v[128:129], v[22:23]
	v_fma_f64 v[18:19], -v[100:101], v[24:25], v[18:19]
	;; [unrolled: 1-line block ×4, first 2 shown]
	ds_read_b128 v[58:61], v114 offset:2736
	s_waitcnt lgkmcnt(1)
	v_mul_f64 v[52:53], v[162:163], v[22:23]
	v_fma_f64 v[18:19], -v[104:105], v[126:127], v[18:19]
	ds_write2_b64 v115, v[50:51], v[52:53] offset0:128 offset1:160
	v_fma_f64 v[18:19], -v[106:107], v[174:175], v[18:19]
	v_fma_f64 v[18:19], -v[108:109], v[86:87], v[18:19]
	ds_read_b128 v[62:65], v114 offset:3248
	ds_read_b128 v[84:87], v114 offset:2752
	s_waitcnt lgkmcnt(3)
	v_fma_f64 v[18:19], -v[110:111], v[58:59], v[18:19]
	v_fma_f64 v[18:19], -v[112:113], v[152:153], v[18:19]
	ds_read_b128 v[116:119], v114 offset:3264
	s_waitcnt lgkmcnt(2)
	v_fma_f64 v[18:19], -v[78:79], v[62:63], v[18:19]
	v_fma_f64 v[18:19], -v[70:71], v[122:123], v[18:19]
	ds_read_b128 v[120:123], v114 offset:4784
	v_fma_f64 v[18:19], -v[34:35], v[138:139], v[18:19]
	v_fma_f64 v[18:19], -v[36:37], v[160:161], v[18:19]
	;; [unrolled: 1-line block ×4, first 2 shown]
	s_waitcnt lgkmcnt(0)
	v_fma_f64 v[18:19], -v[46:47], v[120:121], v[18:19]
	ds_read_b128 v[80:83], v114 offset:4800
	ds_read_b128 v[124:127], v114 offset:5296
	v_fma_f64 v[18:19], -v[48:49], v[130:131], v[18:19]
	ds_read_b128 v[128:131], v114 offset:5808
	ds_read_b128 v[132:135], v114 offset:5312
	ds_read2_b64 v[150:153], v114 offset0:119 offset1:120
	v_fma_f64 v[20:21], -v[90:91], v[148:149], v[20:21]
	ds_read2_b64 v[146:149], v114 offset0:121 offset1:122
	v_fma_f64 v[20:21], -v[92:93], v[66:67], v[20:21]
	v_fma_f64 v[20:21], -v[94:95], v[156:157], v[20:21]
	s_waitcnt lgkmcnt(1)
	v_fma_f64 v[20:21], -v[96:97], v[150:151], v[20:21]
	ds_read_b128 v[22:25], v114 offset:5360
	v_fma_f64 v[20:21], -v[98:99], v[136:137], v[20:21]
	ds_read2_b64 v[136:139], v114 offset0:247 offset1:248
	v_mov_b32_e32 v58, 0x9b8
	ds_read2_b64 v[154:157], v114 offset0:249 offset1:250
	ds_read2_b64 v[158:161], v58 offset1:1
	v_fma_f64 v[20:21], -v[100:101], v[142:143], v[20:21]
	v_fma_f64 v[20:21], -v[102:103], v[172:173], v[20:21]
	;; [unrolled: 1-line block ×3, first 2 shown]
	s_waitcnt lgkmcnt(2)
	v_fma_f64 v[20:21], -v[104:105], v[136:137], v[20:21]
	v_mov_b32_e32 v58, 0xbb8
	v_fma_f64 v[18:19], -v[52:53], v[164:165], v[18:19]
	v_fma_f64 v[20:21], -v[106:107], v[176:177], v[20:21]
	ds_read2_b64 v[162:165], v58 offset1:1
	s_waitcnt lgkmcnt(1)
	v_fma_f64 v[20:21], -v[108:109], v[158:159], v[20:21]
	v_mov_b32_e32 v58, 0xdb8
	v_fma_f64 v[20:21], -v[110:111], v[60:61], v[20:21]
	ds_read2_b64 v[58:61], v58 offset1:1
	s_waitcnt lgkmcnt(1)
	v_fma_f64 v[20:21], -v[112:113], v[162:163], v[20:21]
	v_mov_b32_e32 v62, 0xfb8
	v_fma_f64 v[20:21], -v[78:79], v[64:65], v[20:21]
	ds_read2_b64 v[62:65], v62 offset1:1
	s_waitcnt lgkmcnt(1)
	v_fma_f64 v[20:21], -v[70:71], v[58:59], v[20:21]
	v_mov_b32_e32 v58, 0x11b8
	v_fma_f64 v[20:21], -v[34:35], v[140:141], v[20:21]
	ds_read2_b64 v[140:143], v58 offset1:1
	v_mov_b32_e32 v58, 0x13b8
	ds_read2_b64 v[166:169], v58 offset1:1
	s_waitcnt lgkmcnt(2)
	v_fma_f64 v[20:21], -v[36:37], v[62:63], v[20:21]
	v_fma_f64 v[20:21], -v[30:31], v[180:181], v[20:21]
	s_waitcnt lgkmcnt(1)
	v_fma_f64 v[20:21], -v[32:33], v[140:141], v[20:21]
	v_fma_f64 v[20:21], -v[46:47], v[122:123], v[20:21]
	v_mov_b32_e32 v58, 0x15b8
	ds_read2_b64 v[120:123], v58 offset1:1
	s_waitcnt lgkmcnt(1)
	v_fma_f64 v[20:21], -v[48:49], v[166:167], v[20:21]
	v_fma_f64 v[20:21], -v[50:51], v[126:127], v[20:21]
	ds_read_b128 v[124:127], v114 offset:192
	v_mov_b32_e32 v58, 0x17b8
	ds_read2_b64 v[170:173], v58 offset1:1
	v_mul_f64 v[18:19], v[128:129], v[18:19]
	s_waitcnt lgkmcnt(2)
	v_fma_f64 v[20:21], -v[52:53], v[120:121], v[20:21]
	v_fma_f64 v[20:21], -v[18:19], v[130:131], v[20:21]
	s_waitcnt lgkmcnt(1)
	v_fma_f64 v[14:15], -v[90:91], v[124:125], v[14:15]
	s_waitcnt lgkmcnt(0)
	v_mul_f64 v[20:21], v[170:171], v[20:21]
	ds_write2_b64 v115, v[18:19], v[20:21] offset0:192 offset1:224
	ds_read_b128 v[128:131], v114 offset:208
	ds_read_b128 v[174:177], v114 offset:704
	v_fma_f64 v[14:15], -v[92:93], v[68:69], v[14:15]
	ds_read_b128 v[66:69], v114 offset:720
	ds_read_b128 v[178:181], v114 offset:1216
	v_fma_f64 v[16:17], -v[90:91], v[126:127], v[16:17]
	s_waitcnt lgkmcnt(3)
	v_fma_f64 v[10:11], -v[90:91], v[128:129], v[10:11]
	s_waitcnt lgkmcnt(2)
	v_fma_f64 v[14:15], -v[94:95], v[174:175], v[14:15]
	v_fma_f64 v[14:15], -v[96:97], v[152:153], v[14:15]
	ds_read_b128 v[150:153], v114 offset:1232
	ds_read_b128 v[182:185], v114 offset:1728
	s_waitcnt lgkmcnt(2)
	v_fma_f64 v[14:15], -v[98:99], v[178:179], v[14:15]
	ds_read_b128 v[186:189], v114 offset:2240
	ds_read_b128 v[190:193], v114 offset:1744
	v_fma_f64 v[14:15], -v[100:101], v[144:145], v[14:15]
	v_fma_f64 v[12:13], -v[90:91], v[130:131], v[12:13]
	s_waitcnt lgkmcnt(2)
	v_fma_f64 v[14:15], -v[102:103], v[182:183], v[14:15]
	v_fma_f64 v[14:15], -v[104:105], v[138:139], v[14:15]
	s_waitcnt lgkmcnt(1)
	v_fma_f64 v[14:15], -v[106:107], v[186:187], v[14:15]
	v_fma_f64 v[14:15], -v[108:109], v[160:161], v[14:15]
	ds_read_b128 v[136:139], v114 offset:2256
	ds_read_b128 v[158:161], v114 offset:3776
	v_fma_f64 v[14:15], -v[110:111], v[84:85], v[14:15]
	v_fma_f64 v[14:15], -v[112:113], v[164:165], v[14:15]
	;; [unrolled: 1-line block ×4, first 2 shown]
	ds_read_b128 v[58:61], v114 offset:4288
	ds_read_b128 v[162:165], v114 offset:3792
	s_waitcnt lgkmcnt(2)
	v_fma_f64 v[14:15], -v[34:35], v[158:159], v[14:15]
	v_fma_f64 v[14:15], -v[36:37], v[64:65], v[14:15]
	ds_read_b128 v[62:65], v114 offset:4304
	s_waitcnt lgkmcnt(2)
	v_fma_f64 v[14:15], -v[30:31], v[58:59], v[14:15]
	v_fma_f64 v[14:15], -v[32:33], v[142:143], v[14:15]
	ds_read_b128 v[140:143], v114 offset:5824
	v_fma_f64 v[14:15], -v[46:47], v[80:81], v[14:15]
	v_fma_f64 v[14:15], -v[48:49], v[168:169], v[14:15]
	;; [unrolled: 1-line block ×4, first 2 shown]
	s_waitcnt lgkmcnt(0)
	v_fma_f64 v[14:15], -v[18:19], v[140:141], v[14:15]
	ds_read_b128 v[120:123], v114 offset:5840
	ds_read_b128 v[166:169], v114 offset:6336
	v_fma_f64 v[14:15], -v[20:21], v[172:173], v[14:15]
	ds_read2_b64 v[170:173], v114 offset0:57 offset1:58
	ds_read_b128 v[194:197], v114 offset:6352
	ds_read2_b64 v[198:201], v114 offset0:185 offset1:186
	v_mov_b32_e32 v58, 0x9c8
	ds_read2_b64 v[124:127], v114 offset0:59 offset1:60
	s_waitcnt lgkmcnt(3)
	v_fma_f64 v[16:17], -v[92:93], v[170:171], v[16:17]
	v_fma_f64 v[16:17], -v[94:95], v[176:177], v[16:17]
	ds_read2_b64 v[174:177], v58 offset1:1
	v_fma_f64 v[16:17], -v[96:97], v[146:147], v[16:17]
	v_fma_f64 v[16:17], -v[98:99], v[180:181], v[16:17]
	v_mov_b32_e32 v58, 0xbc8
	ds_read2_b64 v[178:181], v58 offset1:1
	s_waitcnt lgkmcnt(3)
	v_fma_f64 v[16:17], -v[100:101], v[198:199], v[16:17]
	v_fma_f64 v[16:17], -v[102:103], v[184:185], v[16:17]
	;; [unrolled: 1-line block ×4, first 2 shown]
	s_waitcnt lgkmcnt(1)
	v_fma_f64 v[16:17], -v[108:109], v[174:175], v[16:17]
	v_mov_b32_e32 v58, 0xdc8
	ds_read2_b64 v[144:147], v114 offset0:187 offset1:188
	v_fma_f64 v[16:17], -v[110:111], v[86:87], v[16:17]
	ds_read2_b64 v[84:87], v58 offset1:1
	v_fma_f64 v[10:11], -v[92:93], v[172:173], v[10:11]
	s_waitcnt lgkmcnt(2)
	v_fma_f64 v[16:17], -v[112:113], v[178:179], v[16:17]
	v_mov_b32_e32 v58, 0xfc8
	v_fma_f64 v[10:11], -v[94:95], v[66:67], v[10:11]
	v_fma_f64 v[16:17], -v[78:79], v[118:119], v[16:17]
	ds_read2_b64 v[116:119], v58 offset1:1
	v_fma_f64 v[10:11], -v[96:97], v[148:149], v[10:11]
	s_waitcnt lgkmcnt(1)
	v_fma_f64 v[16:17], -v[70:71], v[84:85], v[16:17]
	v_fma_f64 v[10:11], -v[98:99], v[150:151], v[10:11]
	ds_read_b128 v[148:151], v114 offset:2768
	v_mov_b32_e32 v58, 0x11c8
	v_fma_f64 v[16:17], -v[34:35], v[160:161], v[16:17]
	ds_read2_b64 v[158:161], v58 offset1:1
	s_waitcnt lgkmcnt(2)
	v_fma_f64 v[16:17], -v[36:37], v[116:117], v[16:17]
	v_mov_b32_e32 v58, 0x13c8
	v_fma_f64 v[16:17], -v[30:31], v[60:61], v[16:17]
	ds_read2_b64 v[58:61], v58 offset1:1
	s_waitcnt lgkmcnt(1)
	v_fma_f64 v[16:17], -v[32:33], v[158:159], v[16:17]
	v_fma_f64 v[16:17], -v[46:47], v[82:83], v[16:17]
	ds_read2_b64 v[80:83], v72 offset1:1
	v_mul_f64 v[14:15], v[166:167], v[14:15]
	s_waitcnt lgkmcnt(1)
	v_fma_f64 v[16:17], -v[48:49], v[58:59], v[16:17]
	v_mov_b32_e32 v58, 0x17c8
	v_fma_f64 v[16:17], -v[50:51], v[134:135], v[16:17]
	ds_read2_b64 v[132:135], v58 offset1:1
	s_waitcnt lgkmcnt(1)
	v_fma_f64 v[16:17], -v[52:53], v[80:81], v[16:17]
	v_mov_b32_e32 v58, 0x19c8
	v_fma_f64 v[16:17], -v[18:19], v[142:143], v[16:17]
	ds_read2_b64 v[140:143], v58 offset1:1
	s_waitcnt lgkmcnt(1)
	v_fma_f64 v[16:17], -v[20:21], v[132:133], v[16:17]
	v_fma_f64 v[16:17], -v[14:15], v[168:169], v[16:17]
	;; [unrolled: 1-line block ×4, first 2 shown]
	s_waitcnt lgkmcnt(0)
	v_mul_f64 v[16:17], v[140:141], v[16:17]
	v_mov_b32_e32 v58, 0x9d8
	ds_write2_b64 v1, v[14:15], v[16:17] offset1:32
	v_fma_f64 v[10:11], -v[104:105], v[156:157], v[10:11]
	ds_read2_b64 v[166:169], v58 offset1:1
	v_fma_f64 v[10:11], -v[106:107], v[136:137], v[10:11]
	ds_read_b128 v[154:157], v114 offset:3280
	ds_read_b128 v[170:173], v114 offset:2784
	v_fma_f64 v[10:11], -v[108:109], v[176:177], v[10:11]
	v_fma_f64 v[10:11], -v[110:111], v[148:149], v[10:11]
	;; [unrolled: 1-line block ×3, first 2 shown]
	s_waitcnt lgkmcnt(1)
	v_fma_f64 v[10:11], -v[78:79], v[154:155], v[10:11]
	v_fma_f64 v[10:11], -v[70:71], v[86:87], v[10:11]
	ds_read_b128 v[174:177], v114 offset:3296
	ds_read_b128 v[84:87], v114 offset:4816
	v_fma_f64 v[10:11], -v[34:35], v[162:163], v[10:11]
	v_fma_f64 v[10:11], -v[36:37], v[118:119], v[10:11]
	;; [unrolled: 1-line block ×4, first 2 shown]
	ds_read_b128 v[116:119], v114 offset:5328
	ds_read_b128 v[158:161], v114 offset:4832
	s_waitcnt lgkmcnt(2)
	v_fma_f64 v[10:11], -v[46:47], v[84:85], v[10:11]
	v_fma_f64 v[10:11], -v[48:49], v[60:61], v[10:11]
	;; [unrolled: 1-line block ×3, first 2 shown]
	s_waitcnt lgkmcnt(1)
	v_fma_f64 v[10:11], -v[50:51], v[116:117], v[10:11]
	v_fma_f64 v[10:11], -v[52:53], v[82:83], v[10:11]
	v_fma_f64 v[10:11], -v[18:19], v[120:121], v[10:11]
	v_fma_f64 v[10:11], -v[20:21], v[134:135], v[10:11]
	v_fma_f64 v[10:11], -v[14:15], v[194:195], v[10:11]
	v_fma_f64 v[10:11], -v[16:17], v[142:143], v[10:11]
	ds_read2_b64 v[140:143], v114 offset0:123 offset1:124
	ds_read2_b64 v[128:131], v114 offset0:251 offset1:252
	v_fma_f64 v[12:13], -v[94:95], v[68:69], v[12:13]
	v_mov_b32_e32 v62, 0xbd8
	ds_read2_b64 v[66:69], v114 offset0:125 offset1:126
	s_waitcnt lgkmcnt(2)
	v_fma_f64 v[12:13], -v[96:97], v[140:141], v[12:13]
	v_fma_f64 v[12:13], -v[98:99], v[152:153], v[12:13]
	;; [unrolled: 1-line block ×4, first 2 shown]
	s_waitcnt lgkmcnt(1)
	v_fma_f64 v[12:13], -v[104:105], v[128:129], v[12:13]
	v_fma_f64 v[12:13], -v[106:107], v[138:139], v[12:13]
	ds_read2_b64 v[136:139], v62 offset1:1
	v_fma_f64 v[12:13], -v[108:109], v[166:167], v[12:13]
	v_mov_b32_e32 v62, 0xdd8
	ds_read2_b64 v[152:155], v114 offset0:253 offset1:254
	v_fma_f64 v[12:13], -v[110:111], v[150:151], v[12:13]
	ds_read2_b64 v[148:151], v62 offset1:1
	v_mov_b32_e32 v62, 0xfd8
	ds_read_b128 v[58:61], v114 offset:5344
	ds_read2_b64 v[178:181], v62 offset1:1
	s_waitcnt lgkmcnt(4)
	v_fma_f64 v[12:13], -v[112:113], v[136:137], v[12:13]
	v_fma_f64 v[12:13], -v[78:79], v[156:157], v[12:13]
	s_waitcnt lgkmcnt(2)
	v_fma_f64 v[12:13], -v[70:71], v[148:149], v[12:13]
	v_mov_b32_e32 v62, 0x11d8
	ds_read_b128 v[80:83], v114 offset:6864
	v_fma_f64 v[12:13], -v[34:35], v[164:165], v[12:13]
	ds_read2_b64 v[162:165], v62 offset1:1
	s_waitcnt lgkmcnt(2)
	v_fma_f64 v[12:13], -v[36:37], v[178:179], v[12:13]
	v_mov_b32_e32 v62, 0x13d8
	v_fma_f64 v[12:13], -v[30:31], v[64:65], v[12:13]
	ds_read2_b64 v[62:65], v62 offset1:1
	s_waitcnt lgkmcnt(1)
	v_fma_f64 v[12:13], -v[32:33], v[162:163], v[12:13]
	v_mov_b32_e32 v72, 0x15d8
	;; [unrolled: 5-line block ×3, first 2 shown]
	ds_read_b128 v[132:135], v114 offset:6880
	v_fma_f64 v[12:13], -v[50:51], v[118:119], v[12:13]
	ds_read2_b64 v[116:119], v62 offset1:1
	v_mov_b32_e32 v62, 0x19d8
	ds_read2_b64 v[182:185], v62 offset1:1
	s_waitcnt lgkmcnt(3)
	v_fma_f64 v[12:13], -v[52:53], v[84:85], v[12:13]
	v_mov_b32_e32 v62, 0x1bd8
	v_fma_f64 v[12:13], -v[18:19], v[122:123], v[12:13]
	ds_read2_b64 v[120:123], v62 offset1:1
	s_waitcnt lgkmcnt(2)
	v_fma_f64 v[12:13], -v[20:21], v[116:117], v[12:13]
	v_fma_f64 v[12:13], -v[14:15], v[196:197], v[12:13]
	v_mul_f64 v[10:11], v[80:81], v[10:11]
	s_waitcnt lgkmcnt(1)
	v_fma_f64 v[12:13], -v[16:17], v[182:183], v[12:13]
	v_mov_b32_e32 v62, 0x9e8
	v_fma_f64 v[12:13], -v[10:11], v[82:83], v[12:13]
	ds_read2_b64 v[80:83], v62 offset1:1
	ds_read_b128 v[186:189], v114 offset:224
	s_waitcnt lgkmcnt(2)
	v_mul_f64 v[12:13], v[120:121], v[12:13]
	ds_write2_b64 v1, v[10:11], v[12:13] offset0:64 offset1:96
	ds_read_b128 v[190:193], v114 offset:240
	ds_read_b128 v[194:197], v114 offset:736
	s_waitcnt lgkmcnt(3)
	v_fma_f64 v[6:7], -v[90:91], v[186:187], v[6:7]
	v_fma_f64 v[6:7], -v[92:93], v[126:127], v[6:7]
	ds_read_b128 v[124:127], v114 offset:752
	ds_read_b128 v[198:201], v114 offset:1248
	s_waitcnt lgkmcnt(2)
	v_fma_f64 v[6:7], -v[94:95], v[194:195], v[6:7]
	v_fma_f64 v[6:7], -v[96:97], v[142:143], v[6:7]
	ds_read_b128 v[140:143], v114 offset:1264
	ds_read_b128 v[202:205], v114 offset:1760
	v_fma_f64 v[2:3], -v[90:91], v[190:191], v[2:3]
	s_waitcnt lgkmcnt(2)
	v_fma_f64 v[6:7], -v[98:99], v[198:199], v[6:7]
	v_fma_f64 v[6:7], -v[100:101], v[146:147], v[6:7]
	ds_read_b128 v[144:147], v114 offset:2272
	ds_read_b128 v[206:209], v114 offset:1776
	s_waitcnt lgkmcnt(2)
	v_fma_f64 v[6:7], -v[102:103], v[202:203], v[6:7]
	v_fma_f64 v[6:7], -v[104:105], v[130:131], v[6:7]
	ds_read_b128 v[128:131], v114 offset:2288
	s_waitcnt lgkmcnt(2)
	v_fma_f64 v[6:7], -v[106:107], v[144:145], v[6:7]
	v_fma_f64 v[6:7], -v[108:109], v[168:169], v[6:7]
	;; [unrolled: 1-line block ×4, first 2 shown]
	ds_read_b128 v[136:139], v114 offset:3808
	v_fma_f64 v[6:7], -v[78:79], v[174:175], v[6:7]
	v_fma_f64 v[6:7], -v[70:71], v[150:151], v[6:7]
	ds_read_b128 v[148:151], v114 offset:4320
	ds_read_b128 v[166:169], v114 offset:3824
	v_fma_f64 v[2:3], -v[92:93], v[76:77], v[2:3]
	s_waitcnt lgkmcnt(2)
	v_fma_f64 v[6:7], -v[34:35], v[136:137], v[6:7]
	v_fma_f64 v[6:7], -v[36:37], v[180:181], v[6:7]
	s_waitcnt lgkmcnt(1)
	v_fma_f64 v[6:7], -v[30:31], v[148:149], v[6:7]
	v_fma_f64 v[6:7], -v[32:33], v[164:165], v[6:7]
	v_fma_f64 v[6:7], -v[46:47], v[158:159], v[6:7]
	ds_read_b128 v[178:181], v114 offset:4336
	v_fma_f64 v[6:7], -v[48:49], v[64:65], v[6:7]
	ds_read_b128 v[62:65], v114 offset:5856
	v_fma_f64 v[6:7], -v[50:51], v[58:59], v[6:7]
	v_fma_f64 v[6:7], -v[52:53], v[86:87], v[6:7]
	ds_read_b128 v[84:87], v114 offset:6368
	ds_read_b128 v[156:159], v114 offset:5872
	ds_read_b128 v[162:165], v114 offset:7392
	s_waitcnt lgkmcnt(3)
	v_fma_f64 v[6:7], -v[18:19], v[62:63], v[6:7]
	v_fma_f64 v[6:7], -v[20:21], v[118:119], v[6:7]
	s_waitcnt lgkmcnt(2)
	v_fma_f64 v[6:7], -v[14:15], v[84:85], v[6:7]
	v_fma_f64 v[6:7], -v[16:17], v[184:185], v[6:7]
	;; [unrolled: 1-line block ×4, first 2 shown]
	s_waitcnt lgkmcnt(0)
	v_mul_f64 v[88:89], v[162:163], v[6:7]
	v_fma_f64 v[6:7], -v[90:91], v[188:189], v[8:9]
	v_fma_f64 v[6:7], -v[92:93], v[74:75], v[6:7]
	;; [unrolled: 1-line block ×9, first 2 shown]
	v_mov_b32_e32 v6, 0xbe8
	ds_read2_b64 v[6:9], v6 offset1:1
	v_fma_f64 v[54:55], -v[108:109], v[80:81], v[54:55]
	v_mov_b32_e32 v58, 0xde8
	ds_read2_b64 v[72:75], v58 offset1:1
	v_fma_f64 v[54:55], -v[110:111], v[172:173], v[54:55]
	s_waitcnt lgkmcnt(1)
	v_fma_f64 v[6:7], -v[112:113], v[6:7], v[54:55]
	v_mov_b32_e32 v54, 0xfe8
	ds_read_b128 v[116:119], v114 offset:6384
	ds_read2_b64 v[144:147], v54 offset1:1
	v_fma_f64 v[6:7], -v[78:79], v[176:177], v[6:7]
	s_waitcnt lgkmcnt(2)
	v_fma_f64 v[6:7], -v[70:71], v[72:73], v[6:7]
	v_mov_b32_e32 v54, 0x11e8
	ds_read_b128 v[120:123], v114 offset:6896
	v_fma_f64 v[6:7], -v[34:35], v[138:139], v[6:7]
	ds_read2_b64 v[136:139], v54 offset1:1
	v_fma_f64 v[2:3], -v[94:95], v[124:125], v[2:3]
	s_waitcnt lgkmcnt(2)
	v_fma_f64 v[6:7], -v[36:37], v[144:145], v[6:7]
	v_mov_b32_e32 v54, 0x13e8
	v_fma_f64 v[2:3], -v[96:97], v[68:69], v[2:3]
	v_fma_f64 v[6:7], -v[30:31], v[150:151], v[6:7]
	ds_read2_b64 v[148:151], v54 offset1:1
	v_fma_f64 v[2:3], -v[98:99], v[140:141], v[2:3]
	v_fma_f64 v[2:3], -v[100:101], v[56:57], v[2:3]
	;; [unrolled: 1-line block ×3, first 2 shown]
	s_waitcnt lgkmcnt(1)
	v_fma_f64 v[6:7], -v[32:33], v[136:137], v[6:7]
	v_mov_b32_e32 v54, 0x15e8
	v_fma_f64 v[2:3], -v[104:105], v[154:155], v[2:3]
	v_fma_f64 v[6:7], -v[46:47], v[160:161], v[6:7]
	ds_read2_b64 v[160:163], v54 offset1:1
	v_fma_f64 v[2:3], -v[106:107], v[128:129], v[2:3]
	s_waitcnt lgkmcnt(1)
	v_fma_f64 v[6:7], -v[48:49], v[148:149], v[6:7]
	v_mov_b32_e32 v54, 0x17e8
	v_fma_f64 v[2:3], -v[108:109], v[82:83], v[2:3]
	v_fma_f64 v[6:7], -v[50:51], v[60:61], v[6:7]
	ds_read2_b64 v[58:61], v54 offset1:1
	v_fma_f64 v[2:3], -v[110:111], v[42:43], v[2:3]
	v_fma_f64 v[2:3], -v[112:113], v[8:9], v[2:3]
	;; [unrolled: 1-line block ×3, first 2 shown]
	s_waitcnt lgkmcnt(1)
	v_fma_f64 v[6:7], -v[52:53], v[160:161], v[6:7]
	v_mov_b32_e32 v54, 0x19e8
	v_fma_f64 v[2:3], -v[70:71], v[74:75], v[2:3]
	v_fma_f64 v[6:7], -v[18:19], v[64:65], v[6:7]
	ds_read2_b64 v[62:65], v54 offset1:1
	v_fma_f64 v[2:3], -v[34:35], v[166:167], v[2:3]
	s_waitcnt lgkmcnt(1)
	v_fma_f64 v[6:7], -v[20:21], v[58:59], v[6:7]
	v_mov_b32_e32 v54, 0x1be8
	v_fma_f64 v[2:3], -v[36:37], v[146:147], v[2:3]
	v_fma_f64 v[6:7], -v[14:15], v[86:87], v[6:7]
	ds_read2_b64 v[84:87], v54 offset1:1
	v_fma_f64 v[2:3], -v[30:31], v[178:179], v[2:3]
	v_mov_b32_e32 v54, 0x1de8
	v_fma_f64 v[2:3], -v[32:33], v[138:139], v[2:3]
	ds_read2_b64 v[170:173], v54 offset1:1
	v_fma_f64 v[2:3], -v[46:47], v[26:27], v[2:3]
	s_waitcnt lgkmcnt(2)
	v_fma_f64 v[6:7], -v[16:17], v[62:63], v[6:7]
	v_fma_f64 v[2:3], -v[48:49], v[150:151], v[2:3]
	;; [unrolled: 1-line block ×4, first 2 shown]
	s_waitcnt lgkmcnt(1)
	v_fma_f64 v[6:7], -v[12:13], v[84:85], v[6:7]
	v_fma_f64 v[2:3], -v[52:53], v[162:163], v[2:3]
	;; [unrolled: 1-line block ×4, first 2 shown]
	s_waitcnt lgkmcnt(0)
	v_mul_f64 v[62:63], v[170:171], v[6:7]
	v_fma_f64 v[2:3], -v[20:21], v[60:61], v[2:3]
	ds_read_b128 v[6:9], v114 offset:7408
	ds_read_b128 v[54:57], v114 offset:7920
	v_fma_f64 v[2:3], -v[14:15], v[116:117], v[2:3]
	v_fma_f64 v[2:3], -v[16:17], v[64:65], v[2:3]
	;; [unrolled: 1-line block ×3, first 2 shown]
	ds_read2_b64 v[58:61], v114 offset0:63 offset1:127
	v_fma_f64 v[2:3], -v[12:13], v[86:87], v[2:3]
	s_waitcnt lgkmcnt(2)
	v_fma_f64 v[2:3], -v[88:89], v[6:7], v[2:3]
	v_fma_f64 v[2:3], -v[62:63], v[172:173], v[2:3]
	s_waitcnt lgkmcnt(1)
	v_mul_f64 v[6:7], v[54:55], v[2:3]
	v_fma_f64 v[22:23], -v[90:91], v[192:193], v[4:5]
	ds_read2_b64 v[2:5], v114 offset0:191 offset1:255
	s_waitcnt lgkmcnt(1)
	v_fma_f64 v[22:23], -v[92:93], v[58:59], v[22:23]
	v_fma_f64 v[22:23], -v[94:95], v[126:127], v[22:23]
	;; [unrolled: 1-line block ×3, first 2 shown]
	v_add_u32_e64 v26, s12, 0
	v_fma_f64 v[22:23], -v[98:99], v[142:143], v[22:23]
	ds_read2st64_b64 v[58:61], v26 offset0:4 offset1:5
	s_waitcnt lgkmcnt(1)
	v_fma_f64 v[2:3], -v[100:101], v[2:3], v[22:23]
	v_fma_f64 v[2:3], -v[102:103], v[208:209], v[2:3]
	v_fma_f64 v[2:3], -v[104:105], v[4:5], v[2:3]
	v_fma_f64 v[22:23], -v[106:107], v[130:131], v[2:3]
	ds_read2st64_b64 v[2:5], v26 offset0:6 offset1:7
	s_waitcnt lgkmcnt(1)
	v_fma_f64 v[22:23], -v[108:109], v[58:59], v[22:23]
	v_fma_f64 v[22:23], -v[110:111], v[44:45], v[22:23]
	v_fma_f64 v[22:23], -v[112:113], v[60:61], v[22:23]
	;; [unrolled: 6-line block ×4, first 2 shown]
	v_fma_f64 v[22:23], -v[50:51], v[24:25], v[22:23]
	s_waitcnt lgkmcnt(0)
	v_fma_f64 v[2:3], -v[52:53], v[2:3], v[22:23]
	ds_read2st64_b64 v[22:25], v26 offset0:12 offset1:13
	v_fma_f64 v[2:3], -v[18:19], v[158:159], v[2:3]
	v_fma_f64 v[2:3], -v[20:21], v[4:5], v[2:3]
	v_fma_f64 v[14:15], -v[14:15], v[118:119], v[2:3]
	ds_read2st64_b64 v[2:5], v26 offset0:14 offset1:15
	s_waitcnt lgkmcnt(1)
	v_fma_f64 v[14:15], -v[16:17], v[22:23], v[14:15]
	v_fma_f64 v[10:11], -v[10:11], v[122:123], v[14:15]
	;; [unrolled: 1-line block ×4, first 2 shown]
	s_waitcnt lgkmcnt(0)
	v_fma_f64 v[2:3], -v[62:63], v[2:3], v[8:9]
	v_fma_f64 v[2:3], -v[6:7], v[56:57], v[2:3]
	v_mul_f64 v[2:3], v[4:5], v[2:3]
	s_mov_b32 s12, 32
	ds_write2_b64 v1, v[88:89], v[62:63] offset0:128 offset1:160
	ds_write2_b64 v1, v[6:7], v[2:3] offset0:192 offset1:224
.LBB104_43:
	s_cmp_lt_i32 s12, s30
	s_cbranch_scc0 .LBB104_60
; %bb.44:
	s_or_b32 s13, s12, 27
	s_cmp_ge_u32 s13, s30
	s_cbranch_scc1 .LBB104_49
; %bb.45:
	s_lshl_b32 s16, s12, 5
	v_or_b32_e32 v1, s16, v0
	v_lshlrev_b32_e32 v56, 3, v1
	v_add_u32_e32 v54, 0x2000, v56
	v_add_u32_e32 v1, 0x2800, v56
	ds_read2_b64 v[46:49], v54 offset1:32
	ds_read2_b64 v[50:53], v54 offset0:64 offset1:96
	ds_read2_b64 v[42:45], v54 offset0:128 offset1:160
	;; [unrolled: 1-line block ×3, first 2 shown]
	ds_read2_b64 v[34:37], v1 offset1:32
	ds_read2_b64 v[30:33], v1 offset0:64 offset1:96
	ds_read2_b64 v[26:29], v1 offset0:128 offset1:160
	;; [unrolled: 1-line block ×3, first 2 shown]
	v_add_u32_e32 v1, 0x3000, v56
	ds_read2_b64 v[18:21], v1 offset1:32
	ds_read2_b64 v[14:17], v1 offset0:64 offset1:96
	ds_read2_b64 v[10:13], v1 offset0:128 offset1:160
	;; [unrolled: 1-line block ×3, first 2 shown]
	v_add_u32_e32 v1, 0x3800, v56
	ds_read2_b64 v[2:5], v1 offset1:32
	v_lshlrev_b32_e32 v1, 3, v0
	v_lshl_or_b32 v55, s13, 8, v1
	ds_read_b64 v[72:73], v56 offset:14848
	ds_read_b64 v[70:71], v55 offset:8192
	s_andn2_b64 vcc, exec, s[8:9]
	s_cbranch_vccnz .LBB104_48
; %bb.46:
	v_mov_b32_e32 v56, 0x2000
	s_lshl_b32 s8, s12, 3
	v_lshl_or_b32 v56, v0, 3, v56
	s_mov_b32 s9, 0
.LBB104_47:                             ; =>This Inner Loop Header: Depth=1
	v_mov_b32_e32 v57, s8
	ds_read_b64 v[118:119], v56
	ds_read_b128 v[58:61], v57
	ds_read_b128 v[62:65], v57 offset:16
	ds_read_b128 v[66:69], v57 offset:32
	;; [unrolled: 1-line block ×13, first 2 shown]
	s_add_i32 s9, s9, 1
	s_addk_i32 s8, 0x100
	v_add_u32_e32 v56, 0x100, v56
	s_cmp_lt_u32 s9, s12
	s_waitcnt lgkmcnt(13)
	v_fma_f64 v[46:47], -v[118:119], v[58:59], v[46:47]
	v_fma_f64 v[48:49], -v[118:119], v[60:61], v[48:49]
	s_waitcnt lgkmcnt(12)
	v_fma_f64 v[50:51], -v[118:119], v[62:63], v[50:51]
	v_fma_f64 v[52:53], -v[118:119], v[64:65], v[52:53]
	;; [unrolled: 3-line block ×14, first 2 shown]
	s_cbranch_scc1 .LBB104_47
.LBB104_48:
	s_mul_i32 s8, s12, 0x108
	v_mov_b32_e32 v83, s8
	ds_read_b128 v[56:59], v83
	ds_read_b128 v[60:63], v83 offset:16
	ds_read2_b64 v[64:67], v83 offset0:33 offset1:34
	ds_read_b128 v[84:87], v83 offset:528
	v_add_u32_e32 v80, 0x2000, v55
	s_waitcnt lgkmcnt(3)
	v_mul_f64 v[74:75], v[56:57], v[46:47]
	ds_write_b64 v54, v[74:75]
	v_fma_f64 v[54:55], -v[74:75], v[58:59], v[48:49]
	s_or_b32 s9, s16, 32
	s_waitcnt lgkmcnt(2)
	v_mul_f64 v[76:77], v[64:65], v[54:55]
	v_or_b32_e32 v54, s9, v0
	s_add_i32 s9, s12, s9
	s_lshl_b32 s9, s9, 3
	v_mov_b32_e32 v81, s9
	v_fma_f64 v[50:51], -v[74:75], v[60:61], v[50:51]
	ds_read2_b64 v[88:91], v81 offset0:3 offset1:4
	v_fma_f64 v[50:51], -v[76:77], v[66:67], v[50:51]
	s_or_b32 s17, s16, 64
	ds_read2_b64 v[58:61], v83 offset0:99 offset1:100
	s_waitcnt lgkmcnt(3)
	v_mul_f64 v[78:79], v[84:85], v[50:51]
	v_or_b32_e32 v50, s17, v0
	v_lshlrev_b32_e32 v50, 3, v50
	v_lshlrev_b32_e32 v54, 3, v54
	ds_write_b64 v50, v[78:79] offset:8192
	v_fma_f64 v[50:51], -v[74:75], v[62:63], v[52:53]
	ds_write_b64 v54, v[76:77] offset:8192
	ds_read2_b64 v[54:57], v81 offset0:5 offset1:6
	s_waitcnt lgkmcnt(4)
	v_fma_f64 v[50:51], -v[76:77], v[88:89], v[50:51]
	s_add_i32 s9, s12, s17
	s_lshl_b32 s17, s9, 3
	v_fma_f64 v[50:51], -v[78:79], v[86:87], v[50:51]
	s_or_b32 s9, s16, 0x60
	ds_read_b128 v[46:49], v83 offset:64
	ds_read_b128 v[62:65], v83 offset:32
	s_waitcnt lgkmcnt(5)
	v_mul_f64 v[58:59], v[58:59], v[50:51]
	v_or_b32_e32 v50, s9, v0
	v_lshlrev_b32_e32 v50, 3, v50
	ds_write_b64 v50, v[58:59] offset:8192
	v_mov_b32_e32 v82, s17
	ds_read_b128 v[66:69], v82 offset:32
	ds_read_b128 v[50:53], v83 offset:48
	;; [unrolled: 1-line block ×3, first 2 shown]
	s_waitcnt lgkmcnt(4)
	v_fma_f64 v[42:43], -v[74:75], v[62:63], v[42:43]
	v_fma_f64 v[42:43], -v[76:77], v[90:91], v[42:43]
	s_waitcnt lgkmcnt(2)
	v_fma_f64 v[42:43], -v[78:79], v[66:67], v[42:43]
	s_add_i32 s9, s12, s9
	s_lshl_b32 s9, s9, 3
	v_fma_f64 v[42:43], -v[58:59], v[60:61], v[42:43]
	s_or_b32 s17, s16, 0x80
	s_waitcnt lgkmcnt(0)
	v_mul_f64 v[60:61], v[86:87], v[42:43]
	v_mov_b32_e32 v86, s9
	v_or_b32_e32 v42, s17, v0
	ds_read2_b64 v[94:97], v86 offset0:5 offset1:6
	v_lshlrev_b32_e32 v42, 3, v42
	ds_read2_b64 v[90:93], v83 offset0:165 offset1:166
	ds_write_b64 v42, v[60:61] offset:8192
	v_fma_f64 v[42:43], -v[74:75], v[64:65], v[44:45]
	v_fma_f64 v[42:43], -v[76:77], v[54:55], v[42:43]
	;; [unrolled: 1-line block ×3, first 2 shown]
	ds_read_b128 v[42:45], v82 offset:208
	s_waitcnt lgkmcnt(3)
	v_fma_f64 v[54:55], -v[58:59], v[94:95], v[54:55]
	s_add_i32 s9, s12, s17
	s_or_b32 s17, s16, 0xa0
	v_fma_f64 v[54:55], -v[60:61], v[88:89], v[54:55]
	v_or_b32_e32 v64, s17, v0
	s_waitcnt lgkmcnt(2)
	v_mul_f64 v[54:55], v[90:91], v[54:55]
	v_lshlrev_b32_e32 v64, 3, v64
	ds_read_b64 v[62:63], v81 offset:216
	ds_write_b64 v64, v[54:55] offset:8192
	ds_read_b128 v[64:67], v82 offset:48
	s_lshl_b32 s9, s9, 3
	v_fma_f64 v[38:39], -v[74:75], v[50:51], v[38:39]
	v_fma_f64 v[38:39], -v[76:77], v[56:57], v[38:39]
	v_mov_b32_e32 v85, s9
	ds_read_b128 v[88:91], v85 offset:48
	ds_read_b128 v[98:101], v82 offset:64
	s_waitcnt lgkmcnt(2)
	v_fma_f64 v[38:39], -v[78:79], v[64:65], v[38:39]
	v_fma_f64 v[50:51], -v[58:59], v[96:97], v[38:39]
	ds_read2_b64 v[94:97], v83 offset0:198 offset1:231
	s_waitcnt lgkmcnt(2)
	v_fma_f64 v[50:51], -v[60:61], v[88:89], v[50:51]
	s_add_i32 s9, s12, s17
	v_fma_f64 v[50:51], -v[54:55], v[92:93], v[50:51]
	s_or_b32 s17, s16, 0xc0
	ds_read_b64 v[38:39], v86 offset:216
	s_lshl_b32 s9, s9, 3
	s_waitcnt lgkmcnt(1)
	v_mul_f64 v[50:51], v[94:95], v[50:51]
	ds_read2_b64 v[92:95], v81 offset0:7 offset1:8
	v_or_b32_e32 v56, s17, v0
	v_lshlrev_b32_e32 v56, 3, v56
	v_mov_b32_e32 v89, s9
	s_add_i32 s9, s12, s17
	ds_write_b64 v56, v[50:51] offset:8192
	s_lshl_b32 s9, s9, 3
	ds_read2_b64 v[102:105], v86 offset0:7 offset1:8
	ds_read2_b64 v[106:109], v81 offset0:9 offset1:10
	v_mov_b32_e32 v84, s9
	s_or_b32 s9, s16, 0xe0
	v_fma_f64 v[40:41], -v[74:75], v[52:53], v[40:41]
	ds_read2_b64 v[110:113], v89 offset0:7 offset1:8
	ds_read2_b64 v[114:117], v84 offset0:7 offset1:8
	ds_read_b128 v[118:121], v85 offset:64
	v_or_b32_e32 v56, s9, v0
	v_fma_f64 v[34:35], -v[74:75], v[46:47], v[34:35]
	s_add_i32 s9, s12, s9
	s_waitcnt lgkmcnt(6)
	v_fma_f64 v[40:41], -v[76:77], v[92:93], v[40:41]
	v_fma_f64 v[34:35], -v[76:77], v[94:95], v[34:35]
	s_lshl_b32 s9, s9, 3
	v_fma_f64 v[40:41], -v[78:79], v[66:67], v[40:41]
	v_fma_f64 v[34:35], -v[78:79], v[98:99], v[34:35]
	v_mov_b32_e32 v87, s9
	ds_read2_b64 v[64:67], v86 offset0:9 offset1:10
	s_waitcnt lgkmcnt(5)
	v_fma_f64 v[40:41], -v[58:59], v[102:103], v[40:41]
	v_fma_f64 v[34:35], -v[58:59], v[104:105], v[34:35]
	ds_read_b128 v[102:105], v87 offset:64
	v_fma_f64 v[40:41], -v[60:61], v[90:91], v[40:41]
	ds_read_b64 v[46:47], v83 offset:2112
	s_waitcnt lgkmcnt(5)
	v_fma_f64 v[52:53], -v[54:55], v[110:111], v[40:41]
	s_waitcnt lgkmcnt(3)
	v_fma_f64 v[34:35], -v[60:61], v[118:119], v[34:35]
	v_fma_f64 v[52:53], -v[50:51], v[114:115], v[52:53]
	;; [unrolled: 1-line block ×3, first 2 shown]
	v_mul_f64 v[52:53], v[96:97], v[52:53]
	v_fma_f64 v[34:35], -v[50:51], v[116:117], v[34:35]
	s_waitcnt lgkmcnt(1)
	v_fma_f64 v[34:35], -v[52:53], v[102:103], v[34:35]
	s_or_b32 s9, s16, 0x100
	ds_read2_b64 v[90:93], v89 offset0:9 offset1:10
	ds_read_b128 v[110:113], v87 offset:80
	s_waitcnt lgkmcnt(2)
	v_mul_f64 v[34:35], v[46:47], v[34:35]
	v_or_b32_e32 v46, s9, v0
	v_fma_f64 v[36:37], -v[74:75], v[48:49], v[36:37]
	v_lshlrev_b32_e32 v46, 3, v46
	v_fma_f64 v[36:37], -v[76:77], v[106:107], v[36:37]
	ds_read_b128 v[94:97], v85 offset:80
	ds_write_b64 v46, v[34:35] offset:8192
	ds_read2_b64 v[46:49], v84 offset0:9 offset1:10
	v_fma_f64 v[36:37], -v[78:79], v[100:101], v[36:37]
	v_fma_f64 v[36:37], -v[58:59], v[64:65], v[36:37]
	s_add_i32 s9, s12, s9
	s_add_i32 s16, s12, s16
	v_lshlrev_b32_e32 v56, 3, v56
	v_fma_f64 v[36:37], -v[60:61], v[120:121], v[36:37]
	s_lshl_b32 s9, s9, 3
	s_lshl_b32 s16, s16, 3
	ds_write_b64 v56, v[52:53] offset:8192
	s_waitcnt lgkmcnt(5)
	v_fma_f64 v[36:37], -v[54:55], v[90:91], v[36:37]
	v_mov_b32_e32 v83, s9
	v_mov_b32_e32 v90, s16
	ds_read_b64 v[40:41], v89 offset:216
	ds_read2_b64 v[98:101], v83 offset0:9 offset1:10
	ds_read2_b64 v[114:117], v84 offset0:11 offset1:12
	ds_read_b128 v[122:125], v90 offset:80
	s_waitcnt lgkmcnt(5)
	v_fma_f64 v[36:37], -v[50:51], v[46:47], v[36:37]
	v_fma_f64 v[36:37], -v[52:53], v[104:105], v[36:37]
	ds_read2_b64 v[102:105], v83 offset0:11 offset1:12
	ds_read_b128 v[126:129], v82 offset:80
	s_or_b32 s17, s12, 9
	s_lshl_b32 s9, s17, 5
	s_mulk_i32 s17, 0x108
	v_mov_b32_e32 v46, s17
	s_waitcnt lgkmcnt(2)
	v_fma_f64 v[30:31], -v[74:75], v[122:123], v[30:31]
	ds_read2_b64 v[118:121], v46 offset1:1
	v_fma_f64 v[30:31], -v[76:77], v[108:109], v[30:31]
	s_waitcnt lgkmcnt(1)
	v_fma_f64 v[30:31], -v[78:79], v[126:127], v[30:31]
	v_fma_f64 v[30:31], -v[58:59], v[66:67], v[30:31]
	;; [unrolled: 1-line block ×4, first 2 shown]
	s_or_b32 s16, s12, 10
	v_fma_f64 v[30:31], -v[54:55], v[92:93], v[30:31]
	ds_read2_b64 v[92:95], v81 offset0:11 offset1:12
	v_or_b32_e32 v46, s9, v0
	s_waitcnt lgkmcnt(1)
	v_mul_f64 v[36:37], v[118:119], v[36:37]
	v_lshlrev_b32_e32 v46, 3, v46
	s_mul_i32 s17, s16, 0x108
	ds_write_b64 v46, v[36:37] offset:8192
	v_mov_b32_e32 v46, s17
	ds_read_b128 v[106:109], v82 offset:96
	v_fma_f64 v[30:31], -v[50:51], v[48:49], v[30:31]
	ds_read_b128 v[46:49], v46
	v_fma_f64 v[30:31], -v[52:53], v[110:111], v[30:31]
	v_fma_f64 v[30:31], -v[34:35], v[100:101], v[30:31]
	;; [unrolled: 1-line block ×3, first 2 shown]
	s_lshl_b32 s16, s16, 5
	s_add_i32 s9, s12, s9
	s_waitcnt lgkmcnt(0)
	v_mul_f64 v[46:47], v[46:47], v[30:31]
	v_or_b32_e32 v30, s16, v0
	s_lshl_b32 s9, s9, 3
	v_lshlrev_b32_e32 v30, 3, v30
	v_mov_b32_e32 v88, s9
	ds_write_b64 v30, v[46:47] offset:8192
	ds_read2_b64 v[64:67], v88 offset0:11 offset1:12
	v_fma_f64 v[56:57], -v[74:75], v[124:125], v[32:33]
	ds_read2_b64 v[98:101], v81 offset0:13 offset1:14
	ds_read2_b64 v[30:33], v86 offset0:11 offset1:12
	v_fma_f64 v[56:57], -v[76:77], v[92:93], v[56:57]
	ds_read2_b64 v[118:121], v89 offset0:11 offset1:12
	ds_read2_b64 v[122:125], v86 offset0:13 offset1:14
	v_fma_f64 v[56:57], -v[78:79], v[128:129], v[56:57]
	s_or_b32 s9, s12, 11
	s_waitcnt lgkmcnt(2)
	v_fma_f64 v[30:31], -v[58:59], v[30:31], v[56:57]
	v_fma_f64 v[30:31], -v[60:61], v[96:97], v[30:31]
	s_waitcnt lgkmcnt(1)
	v_fma_f64 v[30:31], -v[54:55], v[118:119], v[30:31]
	s_mul_i32 s17, s9, 0x108
	ds_read2_b64 v[126:129], v89 offset0:13 offset1:14
	ds_read_b128 v[134:137], v90 offset:96
	v_fma_f64 v[30:31], -v[50:51], v[114:115], v[30:31]
	v_mov_b32_e32 v56, s17
	v_fma_f64 v[30:31], -v[52:53], v[112:113], v[30:31]
	ds_read2_b64 v[110:113], v56 offset1:1
	v_fma_f64 v[30:31], -v[34:35], v[102:103], v[30:31]
	v_fma_f64 v[30:31], -v[36:37], v[64:65], v[30:31]
	;; [unrolled: 1-line block ×3, first 2 shown]
	s_lshl_b32 s9, s9, 5
	s_waitcnt lgkmcnt(1)
	v_fma_f64 v[26:27], -v[74:75], v[134:135], v[26:27]
	s_add_i32 s16, s12, s16
	v_fma_f64 v[26:27], -v[76:77], v[94:95], v[26:27]
	ds_read_b128 v[92:95], v85 offset:96
	s_waitcnt lgkmcnt(1)
	v_mul_f64 v[48:49], v[110:111], v[30:31]
	v_or_b32_e32 v30, s9, v0
	s_lshl_b32 s16, s16, 3
	v_lshlrev_b32_e32 v30, 3, v30
	v_mov_b32_e32 v91, s16
	ds_write_b64 v30, v[48:49] offset:8192
	ds_read_b128 v[130:133], v91 offset:96
	ds_read_b128 v[138:141], v90 offset:112
	v_fma_f64 v[26:27], -v[78:79], v[106:107], v[26:27]
	ds_read_b128 v[142:145], v85 offset:112
	ds_read_b128 v[146:149], v87 offset:96
	v_fma_f64 v[26:27], -v[58:59], v[32:33], v[26:27]
	s_waitcnt lgkmcnt(5)
	v_fma_f64 v[26:27], -v[60:61], v[92:93], v[26:27]
	v_fma_f64 v[26:27], -v[54:55], v[120:121], v[26:27]
	s_or_b32 s16, s12, 12
	v_fma_f64 v[26:27], -v[50:51], v[116:117], v[26:27]
	s_waitcnt lgkmcnt(0)
	v_fma_f64 v[26:27], -v[52:53], v[146:147], v[26:27]
	s_mul_i32 s17, s16, 0x108
	v_fma_f64 v[26:27], -v[34:35], v[104:105], v[26:27]
	v_mov_b32_e32 v30, s17
	v_fma_f64 v[26:27], -v[36:37], v[66:67], v[26:27]
	ds_read_b128 v[64:67], v30
	v_fma_f64 v[26:27], -v[46:47], v[130:131], v[26:27]
	s_lshl_b32 s16, s16, 5
	v_fma_f64 v[28:29], -v[74:75], v[136:137], v[28:29]
	v_fma_f64 v[26:27], -v[48:49], v[112:113], v[26:27]
	v_or_b32_e32 v56, s16, v0
	v_fma_f64 v[28:29], -v[76:77], v[98:99], v[28:29]
	ds_read2_b64 v[96:99], v84 offset0:13 offset1:14
	s_waitcnt lgkmcnt(1)
	v_mul_f64 v[26:27], v[64:65], v[26:27]
	v_lshlrev_b32_e32 v56, 3, v56
	v_fma_f64 v[28:29], -v[78:79], v[108:109], v[28:29]
	ds_write_b64 v56, v[26:27] offset:8192
	v_fma_f64 v[28:29], -v[58:59], v[122:123], v[28:29]
	ds_read_b128 v[114:117], v87 offset:112
	ds_read_b128 v[30:33], v91 offset:208
	v_fma_f64 v[28:29], -v[60:61], v[94:95], v[28:29]
	ds_read2_b64 v[92:95], v84 offset0:15 offset1:16
	ds_read2_b64 v[102:105], v83 offset0:13 offset1:14
	;; [unrolled: 1-line block ×4, first 2 shown]
	v_fma_f64 v[28:29], -v[54:55], v[126:127], v[28:29]
	s_waitcnt lgkmcnt(7)
	v_fma_f64 v[28:29], -v[50:51], v[96:97], v[28:29]
	s_add_i32 s9, s12, s9
	v_fma_f64 v[28:29], -v[52:53], v[148:149], v[28:29]
	s_lshl_b32 s9, s9, 3
	s_waitcnt lgkmcnt(2)
	v_fma_f64 v[28:29], -v[34:35], v[102:103], v[28:29]
	v_mov_b32_e32 v198, s9
	s_waitcnt lgkmcnt(0)
	v_fma_f64 v[28:29], -v[36:37], v[110:111], v[28:29]
	ds_read2_b64 v[118:121], v198 offset0:13 offset1:14
	ds_read2_b64 v[134:137], v88 offset0:15 offset1:16
	v_fma_f64 v[28:29], -v[46:47], v[132:133], v[28:29]
	ds_read2_b64 v[130:133], v198 offset0:15 offset1:16
	ds_read_b128 v[150:153], v82 offset:112
	v_fma_f64 v[22:23], -v[74:75], v[138:139], v[22:23]
	v_fma_f64 v[22:23], -v[76:77], v[100:101], v[22:23]
	s_or_b32 s17, s12, 13
	s_add_i32 s9, s12, s16
	s_waitcnt lgkmcnt(0)
	v_fma_f64 v[22:23], -v[78:79], v[150:151], v[22:23]
	s_mul_i32 s16, s17, 0x108
	v_fma_f64 v[22:23], -v[58:59], v[124:125], v[22:23]
	v_mov_b32_e32 v56, s16
	v_fma_f64 v[22:23], -v[60:61], v[142:143], v[22:23]
	ds_read2_b64 v[146:149], v56 offset1:1
	v_fma_f64 v[22:23], -v[54:55], v[128:129], v[22:23]
	ds_read2_b64 v[126:129], v81 offset0:15 offset1:16
	v_fma_f64 v[22:23], -v[50:51], v[98:99], v[22:23]
	ds_read_b128 v[96:99], v91 offset:112
	v_fma_f64 v[28:29], -v[48:49], v[118:119], v[28:29]
	s_lshl_b32 s9, s9, 3
	s_lshl_b32 s16, s17, 5
	v_fma_f64 v[22:23], -v[52:53], v[114:115], v[22:23]
	v_fma_f64 v[28:29], -v[26:27], v[66:67], v[28:29]
	v_mov_b32_e32 v199, s9
	v_or_b32_e32 v56, s16, v0
	s_or_b32 s9, s12, 14
	v_fma_f64 v[22:23], -v[34:35], v[104:105], v[22:23]
	ds_read_b128 v[64:67], v199 offset:112
	s_waitcnt lgkmcnt(3)
	v_mul_f64 v[28:29], v[146:147], v[28:29]
	v_lshlrev_b32_e32 v56, 3, v56
	v_fma_f64 v[22:23], -v[36:37], v[112:113], v[22:23]
	s_mul_i32 s17, s9, 0x108
	ds_write_b64 v56, v[28:29] offset:8192
	ds_read_b128 v[110:113], v91 offset:128
	s_waitcnt lgkmcnt(3)
	v_fma_f64 v[22:23], -v[46:47], v[96:97], v[22:23]
	v_mov_b32_e32 v56, s17
	ds_read_b128 v[100:103], v82 offset:128
	v_fma_f64 v[22:23], -v[48:49], v[120:121], v[22:23]
	ds_read_b128 v[118:121], v56
	s_add_i32 s16, s12, s16
	s_lshl_b32 s16, s16, 3
	v_mov_b32_e32 v200, s16
	ds_read2_b64 v[122:125], v200 offset0:15 offset1:16
	s_waitcnt lgkmcnt(5)
	v_fma_f64 v[22:23], -v[26:27], v[64:65], v[22:23]
	v_fma_f64 v[22:23], -v[28:29], v[148:149], v[22:23]
	s_lshl_b32 s9, s9, 5
	s_waitcnt lgkmcnt(1)
	v_mul_f64 v[56:57], v[118:119], v[22:23]
	v_or_b32_e32 v22, s9, v0
	v_lshlrev_b32_e32 v22, 3, v22
	ds_write_b64 v22, v[56:57] offset:8192
	v_fma_f64 v[64:65], -v[74:75], v[140:141], v[24:25]
	ds_read2_b64 v[138:141], v81 offset0:17 offset1:18
	ds_read2_b64 v[22:25], v86 offset0:15 offset1:16
	v_fma_f64 v[64:65], -v[76:77], v[126:127], v[64:65]
	v_fma_f64 v[64:65], -v[78:79], v[152:153], v[64:65]
	ds_read2_b64 v[146:149], v89 offset0:15 offset1:16
	ds_read2_b64 v[150:153], v86 offset0:17 offset1:18
	s_or_b32 s16, s12, 15
	s_waitcnt lgkmcnt(2)
	v_fma_f64 v[22:23], -v[58:59], v[22:23], v[64:65]
	v_fma_f64 v[22:23], -v[60:61], v[144:145], v[22:23]
	s_waitcnt lgkmcnt(1)
	v_fma_f64 v[22:23], -v[54:55], v[146:147], v[22:23]
	v_fma_f64 v[22:23], -v[50:51], v[92:93], v[22:23]
	;; [unrolled: 1-line block ×6, first 2 shown]
	s_mul_i32 s17, s16, 0x108
	v_fma_f64 v[22:23], -v[48:49], v[130:131], v[22:23]
	v_mov_b32_e32 v64, s17
	v_fma_f64 v[22:23], -v[26:27], v[66:67], v[22:23]
	ds_read2_b64 v[64:67], v64 offset1:1
	ds_read2_b64 v[142:145], v89 offset0:17 offset1:18
	ds_read_b128 v[104:107], v90 offset:128
	v_fma_f64 v[22:23], -v[28:29], v[122:123], v[22:23]
	v_fma_f64 v[22:23], -v[56:57], v[120:121], v[22:23]
	s_lshl_b32 s16, s16, 5
	s_add_i32 s9, s12, s9
	ds_read_b128 v[118:121], v85 offset:128
	s_waitcnt lgkmcnt(3)
	v_mul_f64 v[64:65], v[64:65], v[22:23]
	v_or_b32_e32 v22, s16, v0
	s_lshl_b32 s9, s9, 3
	v_lshlrev_b32_e32 v22, 3, v22
	s_waitcnt lgkmcnt(1)
	v_fma_f64 v[18:19], -v[74:75], v[104:105], v[18:19]
	v_mov_b32_e32 v201, s9
	ds_write_b64 v22, v[64:65] offset:8192
	v_fma_f64 v[18:19], -v[76:77], v[128:129], v[18:19]
	ds_read_b128 v[96:99], v201 offset:128
	ds_read_b128 v[114:117], v90 offset:144
	v_fma_f64 v[18:19], -v[78:79], v[100:101], v[18:19]
	ds_read_b128 v[126:129], v85 offset:144
	ds_read_b128 v[154:157], v87 offset:128
	v_fma_f64 v[18:19], -v[58:59], v[24:25], v[18:19]
	s_waitcnt lgkmcnt(5)
	v_fma_f64 v[18:19], -v[60:61], v[118:119], v[18:19]
	v_fma_f64 v[18:19], -v[54:55], v[148:149], v[18:19]
	;; [unrolled: 1-line block ×3, first 2 shown]
	s_waitcnt lgkmcnt(0)
	v_fma_f64 v[18:19], -v[52:53], v[154:155], v[18:19]
	ds_read_b128 v[146:149], v199 offset:128
	v_fma_f64 v[18:19], -v[34:35], v[108:109], v[18:19]
	v_fma_f64 v[18:19], -v[36:37], v[136:137], v[18:19]
	s_or_b32 s9, s12, 16
	v_fma_f64 v[18:19], -v[46:47], v[110:111], v[18:19]
	v_fma_f64 v[18:19], -v[48:49], v[132:133], v[18:19]
	s_mul_i32 s17, s9, 0x108
	s_waitcnt lgkmcnt(0)
	v_fma_f64 v[18:19], -v[26:27], v[146:147], v[18:19]
	v_mov_b32_e32 v22, s17
	ds_read_b128 v[92:95], v87 offset:144
	v_fma_f64 v[18:19], -v[28:29], v[124:125], v[18:19]
	ds_read_b128 v[122:125], v22
	v_fma_f64 v[18:19], -v[56:57], v[96:97], v[18:19]
	s_lshl_b32 s9, s9, 5
	v_fma_f64 v[18:19], -v[64:65], v[66:67], v[18:19]
	v_or_b32_e32 v66, s9, v0
	s_waitcnt lgkmcnt(0)
	v_mul_f64 v[18:19], v[122:123], v[18:19]
	v_lshlrev_b32_e32 v66, 3, v66
	v_fma_f64 v[20:21], -v[74:75], v[106:107], v[20:21]
	ds_read_b128 v[108:111], v199 offset:144
	ds_write_b64 v66, v[18:19] offset:8192
	ds_read2_b64 v[66:69], v84 offset0:17 offset1:18
	v_fma_f64 v[20:21], -v[76:77], v[138:139], v[20:21]
	v_fma_f64 v[20:21], -v[78:79], v[102:103], v[20:21]
	ds_read_b128 v[22:25], v201 offset:208
	v_fma_f64 v[20:21], -v[58:59], v[150:151], v[20:21]
	ds_read2_b64 v[100:103], v84 offset0:19 offset1:20
	ds_read2_b64 v[104:107], v83 offset0:17 offset1:18
	v_fma_f64 v[20:21], -v[60:61], v[120:121], v[20:21]
	v_fma_f64 v[20:21], -v[54:55], v[142:143], v[20:21]
	ds_read2_b64 v[118:121], v88 offset0:17 offset1:18
	ds_read2_b64 v[130:133], v83 offset0:19 offset1:20
	s_waitcnt lgkmcnt(5)
	v_fma_f64 v[20:21], -v[50:51], v[66:67], v[20:21]
	v_fma_f64 v[20:21], -v[52:53], v[156:157], v[20:21]
	ds_read2_b64 v[134:137], v198 offset0:17 offset1:18
	ds_read2_b64 v[154:157], v88 offset0:19 offset1:20
	s_add_i32 s16, s12, s16
	s_waitcnt lgkmcnt(4)
	v_fma_f64 v[20:21], -v[34:35], v[104:105], v[20:21]
	s_lshl_b32 s16, s16, 3
	s_or_b32 s17, s12, 17
	s_waitcnt lgkmcnt(3)
	v_fma_f64 v[20:21], -v[36:37], v[118:119], v[20:21]
	v_fma_f64 v[20:21], -v[46:47], v[112:113], v[20:21]
	v_mov_b32_e32 v202, s16
	s_mul_i32 s16, s17, 0x108
	ds_read2_b64 v[158:161], v198 offset0:19 offset1:20
	ds_read2_b64 v[162:165], v200 offset0:17 offset1:18
	s_waitcnt lgkmcnt(3)
	v_fma_f64 v[20:21], -v[48:49], v[134:135], v[20:21]
	v_mov_b32_e32 v66, s16
	v_fma_f64 v[20:21], -v[26:27], v[148:149], v[20:21]
	ds_read2_b64 v[146:149], v202 offset0:17 offset1:18
	ds_read2_b64 v[166:169], v200 offset0:19 offset1:20
	ds_read2_b64 v[170:173], v66 offset1:1
	ds_read_b128 v[174:177], v82 offset:144
	v_fma_f64 v[14:15], -v[74:75], v[114:115], v[14:15]
	s_waitcnt lgkmcnt(4)
	v_fma_f64 v[20:21], -v[28:29], v[162:163], v[20:21]
	v_fma_f64 v[14:15], -v[76:77], v[140:141], v[14:15]
	;; [unrolled: 1-line block ×3, first 2 shown]
	s_waitcnt lgkmcnt(0)
	v_fma_f64 v[14:15], -v[78:79], v[174:175], v[14:15]
	v_fma_f64 v[20:21], -v[64:65], v[146:147], v[20:21]
	s_lshl_b32 s16, s17, 5
	v_fma_f64 v[14:15], -v[58:59], v[152:153], v[14:15]
	v_fma_f64 v[20:21], -v[18:19], v[124:125], v[20:21]
	v_or_b32_e32 v66, s16, v0
	v_fma_f64 v[14:15], -v[60:61], v[126:127], v[14:15]
	v_mul_f64 v[20:21], v[170:171], v[20:21]
	v_lshlrev_b32_e32 v66, 3, v66
	v_fma_f64 v[14:15], -v[54:55], v[144:145], v[14:15]
	ds_write_b64 v66, v[20:21] offset:8192
	ds_read_b128 v[112:115], v82 offset:160
	v_fma_f64 v[14:15], -v[50:51], v[68:69], v[14:15]
	ds_read_b128 v[66:69], v91 offset:144
	v_fma_f64 v[14:15], -v[52:53], v[92:93], v[14:15]
	s_add_i32 s9, s12, s9
	v_fma_f64 v[14:15], -v[34:35], v[106:107], v[14:15]
	s_lshl_b32 s9, s9, 3
	v_fma_f64 v[14:15], -v[36:37], v[120:121], v[14:15]
	ds_read_b128 v[104:107], v91 offset:160
	ds_read_b128 v[118:121], v201 offset:144
	v_mov_b32_e32 v203, s9
	s_or_b32 s9, s12, 18
	s_waitcnt lgkmcnt(2)
	v_fma_f64 v[14:15], -v[46:47], v[66:67], v[14:15]
	ds_read_b128 v[122:125], v203 offset:144
	v_fma_f64 v[14:15], -v[48:49], v[136:137], v[14:15]
	s_mul_i32 s17, s9, 0x108
	v_fma_f64 v[14:15], -v[26:27], v[108:109], v[14:15]
	v_mov_b32_e32 v66, s17
	v_fma_f64 v[14:15], -v[28:29], v[164:165], v[14:15]
	s_add_i32 s16, s12, s16
	ds_read_b128 v[138:141], v66
	s_waitcnt lgkmcnt(2)
	v_fma_f64 v[14:15], -v[56:57], v[118:119], v[14:15]
	s_lshl_b32 s16, s16, 3
	v_fma_f64 v[14:15], -v[64:65], v[148:149], v[14:15]
	ds_read2_b64 v[146:149], v81 offset0:19 offset1:20
	v_mov_b32_e32 v204, s16
	ds_read2_b64 v[142:145], v204 offset0:19 offset1:20
	s_waitcnt lgkmcnt(3)
	v_fma_f64 v[14:15], -v[18:19], v[122:123], v[14:15]
	v_fma_f64 v[14:15], -v[20:21], v[172:173], v[14:15]
	s_lshl_b32 s9, s9, 5
	s_waitcnt lgkmcnt(2)
	v_mul_f64 v[66:67], v[138:139], v[14:15]
	v_or_b32_e32 v14, s9, v0
	v_lshlrev_b32_e32 v14, 3, v14
	ds_write_b64 v14, v[66:67] offset:8192
	ds_read2_b64 v[96:99], v202 offset0:19 offset1:20
	ds_read_b128 v[134:137], v201 offset:160
	v_fma_f64 v[92:93], -v[74:75], v[116:117], v[16:17]
	ds_read2_b64 v[116:119], v81 offset0:21 offset1:22
	ds_read2_b64 v[14:17], v86 offset0:19 offset1:20
	s_waitcnt lgkmcnt(6)
	v_fma_f64 v[92:93], -v[76:77], v[146:147], v[92:93]
	ds_read2_b64 v[150:153], v89 offset0:19 offset1:20
	ds_read2_b64 v[162:165], v86 offset0:21 offset1:22
	v_fma_f64 v[92:93], -v[78:79], v[176:177], v[92:93]
	s_or_b32 s16, s12, 19
	s_waitcnt lgkmcnt(2)
	v_fma_f64 v[14:15], -v[58:59], v[14:15], v[92:93]
	v_fma_f64 v[14:15], -v[60:61], v[128:129], v[14:15]
	s_waitcnt lgkmcnt(1)
	v_fma_f64 v[14:15], -v[54:55], v[150:151], v[14:15]
	v_fma_f64 v[14:15], -v[50:51], v[100:101], v[14:15]
	;; [unrolled: 1-line block ×9, first 2 shown]
	s_mul_i32 s17, s16, 0x108
	ds_read2_b64 v[126:129], v89 offset0:21 offset1:22
	v_fma_f64 v[14:15], -v[56:57], v[120:121], v[14:15]
	ds_read_b128 v[120:123], v90 offset:160
	v_mov_b32_e32 v68, s17
	ds_read2_b64 v[92:95], v68 offset1:1
	v_fma_f64 v[14:15], -v[64:65], v[96:97], v[14:15]
	v_fma_f64 v[14:15], -v[18:19], v[124:125], v[14:15]
	;; [unrolled: 1-line block ×4, first 2 shown]
	s_lshl_b32 s16, s16, 5
	s_waitcnt lgkmcnt(1)
	v_fma_f64 v[10:11], -v[74:75], v[120:121], v[10:11]
	s_add_i32 s9, s12, s9
	v_fma_f64 v[10:11], -v[76:77], v[148:149], v[10:11]
	ds_read_b128 v[146:149], v85 offset:160
	s_waitcnt lgkmcnt(1)
	v_mul_f64 v[68:69], v[92:93], v[14:15]
	v_or_b32_e32 v14, s16, v0
	s_lshl_b32 s9, s9, 3
	v_lshlrev_b32_e32 v14, 3, v14
	v_mov_b32_e32 v205, s9
	ds_write_b64 v14, v[68:69] offset:8192
	ds_read_b128 v[108:111], v205 offset:160
	ds_read_b128 v[138:141], v90 offset:176
	v_fma_f64 v[10:11], -v[78:79], v[112:113], v[10:11]
	ds_read_b128 v[170:173], v85 offset:176
	ds_read_b128 v[174:177], v87 offset:160
	v_fma_f64 v[10:11], -v[58:59], v[16:17], v[10:11]
	s_waitcnt lgkmcnt(5)
	v_fma_f64 v[10:11], -v[60:61], v[146:147], v[10:11]
	v_fma_f64 v[10:11], -v[54:55], v[152:153], v[10:11]
	;; [unrolled: 1-line block ×3, first 2 shown]
	s_waitcnt lgkmcnt(0)
	v_fma_f64 v[10:11], -v[52:53], v[174:175], v[10:11]
	v_fma_f64 v[10:11], -v[34:35], v[132:133], v[10:11]
	ds_read_b128 v[130:133], v199 offset:160
	v_fma_f64 v[10:11], -v[36:37], v[156:157], v[10:11]
	ds_read_b128 v[154:157], v203 offset:160
	v_fma_f64 v[10:11], -v[46:47], v[104:105], v[10:11]
	v_fma_f64 v[10:11], -v[48:49], v[160:161], v[10:11]
	s_waitcnt lgkmcnt(1)
	v_fma_f64 v[10:11], -v[26:27], v[130:131], v[10:11]
	v_fma_f64 v[10:11], -v[28:29], v[168:169], v[10:11]
	s_or_b32 s9, s12, 20
	v_fma_f64 v[10:11], -v[56:57], v[134:135], v[10:11]
	v_fma_f64 v[10:11], -v[64:65], v[98:99], v[10:11]
	s_mul_i32 s17, s9, 0x108
	s_waitcnt lgkmcnt(0)
	v_fma_f64 v[10:11], -v[18:19], v[154:155], v[10:11]
	v_mov_b32_e32 v14, s17
	ds_read_b128 v[100:103], v87 offset:176
	v_fma_f64 v[10:11], -v[20:21], v[144:145], v[10:11]
	ds_read_b128 v[142:145], v14
	v_fma_f64 v[10:11], -v[66:67], v[108:109], v[10:11]
	s_lshl_b32 s9, s9, 5
	v_fma_f64 v[10:11], -v[68:69], v[94:95], v[10:11]
	v_or_b32_e32 v92, s9, v0
	s_waitcnt lgkmcnt(0)
	v_mul_f64 v[10:11], v[142:143], v[10:11]
	v_lshlrev_b32_e32 v92, 3, v92
	v_fma_f64 v[12:13], -v[74:75], v[122:123], v[12:13]
	ds_read_b128 v[150:153], v199 offset:176
	ds_write_b64 v92, v[10:11] offset:8192
	ds_read2_b64 v[92:95], v84 offset0:21 offset1:22
	v_fma_f64 v[12:13], -v[76:77], v[116:117], v[12:13]
	v_fma_f64 v[12:13], -v[78:79], v[114:115], v[12:13]
	ds_read_b128 v[96:99], v203 offset:176
	ds_read_b128 v[14:17], v205 offset:208
	v_fma_f64 v[12:13], -v[58:59], v[162:163], v[12:13]
	ds_read2_b64 v[112:115], v84 offset0:23 offset1:24
	ds_read2_b64 v[120:123], v83 offset0:21 offset1:22
	v_fma_f64 v[12:13], -v[60:61], v[148:149], v[12:13]
	v_fma_f64 v[12:13], -v[54:55], v[126:127], v[12:13]
	ds_read2_b64 v[124:127], v88 offset0:21 offset1:22
	ds_read2_b64 v[146:149], v83 offset0:23 offset1:24
	s_waitcnt lgkmcnt(6)
	v_fma_f64 v[12:13], -v[50:51], v[92:93], v[12:13]
	v_fma_f64 v[12:13], -v[52:53], v[176:177], v[12:13]
	ds_read2_b64 v[158:161], v88 offset0:23 offset1:24
	ds_read2_b64 v[166:169], v198 offset0:21 offset1:22
	s_waitcnt lgkmcnt(4)
	v_fma_f64 v[12:13], -v[34:35], v[120:121], v[12:13]
	s_waitcnt lgkmcnt(3)
	v_fma_f64 v[12:13], -v[36:37], v[124:125], v[12:13]
	v_fma_f64 v[12:13], -v[46:47], v[106:107], v[12:13]
	ds_read2_b64 v[104:107], v198 offset0:23 offset1:24
	ds_read2_b64 v[174:177], v200 offset0:21 offset1:22
	s_waitcnt lgkmcnt(2)
	v_fma_f64 v[12:13], -v[48:49], v[166:167], v[12:13]
	v_fma_f64 v[12:13], -v[26:27], v[132:133], v[12:13]
	ds_read2_b64 v[130:133], v202 offset0:21 offset1:22
	ds_read2_b64 v[178:181], v200 offset0:23 offset1:24
	s_add_i32 s16, s12, s16
	s_waitcnt lgkmcnt(2)
	v_fma_f64 v[12:13], -v[28:29], v[174:175], v[12:13]
	s_lshl_b32 s16, s16, 3
	v_fma_f64 v[12:13], -v[56:57], v[136:137], v[12:13]
	s_waitcnt lgkmcnt(1)
	v_fma_f64 v[12:13], -v[64:65], v[130:131], v[12:13]
	v_mov_b32_e32 v206, s16
	ds_read2_b64 v[134:137], v202 offset0:23 offset1:24
	ds_read2_b64 v[182:185], v204 offset0:21 offset1:22
	v_fma_f64 v[12:13], -v[18:19], v[156:157], v[12:13]
	ds_read2_b64 v[154:157], v206 offset0:21 offset1:22
	ds_read2_b64 v[186:189], v204 offset0:23 offset1:24
	ds_read_b128 v[194:197], v82 offset:176
	v_fma_f64 v[6:7], -v[74:75], v[138:139], v[6:7]
	v_fma_f64 v[6:7], -v[76:77], v[118:119], v[6:7]
	ds_read_b128 v[116:119], v82 offset:192
	s_or_b32 s17, s12, 21
	s_waitcnt lgkmcnt(1)
	v_fma_f64 v[6:7], -v[78:79], v[194:195], v[6:7]
	s_mul_i32 s16, s17, 0x108
	v_fma_f64 v[6:7], -v[58:59], v[164:165], v[6:7]
	v_mov_b32_e32 v92, s16
	v_fma_f64 v[6:7], -v[60:61], v[170:171], v[6:7]
	ds_read2_b64 v[190:193], v92 offset1:1
	v_fma_f64 v[6:7], -v[54:55], v[128:129], v[6:7]
	v_fma_f64 v[12:13], -v[20:21], v[182:183], v[12:13]
	;; [unrolled: 1-line block ×6, first 2 shown]
	s_lshl_b32 s16, s17, 5
	v_fma_f64 v[6:7], -v[34:35], v[122:123], v[6:7]
	v_fma_f64 v[12:13], -v[10:11], v[144:145], v[12:13]
	;; [unrolled: 1-line block ×3, first 2 shown]
	ds_read_b128 v[124:127], v201 offset:176
	v_or_b32_e32 v92, s16, v0
	s_waitcnt lgkmcnt(1)
	v_mul_f64 v[12:13], v[190:191], v[12:13]
	v_lshlrev_b32_e32 v92, 3, v92
	ds_write_b64 v92, v[12:13] offset:8192
	ds_read_b128 v[92:95], v91 offset:176
	ds_read_b128 v[120:123], v91 offset:192
	;; [unrolled: 1-line block ×3, first 2 shown]
	s_add_i32 s9, s12, s9
	s_lshl_b32 s9, s9, 3
	s_waitcnt lgkmcnt(2)
	v_fma_f64 v[6:7], -v[46:47], v[92:93], v[6:7]
	v_fma_f64 v[6:7], -v[48:49], v[168:169], v[6:7]
	;; [unrolled: 1-line block ×6, first 2 shown]
	s_add_i32 s16, s12, s16
	v_mov_b32_e32 v207, s9
	s_or_b32 s9, s12, 22
	v_fma_f64 v[6:7], -v[18:19], v[96:97], v[6:7]
	s_lshl_b32 s16, s16, 3
	ds_read2_b64 v[108:111], v206 offset0:23 offset1:24
	ds_read_b128 v[142:145], v207 offset:176
	ds_read_b128 v[128:131], v201 offset:192
	;; [unrolled: 1-line block ×3, first 2 shown]
	v_fma_f64 v[6:7], -v[20:21], v[184:185], v[6:7]
	s_mul_i32 s17, s9, 0x108
	v_mov_b32_e32 v201, s16
	v_mov_b32_e32 v82, s17
	ds_read2_b64 v[174:177], v201 offset0:23 offset1:24
	s_waitcnt lgkmcnt(5)
	v_fma_f64 v[6:7], -v[66:67], v[162:163], v[6:7]
	v_fma_f64 v[6:7], -v[68:69], v[156:157], v[6:7]
	ds_read_b128 v[154:157], v82
	ds_read2_b64 v[182:185], v81 offset0:23 offset1:24
	s_waitcnt lgkmcnt(5)
	v_fma_f64 v[6:7], -v[10:11], v[142:143], v[6:7]
	v_fma_f64 v[6:7], -v[12:13], v[192:193], v[6:7]
	s_lshl_b32 s9, s9, 5
	s_waitcnt lgkmcnt(1)
	v_mul_f64 v[162:163], v[154:155], v[6:7]
	v_or_b32_e32 v6, s9, v0
	v_lshlrev_b32_e32 v6, 3, v6
	ds_write_b64 v6, v[162:163] offset:8192
	v_fma_f64 v[92:93], -v[74:75], v[140:141], v[8:9]
	ds_read2_b64 v[6:9], v81 offset0:25 offset1:26
	ds_read2_b64 v[138:141], v86 offset0:23 offset1:24
	s_waitcnt lgkmcnt(3)
	v_fma_f64 v[92:93], -v[76:77], v[182:183], v[92:93]
	v_fma_f64 v[92:93], -v[78:79], v[196:197], v[92:93]
	ds_read2_b64 v[190:193], v89 offset0:23 offset1:24
	ds_read2_b64 v[194:197], v86 offset0:25 offset1:26
	s_or_b32 s16, s12, 23
	s_waitcnt lgkmcnt(2)
	v_fma_f64 v[92:93], -v[58:59], v[138:139], v[92:93]
	v_fma_f64 v[92:93], -v[60:61], v[172:173], v[92:93]
	s_waitcnt lgkmcnt(1)
	v_fma_f64 v[92:93], -v[54:55], v[190:191], v[92:93]
	v_fma_f64 v[92:93], -v[50:51], v[112:113], v[92:93]
	;; [unrolled: 1-line block ×15, first 2 shown]
	s_mul_i32 s17, s16, 0x108
	v_fma_f64 v[92:93], -v[10:11], v[144:145], v[92:93]
	v_mov_b32_e32 v81, s17
	v_fma_f64 v[96:97], -v[12:13], v[174:175], v[92:93]
	ds_read2_b64 v[92:95], v81 offset1:1
	ds_read_b128 v[124:127], v85 offset:192
	v_fma_f64 v[100:101], -v[162:163], v[156:157], v[96:97]
	s_lshl_b32 s16, s16, 5
	s_add_i32 s9, s12, s9
	s_waitcnt lgkmcnt(1)
	v_mul_f64 v[158:159], v[92:93], v[100:101]
	ds_read_b128 v[100:103], v90 offset:192
	v_or_b32_e32 v82, s16, v0
	s_lshl_b32 s9, s9, 3
	v_lshlrev_b32_e32 v82, 3, v82
	v_mov_b32_e32 v81, s9
	s_waitcnt lgkmcnt(0)
	v_fma_f64 v[2:3], -v[74:75], v[100:101], v[2:3]
	v_fma_f64 v[2:3], -v[76:77], v[184:185], v[2:3]
	ds_write_b64 v82, v[158:159] offset:8192
	v_fma_f64 v[2:3], -v[78:79], v[116:117], v[2:3]
	ds_read2_b64 v[170:173], v89 offset0:25 offset1:26
	ds_read_b128 v[96:99], v81 offset:192
	ds_read_b128 v[90:93], v90 offset:208
	v_fma_f64 v[2:3], -v[58:59], v[140:141], v[2:3]
	ds_read_b128 v[132:135], v85 offset:208
	ds_read_b128 v[138:141], v87 offset:192
	v_fma_f64 v[2:3], -v[60:61], v[124:125], v[2:3]
	v_fma_f64 v[2:3], -v[54:55], v[192:193], v[2:3]
	;; [unrolled: 1-line block ×3, first 2 shown]
	ds_read_b128 v[142:145], v199 offset:192
	s_waitcnt lgkmcnt(1)
	v_fma_f64 v[2:3], -v[52:53], v[138:139], v[2:3]
	v_fma_f64 v[2:3], -v[34:35], v[148:149], v[2:3]
	;; [unrolled: 1-line block ×5, first 2 shown]
	ds_read_b128 v[104:107], v199 offset:208
	ds_read_b128 v[146:149], v203 offset:192
	s_waitcnt lgkmcnt(2)
	v_fma_f64 v[2:3], -v[26:27], v[142:143], v[2:3]
	v_fma_f64 v[2:3], -v[28:29], v[180:181], v[2:3]
	;; [unrolled: 1-line block ×4, first 2 shown]
	ds_read_b128 v[136:139], v203 offset:208
	ds_read_b128 v[150:153], v207 offset:192
	s_or_b32 s9, s12, 24
	s_waitcnt lgkmcnt(2)
	v_fma_f64 v[2:3], -v[18:19], v[146:147], v[2:3]
	v_fma_f64 v[2:3], -v[20:21], v[188:189], v[2:3]
	s_mul_i32 s17, s9, 0x108
	v_fma_f64 v[2:3], -v[66:67], v[166:167], v[2:3]
	v_mov_b32_e32 v82, s17
	v_fma_f64 v[2:3], -v[68:69], v[110:111], v[2:3]
	ds_read_b128 v[108:111], v207 offset:208
	ds_read_b128 v[154:157], v82
	s_waitcnt lgkmcnt(2)
	v_fma_f64 v[2:3], -v[10:11], v[150:151], v[2:3]
	v_fma_f64 v[2:3], -v[12:13], v[176:177], v[2:3]
	;; [unrolled: 1-line block ×4, first 2 shown]
	ds_read_b128 v[94:97], v81 offset:208
	s_lshl_b32 s9, s9, 5
	s_waitcnt lgkmcnt(1)
	v_mul_f64 v[154:155], v[154:155], v[2:3]
	v_or_b32_e32 v2, s9, v0
	v_lshlrev_b32_e32 v2, 3, v2
	ds_write_b64 v2, v[154:155] offset:8192
	v_fma_f64 v[2:3], -v[74:75], v[102:103], v[4:5]
	v_fma_f64 v[2:3], -v[76:77], v[6:7], v[2:3]
	;; [unrolled: 1-line block ×3, first 2 shown]
	ds_read_b128 v[112:115], v87 offset:208
	v_fma_f64 v[6:7], -v[58:59], v[194:195], v[2:3]
	ds_read2_b64 v[2:5], v84 offset0:25 offset1:26
	ds_read_b64 v[160:161], v84 offset:216
	ds_read2_b64 v[84:87], v83 offset0:25 offset1:26
	v_fma_f64 v[6:7], -v[60:61], v[126:127], v[6:7]
	v_fma_f64 v[6:7], -v[54:55], v[170:171], v[6:7]
	s_add_i32 s16, s12, s16
	s_waitcnt lgkmcnt(2)
	v_fma_f64 v[2:3], -v[50:51], v[2:3], v[6:7]
	v_fma_f64 v[2:3], -v[52:53], v[140:141], v[2:3]
	ds_read2_b64 v[100:103], v88 offset0:25 offset1:26
	ds_read_b64 v[6:7], v83 offset:216
	s_waitcnt lgkmcnt(2)
	v_fma_f64 v[2:3], -v[34:35], v[84:85], v[2:3]
	ds_read_b64 v[88:89], v88 offset:216
	ds_read2_b64 v[82:85], v198 offset0:25 offset1:26
	ds_read_b64 v[164:165], v198 offset:216
	ds_read2_b64 v[116:119], v200 offset0:25 offset1:26
	s_waitcnt lgkmcnt(5)
	v_fma_f64 v[2:3], -v[36:37], v[100:101], v[2:3]
	v_fma_f64 v[2:3], -v[46:47], v[122:123], v[2:3]
	s_lshl_b32 s16, s16, 3
	s_waitcnt lgkmcnt(2)
	v_fma_f64 v[2:3], -v[48:49], v[82:83], v[2:3]
	ds_read_b64 v[82:83], v200 offset:216
	ds_read2_b64 v[120:123], v202 offset0:25 offset1:26
	v_fma_f64 v[2:3], -v[26:27], v[144:145], v[2:3]
	s_waitcnt lgkmcnt(2)
	v_fma_f64 v[2:3], -v[28:29], v[116:117], v[2:3]
	ds_read_b64 v[116:117], v202 offset:216
	ds_read2_b64 v[124:127], v204 offset0:25 offset1:26
	v_fma_f64 v[2:3], -v[56:57], v[130:131], v[2:3]
	s_waitcnt lgkmcnt(2)
	v_fma_f64 v[2:3], -v[64:65], v[120:121], v[2:3]
	v_fma_f64 v[2:3], -v[18:19], v[148:149], v[2:3]
	ds_read2_b64 v[128:131], v206 offset0:25 offset1:26
	ds_read_b64 v[120:121], v204 offset:216
	s_waitcnt lgkmcnt(2)
	v_fma_f64 v[2:3], -v[20:21], v[124:125], v[2:3]
	ds_read_b64 v[124:125], v206 offset:216
	ds_read2_b64 v[140:143], v201 offset0:25 offset1:26
	v_fma_f64 v[2:3], -v[66:67], v[168:169], v[2:3]
	s_or_b32 s17, s12, 25
	s_waitcnt lgkmcnt(3)
	v_fma_f64 v[2:3], -v[68:69], v[128:129], v[2:3]
	v_fma_f64 v[2:3], -v[10:11], v[152:153], v[2:3]
	v_mov_b32_e32 v81, s16
	s_mul_i32 s16, s17, 0x108
	ds_read2_b64 v[144:147], v81 offset0:25 offset1:26
	ds_read_b64 v[128:129], v201 offset:216
	s_waitcnt lgkmcnt(2)
	v_fma_f64 v[2:3], -v[12:13], v[140:141], v[2:3]
	ds_read_b64 v[140:141], v81 offset:216
	v_mov_b32_e32 v81, s16
	v_fma_f64 v[2:3], -v[162:163], v[98:99], v[2:3]
	ds_read2_b64 v[98:101], v81 offset1:1
	s_waitcnt lgkmcnt(3)
	v_fma_f64 v[2:3], -v[158:159], v[144:145], v[2:3]
	v_fma_f64 v[2:3], -v[154:155], v[156:157], v[2:3]
	s_lshl_b32 s16, s17, 5
	s_add_i32 s9, s12, s9
	s_waitcnt lgkmcnt(0)
	v_mul_f64 v[98:99], v[98:99], v[2:3]
	v_or_b32_e32 v2, s16, v0
	v_lshlrev_b32_e32 v2, 3, v2
	ds_write_b64 v2, v[98:99] offset:8192
	v_fma_f64 v[2:3], -v[74:75], v[90:91], v[72:73]
	v_fma_f64 v[2:3], -v[76:77], v[8:9], v[2:3]
	;; [unrolled: 1-line block ×17, first 2 shown]
	s_lshl_b32 s9, s9, 3
	v_fma_f64 v[2:3], -v[20:21], v[126:127], v[2:3]
	v_mov_b32_e32 v81, s9
	v_fma_f64 v[2:3], -v[66:67], v[14:15], v[2:3]
	ds_read_b128 v[148:151], v81 offset:208
	v_fma_f64 v[2:3], -v[68:69], v[130:131], v[2:3]
	v_fma_f64 v[2:3], -v[10:11], v[108:109], v[2:3]
	;; [unrolled: 1-line block ×3, first 2 shown]
	s_or_b32 s9, s12, 26
	v_fma_f64 v[2:3], -v[162:163], v[94:95], v[2:3]
	s_or_b32 s8, s12, 28
	v_fma_f64 v[2:3], -v[158:159], v[146:147], v[2:3]
	s_add_i32 s12, s12, s16
	s_mul_i32 s16, s9, 0x108
	s_waitcnt lgkmcnt(0)
	v_fma_f64 v[8:9], -v[154:155], v[148:149], v[2:3]
	v_mov_b32_e32 v2, s16
	ds_read_b128 v[2:5], v2
	v_fma_f64 v[8:9], -v[98:99], v[100:101], v[8:9]
	s_lshl_b32 s12, s12, 3
	v_mov_b32_e32 v14, s12
	ds_read_b64 v[14:15], v14 offset:216
	s_waitcnt lgkmcnt(1)
	v_mul_f64 v[2:3], v[2:3], v[8:9]
	v_fma_f64 v[8:9], -v[74:75], v[92:93], v[70:71]
	v_fma_f64 v[8:9], -v[76:77], v[62:63], v[8:9]
	;; [unrolled: 1-line block ×20, first 2 shown]
	v_lshl_or_b32 v1, s9, 8, v1
	v_fma_f64 v[6:7], -v[10:11], v[110:111], v[6:7]
	s_mul_i32 s9, s13, 0x108
	ds_write_b64 v1, v[2:3] offset:8192
	v_fma_f64 v[6:7], -v[12:13], v[128:129], v[6:7]
	v_mov_b32_e32 v1, s9
	ds_read_b64 v[8:9], v1
	v_fma_f64 v[6:7], -v[162:163], v[96:97], v[6:7]
	v_fma_f64 v[6:7], -v[158:159], v[140:141], v[6:7]
	;; [unrolled: 1-line block ×3, first 2 shown]
	s_waitcnt lgkmcnt(2)
	v_fma_f64 v[6:7], -v[98:99], v[14:15], v[6:7]
	v_fma_f64 v[2:3], -v[2:3], v[4:5], v[6:7]
	s_waitcnt lgkmcnt(0)
	v_mul_f64 v[2:3], v[8:9], v[2:3]
	s_mov_b32 s12, s8
	ds_write_b64 v80, v[2:3]
.LBB104_49:
	s_cmp_ge_i32 s12, s30
	s_cbranch_scc1 .LBB104_60
; %bb.50:
	v_mov_b32_e32 v1, 0x2000
	s_add_i32 s8, s12, -1
	s_lshl_b32 s9, s12, 3
	v_lshl_or_b32 v1, v0, 3, v1
	s_mov_b32 s13, 0
	v_lshlrev_b32_e32 v4, 3, v0
	s_mov_b32 s16, s12
	s_branch .LBB104_52
.LBB104_51:                             ;   in Loop: Header=BB104_52 Depth=1
	s_mul_i32 s17, s12, 0x108
	v_mov_b32_e32 v6, s17
	ds_read_b64 v[6:7], v6
	s_add_i32 s12, s12, 1
	s_add_i32 s13, s13, 1
	;; [unrolled: 1-line block ×3, first 2 shown]
	v_add_u16_e64 v8, s16, 1
	v_add_u32_e32 v5, 0x2000, v5
	s_waitcnt lgkmcnt(0)
	v_mul_f64 v[2:3], v[6:7], v[2:3]
	s_cmp_ge_i32 s12, s30
	v_readfirstlane_b32 s16, v8
	ds_write_b64 v5, v[2:3]
	s_cbranch_scc1 .LBB104_60
.LBB104_52:                             ; =>This Loop Header: Depth=1
                                        ;     Child Loop BB104_55 Depth 2
                                        ;     Child Loop BB104_59 Depth 2
	v_lshl_or_b32 v5, s12, 8, v4
	ds_read_b64 v[2:3], v5 offset:8192
	s_cmp_eq_u32 s12, 0
	s_cbranch_scc1 .LBB104_51
; %bb.53:                               ;   in Loop: Header=BB104_52 Depth=1
	s_add_i32 s17, s8, s13
	s_cmp_lt_u32 s17, 7
	s_cbranch_scc1 .LBB104_57
; %bb.54:                               ;   in Loop: Header=BB104_52 Depth=1
	s_and_b32 s17, s12, -8
	s_mov_b32 s18, 0
	v_mov_b32_e32 v6, v1
	s_mov_b32 s19, s9
.LBB104_55:                             ;   Parent Loop BB104_52 Depth=1
                                        ; =>  This Inner Loop Header: Depth=2
	ds_read2_b64 v[8:11], v6 offset1:32
	v_mov_b32_e32 v7, s19
	ds_read2_b64 v[12:15], v6 offset0:64 offset1:96
	ds_read2_b64 v[16:19], v6 offset0:128 offset1:160
	;; [unrolled: 1-line block ×3, first 2 shown]
	ds_read2_b64 v[24:27], v7 offset1:32
	ds_read2_b64 v[28:31], v7 offset0:64 offset1:96
	ds_read2_b64 v[32:35], v7 offset0:128 offset1:160
	ds_read2_b64 v[36:39], v7 offset0:192 offset1:224
	s_add_i32 s18, s18, 8
	s_waitcnt lgkmcnt(3)
	v_fma_f64 v[2:3], -v[8:9], v[24:25], v[2:3]
	v_fma_f64 v[2:3], -v[10:11], v[26:27], v[2:3]
	s_waitcnt lgkmcnt(2)
	v_fma_f64 v[2:3], -v[12:13], v[28:29], v[2:3]
	v_fma_f64 v[2:3], -v[14:15], v[30:31], v[2:3]
	;; [unrolled: 3-line block ×3, first 2 shown]
	s_addk_i32 s19, 0x800
	s_waitcnt lgkmcnt(0)
	v_fma_f64 v[2:3], -v[20:21], v[36:37], v[2:3]
	v_add_u32_e32 v6, 0x800, v6
	s_cmp_lg_u32 s17, s18
	v_fma_f64 v[2:3], -v[22:23], v[38:39], v[2:3]
	s_cbranch_scc1 .LBB104_55
; %bb.56:                               ;   in Loop: Header=BB104_52 Depth=1
	s_and_b32 s18, s12, 7
	s_cmp_eq_u32 s18, 0
	s_cbranch_scc0 .LBB104_58
	s_branch .LBB104_51
.LBB104_57:                             ;   in Loop: Header=BB104_52 Depth=1
	s_mov_b32 s17, 0
	s_and_b32 s18, s12, 7
	s_cmp_eq_u32 s18, 0
	s_cbranch_scc1 .LBB104_51
.LBB104_58:                             ;   in Loop: Header=BB104_52 Depth=1
	s_and_b32 s18, s16, 7
	s_lshl_b32 s17, s17, 8
.LBB104_59:                             ;   Parent Loop BB104_52 Depth=1
                                        ; =>  This Inner Loop Header: Depth=2
	s_add_i32 s19, s9, s17
	v_add_u32_e32 v6, s17, v1
	v_mov_b32_e32 v8, s19
	ds_read_b64 v[6:7], v6
	ds_read_b64 v[8:9], v8
	s_addk_i32 s17, 0x100
	s_add_i32 s18, s18, -1
	s_cmp_lg_u32 s18, 0
	s_waitcnt lgkmcnt(0)
	v_fma_f64 v[2:3], -v[6:7], v[8:9], v[2:3]
	s_cbranch_scc1 .LBB104_59
	s_branch .LBB104_51
.LBB104_60:
	s_waitcnt lgkmcnt(0)
	; wave barrier
	s_waitcnt lgkmcnt(0)
	s_and_saveexec_b64 s[8:9], s[6:7]
	s_cbranch_execz .LBB104_67
; %bb.61:
	s_cmp_lt_i32 s10, 8
	s_mov_b32 s6, 0
	s_cbranch_scc1 .LBB104_64
; %bb.62:
	v_mad_i64_i32 v[2:3], s[6:7], s22, v0, 0
	v_lshlrev_b64 v[2:3], 3, v[2:3]
	v_mov_b32_e32 v4, s24
	v_add_co_u32_e32 v1, vcc, s11, v2
	v_addc_co_u32_e32 v2, vcc, v4, v3, vcc
	v_mov_b32_e32 v3, 0x2000
	s_lshl_b32 s6, s30, 3
	v_lshl_or_b32 v3, v0, 3, v3
	s_and_b32 s7, s6, 0x1c0
	s_mov_b32 s6, 0
	s_mov_b64 s[8:9], 0
.LBB104_63:                             ; =>This Inner Loop Header: Depth=1
	ds_read2_b64 v[4:7], v3 offset1:32
	ds_read2_b64 v[8:11], v3 offset0:64 offset1:96
	ds_read2_b64 v[12:15], v3 offset0:128 offset1:160
	;; [unrolled: 1-line block ×3, first 2 shown]
	s_add_i32 s6, s6, 8
	v_add_co_u32_e32 v20, vcc, s8, v1
	s_add_u32 s8, s8, 64
	v_mov_b32_e32 v21, s9
	s_addc_u32 s9, s9, 0
	v_add_u32_e32 v3, 0x800, v3
	v_addc_co_u32_e32 v21, vcc, v2, v21, vcc
	s_cmp_lg_u32 s7, s8
	s_waitcnt lgkmcnt(3)
	global_store_dwordx4 v[20:21], v[4:7], off
	s_waitcnt lgkmcnt(2)
	global_store_dwordx4 v[20:21], v[8:11], off offset:16
	s_waitcnt lgkmcnt(1)
	global_store_dwordx4 v[20:21], v[12:15], off offset:32
	;; [unrolled: 2-line block ×3, first 2 shown]
	s_cbranch_scc1 .LBB104_63
.LBB104_64:
	s_and_b32 s8, s30, 7
	s_cmp_eq_u32 s8, 0
	s_mov_b32 s7, 0
	s_cbranch_scc1 .LBB104_67
; %bb.65:
	s_lshl_b64 s[10:11], s[14:15], 3
	v_lshlrev_b32_e32 v2, 3, v0
	v_mov_b32_e32 v0, s11
	v_add_co_u32_e32 v3, vcc, s10, v2
	s_lshl_b64 s[10:11], s[6:7], 3
	s_add_u32 s2, s2, s10
	s_addc_u32 s3, s3, s11
	s_add_u32 s2, s2, s4
	s_addc_u32 s3, s3, s5
	;; [unrolled: 2-line block ×3, first 2 shown]
	v_addc_co_u32_e32 v4, vcc, 0, v0, vcc
	v_pk_mov_b32 v[0:1], s[0:1], s[0:1] op_sel:[0,1]
	v_mad_u64_u32 v[0:1], s[0:1], v3, s22, v[0:1]
	v_mul_lo_u32 v3, v3, s23
	v_mul_lo_u32 v4, v4, s22
	v_lshl_or_b32 v2, s6, 8, v2
	v_add3_u32 v1, v4, v1, v3
	v_add_u32_e32 v2, 0x2000, v2
.LBB104_66:                             ; =>This Inner Loop Header: Depth=1
	ds_read_b64 v[4:5], v2
	s_add_i32 s8, s8, -1
	v_add_u32_e32 v2, 0x100, v2
	s_cmp_lg_u32 s8, 0
	s_waitcnt lgkmcnt(0)
	global_store_dwordx2 v[0:1], v[4:5], off
	v_add_co_u32_e32 v0, vcc, 8, v0
	v_addc_co_u32_e32 v1, vcc, 0, v1, vcc
	s_cbranch_scc1 .LBB104_66
.LBB104_67:
	s_endpgm
	.section	.rodata,"a",@progbits
	.p2align	6, 0x0
	.amdhsa_kernel _ZL38rocblas_trsm_small_left_device_sharedBILi32ELi32ELb1EddPKdPdEv13rocblas_fill_18rocblas_operation_17rocblas_diagonal_iiT3_T4_lilT5_lili
		.amdhsa_group_segment_fixed_size 16384
		.amdhsa_private_segment_fixed_size 0
		.amdhsa_kernarg_size 360
		.amdhsa_user_sgpr_count 6
		.amdhsa_user_sgpr_private_segment_buffer 1
		.amdhsa_user_sgpr_dispatch_ptr 0
		.amdhsa_user_sgpr_queue_ptr 0
		.amdhsa_user_sgpr_kernarg_segment_ptr 1
		.amdhsa_user_sgpr_dispatch_id 0
		.amdhsa_user_sgpr_flat_scratch_init 0
		.amdhsa_user_sgpr_kernarg_preload_length 0
		.amdhsa_user_sgpr_kernarg_preload_offset 0
		.amdhsa_user_sgpr_private_segment_size 0
		.amdhsa_uses_dynamic_stack 0
		.amdhsa_system_sgpr_private_segment_wavefront_offset 0
		.amdhsa_system_sgpr_workgroup_id_x 1
		.amdhsa_system_sgpr_workgroup_id_y 0
		.amdhsa_system_sgpr_workgroup_id_z 1
		.amdhsa_system_sgpr_workgroup_info 0
		.amdhsa_system_vgpr_workitem_id 0
		.amdhsa_next_free_vgpr 210
		.amdhsa_next_free_sgpr 49
		.amdhsa_accum_offset 212
		.amdhsa_reserve_vcc 1
		.amdhsa_reserve_flat_scratch 0
		.amdhsa_float_round_mode_32 0
		.amdhsa_float_round_mode_16_64 0
		.amdhsa_float_denorm_mode_32 3
		.amdhsa_float_denorm_mode_16_64 3
		.amdhsa_dx10_clamp 1
		.amdhsa_ieee_mode 1
		.amdhsa_fp16_overflow 0
		.amdhsa_tg_split 0
		.amdhsa_exception_fp_ieee_invalid_op 0
		.amdhsa_exception_fp_denorm_src 0
		.amdhsa_exception_fp_ieee_div_zero 0
		.amdhsa_exception_fp_ieee_overflow 0
		.amdhsa_exception_fp_ieee_underflow 0
		.amdhsa_exception_fp_ieee_inexact 0
		.amdhsa_exception_int_div_zero 0
	.end_amdhsa_kernel
	.section	.text._ZL38rocblas_trsm_small_left_device_sharedBILi32ELi32ELb1EddPKdPdEv13rocblas_fill_18rocblas_operation_17rocblas_diagonal_iiT3_T4_lilT5_lili,"axG",@progbits,_ZL38rocblas_trsm_small_left_device_sharedBILi32ELi32ELb1EddPKdPdEv13rocblas_fill_18rocblas_operation_17rocblas_diagonal_iiT3_T4_lilT5_lili,comdat
.Lfunc_end104:
	.size	_ZL38rocblas_trsm_small_left_device_sharedBILi32ELi32ELb1EddPKdPdEv13rocblas_fill_18rocblas_operation_17rocblas_diagonal_iiT3_T4_lilT5_lili, .Lfunc_end104-_ZL38rocblas_trsm_small_left_device_sharedBILi32ELi32ELb1EddPKdPdEv13rocblas_fill_18rocblas_operation_17rocblas_diagonal_iiT3_T4_lilT5_lili
                                        ; -- End function
	.section	.AMDGPU.csdata,"",@progbits
; Kernel info:
; codeLenInByte = 38564
; NumSgprs: 53
; NumVgprs: 210
; NumAgprs: 0
; TotalNumVgprs: 210
; ScratchSize: 0
; MemoryBound: 0
; FloatMode: 240
; IeeeMode: 1
; LDSByteSize: 16384 bytes/workgroup (compile time only)
; SGPRBlocks: 6
; VGPRBlocks: 26
; NumSGPRsForWavesPerEU: 53
; NumVGPRsForWavesPerEU: 210
; AccumOffset: 212
; Occupancy: 1
; WaveLimiterHint : 0
; COMPUTE_PGM_RSRC2:SCRATCH_EN: 0
; COMPUTE_PGM_RSRC2:USER_SGPR: 6
; COMPUTE_PGM_RSRC2:TRAP_HANDLER: 0
; COMPUTE_PGM_RSRC2:TGID_X_EN: 1
; COMPUTE_PGM_RSRC2:TGID_Y_EN: 0
; COMPUTE_PGM_RSRC2:TGID_Z_EN: 1
; COMPUTE_PGM_RSRC2:TIDIG_COMP_CNT: 0
; COMPUTE_PGM_RSRC3_GFX90A:ACCUM_OFFSET: 52
; COMPUTE_PGM_RSRC3_GFX90A:TG_SPLIT: 0
	.section	.text._ZL30rocblas_trsm_small_left_deviceILi32ELi32ELb1EddPKdPdEv13rocblas_fill_18rocblas_operation_17rocblas_diagonal_iiT3_T4_lilT5_lili,"axG",@progbits,_ZL30rocblas_trsm_small_left_deviceILi32ELi32ELb1EddPKdPdEv13rocblas_fill_18rocblas_operation_17rocblas_diagonal_iiT3_T4_lilT5_lili,comdat
	.globl	_ZL30rocblas_trsm_small_left_deviceILi32ELi32ELb1EddPKdPdEv13rocblas_fill_18rocblas_operation_17rocblas_diagonal_iiT3_T4_lilT5_lili ; -- Begin function _ZL30rocblas_trsm_small_left_deviceILi32ELi32ELb1EddPKdPdEv13rocblas_fill_18rocblas_operation_17rocblas_diagonal_iiT3_T4_lilT5_lili
	.p2align	8
	.type	_ZL30rocblas_trsm_small_left_deviceILi32ELi32ELb1EddPKdPdEv13rocblas_fill_18rocblas_operation_17rocblas_diagonal_iiT3_T4_lilT5_lili,@function
_ZL30rocblas_trsm_small_left_deviceILi32ELi32ELb1EddPKdPdEv13rocblas_fill_18rocblas_operation_17rocblas_diagonal_iiT3_T4_lilT5_lili: ; @_ZL30rocblas_trsm_small_left_deviceILi32ELi32ELb1EddPKdPdEv13rocblas_fill_18rocblas_operation_17rocblas_diagonal_iiT3_T4_lilT5_lili
; %bb.0:
	s_load_dwordx4 s[12:15], s[4:5], 0x4
	s_load_dwordx4 s[0:3], s[4:5], 0x18
	s_load_dwordx2 s[24:25], s[4:5], 0x28
	s_load_dwordx4 s[8:11], s[4:5], 0x38
	s_load_dwordx2 s[20:21], s[4:5], 0x48
	s_waitcnt lgkmcnt(0)
	s_min_i32 s16, s14, 32
	s_mov_b32 s17, 0
	s_add_i32 s18, s16, -1
	v_cmp_gt_i32_e32 vcc, s16, v0
	s_and_saveexec_b64 s[22:23], vcc
	s_cbranch_execz .LBB105_10
; %bb.1:
	s_load_dword s26, s[4:5], 0x30
	s_mul_i32 s9, s7, s9
	s_mul_hi_u32 s19, s7, s8
	s_add_i32 s9, s19, s9
	s_mul_i32 s8, s7, s8
	s_waitcnt lgkmcnt(0)
	s_ashr_i32 s27, s26, 31
	s_cmp_lt_u32 s18, 3
	v_lshlrev_b32_e32 v1, 3, v0
	s_cbranch_scc1 .LBB105_4
; %bb.2:
	s_lshl_b64 s[28:29], s[8:9], 3
	s_add_u32 s17, s2, s28
	s_addc_u32 s19, s3, s29
	s_lshl_b64 s[28:29], s[24:25], 3
	s_add_u32 s17, s17, s28
	s_addc_u32 s19, s19, s29
	v_mov_b32_e32 v3, s19
	v_add_co_u32_e32 v2, vcc, s17, v1
	s_mul_hi_i32 s36, s26, 24
	s_lshl_b64 s[28:29], s[26:27], 5
	s_lshl_b64 s[30:31], s[26:27], 4
	;; [unrolled: 1-line block ×3, first 2 shown]
	v_addc_co_u32_e32 v3, vcc, 0, v3, vcc
	s_and_b32 s17, s16, -4
	s_mul_i32 s19, s26, 24
	s_mov_b32 s33, 0
	v_mov_b32_e32 v4, s35
	v_mov_b32_e32 v5, s31
	;; [unrolled: 1-line block ×5, first 2 shown]
.LBB105_3:                              ; =>This Inner Loop Header: Depth=1
	v_add_co_u32_e32 v12, vcc, s34, v2
	v_addc_co_u32_e32 v13, vcc, v3, v4, vcc
	v_add_co_u32_e32 v14, vcc, s30, v2
	v_addc_co_u32_e32 v15, vcc, v3, v5, vcc
	v_add_co_u32_e32 v16, vcc, s19, v2
	global_load_dwordx2 v[10:11], v[2:3], off
	v_addc_co_u32_e32 v17, vcc, v3, v6, vcc
	global_load_dwordx2 v[18:19], v[12:13], off
	global_load_dwordx2 v[20:21], v[14:15], off
	;; [unrolled: 1-line block ×3, first 2 shown]
	s_add_i32 s33, s33, 4
	v_add_co_u32_e32 v2, vcc, s28, v2
	v_addc_co_u32_e32 v3, vcc, v3, v7, vcc
	s_cmp_eq_u32 s17, s33
	s_waitcnt vmcnt(2)
	ds_write2_b64 v8, v[10:11], v[18:19] offset1:32
	s_waitcnt vmcnt(0)
	ds_write2_b64 v8, v[20:21], v[22:23] offset0:64 offset1:96
	v_add_u32_e32 v8, 0x400, v8
	s_cbranch_scc0 .LBB105_3
.LBB105_4:
	s_and_b32 s19, s16, 3
	s_cmp_eq_u32 s19, 0
	s_cbranch_scc1 .LBB105_7
; %bb.5:
	s_mul_i32 s28, s27, s17
	s_mul_hi_u32 s29, s26, s17
	s_add_i32 s29, s29, s28
	s_mul_i32 s28, s26, s17
	s_lshl_b64 s[8:9], s[8:9], 3
	s_lshl_b64 s[28:29], s[28:29], 3
	v_lshl_or_b32 v4, s17, 8, v1
	s_add_u32 s17, s8, s28
	s_addc_u32 s28, s9, s29
	s_lshl_b64 s[8:9], s[24:25], 3
	s_add_u32 s8, s17, s8
	s_addc_u32 s9, s28, s9
	s_add_u32 s2, s2, s8
	s_addc_u32 s3, s3, s9
	v_mov_b32_e32 v3, s3
	v_add_co_u32_e32 v2, vcc, s2, v1
	s_lshl_b64 s[2:3], s[26:27], 3
	v_addc_co_u32_e32 v3, vcc, 0, v3, vcc
	v_mov_b32_e32 v1, s3
.LBB105_6:                              ; =>This Inner Loop Header: Depth=1
	global_load_dwordx2 v[6:7], v[2:3], off
	v_add_co_u32_e32 v2, vcc, s2, v2
	s_add_i32 s19, s19, -1
	v_addc_co_u32_e32 v3, vcc, v3, v1, vcc
	s_cmp_lg_u32 s19, 0
	s_waitcnt vmcnt(0)
	ds_write_b64 v4, v[6:7]
	v_add_u32_e32 v4, 0x100, v4
	s_cbranch_scc1 .LBB105_6
.LBB105_7:
	v_mul_u32_u24_e32 v1, 33, v0
	v_mov_b32_e32 v2, 0
	s_cmpk_lg_i32 s13, 0x84
	v_lshlrev_b32_e32 v1, 3, v1
	v_mov_b32_e32 v3, 0x3ff00000
	s_cbranch_scc0 .LBB105_9
; %bb.8:
	ds_read_b64 v[2:3], v1
	s_waitcnt lgkmcnt(0)
	v_div_scale_f64 v[4:5], s[2:3], v[2:3], v[2:3], 1.0
	v_rcp_f64_e32 v[6:7], v[4:5]
	v_div_scale_f64 v[8:9], vcc, 1.0, v[2:3], 1.0
	v_fma_f64 v[10:11], -v[4:5], v[6:7], 1.0
	v_fmac_f64_e32 v[6:7], v[6:7], v[10:11]
	v_fma_f64 v[10:11], -v[4:5], v[6:7], 1.0
	v_fmac_f64_e32 v[6:7], v[6:7], v[10:11]
	v_mul_f64 v[10:11], v[8:9], v[6:7]
	v_fma_f64 v[4:5], -v[4:5], v[10:11], v[8:9]
	v_div_fmas_f64 v[4:5], v[4:5], v[6:7], v[10:11]
	v_div_fixup_f64 v[2:3], v[4:5], v[2:3], 1.0
.LBB105_9:
	ds_write_b64 v1, v[2:3]
.LBB105_10:
	s_or_b64 exec, exec, s[22:23]
	s_load_dword s2, s[4:5], 0x68
	s_lshl_b32 s8, s6, 5
	s_sub_i32 s3, s15, s8
	s_waitcnt lgkmcnt(0)
	; wave barrier
	s_waitcnt lgkmcnt(0)
	s_add_i32 s2, s2, -1
	s_cmp_ge_u32 s6, s2
	s_cselect_b32 s2, s3, 32
	v_cmp_gt_i32_e32 vcc, s2, v0
	s_and_saveexec_b64 s[2:3], vcc
	s_cbranch_execz .LBB105_58
; %bb.11:
	s_load_dwordx2 s[2:3], s[4:5], 0x58
	s_load_dword s6, s[4:5], 0x50
	v_add_u32_e32 v0, s8, v0
	s_waitcnt lgkmcnt(0)
	s_mul_i32 s3, s7, s3
	s_mul_hi_u32 s4, s7, s2
	s_mul_i32 s2, s7, s2
	s_add_i32 s3, s4, s3
	s_lshl_b64 s[2:3], s[2:3], 3
	s_add_u32 s7, s10, s2
	s_addc_u32 s9, s11, s3
	s_lshl_b64 s[4:5], s[20:21], 3
	s_add_u32 s13, s7, s4
	v_mad_i64_i32 v[0:1], s[6:7], s6, v0, 0
	s_addc_u32 s9, s9, s5
	v_lshlrev_b64 v[174:175], 3, v[0:1]
	v_mov_b32_e32 v0, s9
	v_add_co_u32_e32 v172, vcc, s13, v174
	v_addc_co_u32_e32 v173, vcc, v0, v175, vcc
	s_cmpk_eq_i32 s12, 0x6f
	s_mov_b64 s[6:7], -1
	s_cbranch_scc1 .LBB105_38
; %bb.12:
	s_cmp_gt_i32 s14, 31
	s_mov_b32 s6, s18
	s_cbranch_scc0 .LBB105_14
; %bb.13:
	s_ashr_i32 s19, s18, 31
	s_lshl_b64 s[6:7], s[18:19], 3
	v_mov_b32_e32 v0, s7
	v_add_co_u32_e32 v12, vcc, s6, v172
	v_addc_co_u32_e32 v13, vcc, v173, v0, vcc
	global_load_dwordx2 v[62:63], v[12:13], off
	s_mov_b32 s17, 0
	s_lshl_b64 s[6:7], s[16:17], 3
	v_mov_b32_e32 v0, s7
	v_add_co_u32_e32 v60, vcc, s6, v172
	v_addc_co_u32_e32 v61, vcc, v173, v0, vcc
	global_load_dwordx2 v[14:15], v[60:61], off offset:-16
	global_load_dwordx4 v[4:7], v[60:61], off offset:-32
	global_load_dwordx4 v[8:11], v[60:61], off offset:-48
	s_mul_i32 s7, s18, 0x108
	v_mov_b32_e32 v0, s7
	s_add_i32 s8, s7, 0xfffffef8
	v_mov_b32_e32 v1, s8
	ds_read_b64 v[96:97], v0
	ds_read2_b64 v[64:67], v1 offset1:1
	global_load_dwordx4 v[68:71], v[60:61], off offset:-64
	global_load_dwordx4 v[16:19], v[60:61], off offset:-80
	;; [unrolled: 1-line block ×13, first 2 shown]
	s_lshl_b32 s6, s16, 5
	s_ashr_i32 s17, s16, 31
	s_add_i32 s6, s6, s18
	s_add_i32 s12, s7, 0xfffffdf0
	;; [unrolled: 1-line block ×4, first 2 shown]
	s_lshl_b64 s[8:9], s[16:17], 3
	s_lshl_b32 s6, s6, 3
	v_mov_b32_e32 v72, s12
	v_mov_b32_e32 v80, s13
	;; [unrolled: 1-line block ×4, first 2 shown]
	s_add_i32 s9, s6, 0xfffffd00
	s_add_i32 s12, s6, 0xfffffbf8
	;; [unrolled: 1-line block ×5, first 2 shown]
	v_add_co_u32_e32 v60, vcc, s8, v172
	v_addc_co_u32_e32 v61, vcc, v173, v73, vcc
	v_mov_b32_e32 v73, s9
	v_mov_b32_e32 v76, s12
	;; [unrolled: 1-line block ×5, first 2 shown]
	ds_read_b64 v[98:99], v73
	ds_read2_b64 v[72:75], v72 offset1:1
	ds_read2_b64 v[76:79], v76 offset1:1
	;; [unrolled: 1-line block ×3, first 2 shown]
	ds_read_b64 v[100:101], v84
	ds_read2_b64 v[84:87], v85 offset1:1
	ds_read2_b64 v[88:91], v88 offset1:1
	;; [unrolled: 1-line block ×3, first 2 shown]
	s_add_i32 s8, s6, 0xfffff9e8
	s_waitcnt vmcnt(16)
	v_mul_f64 v[62:63], v[62:63], s[0:1]
	s_waitcnt lgkmcnt(9)
	v_mul_f64 v[62:63], v[96:97], v[62:63]
	global_store_dwordx2 v[12:13], v[62:63], off
	s_waitcnt lgkmcnt(8)
	v_mul_f64 v[12:13], v[62:63], v[66:67]
	s_waitcnt lgkmcnt(7)
	v_mul_f64 v[66:67], v[62:63], v[98:99]
	;; [unrolled: 2-line block ×3, first 2 shown]
	s_waitcnt vmcnt(16)
	v_fma_f64 v[12:13], v[14:15], s[0:1], -v[12:13]
	v_mul_f64 v[64:65], v[64:65], v[12:13]
	v_mov_b32_e32 v12, s8
	ds_read2_b64 v[12:15], v12 offset1:1
	s_waitcnt vmcnt(15)
	v_fma_f64 v[6:7], v[6:7], s[0:1], -v[66:67]
	s_waitcnt lgkmcnt(1)
	v_mul_f64 v[94:95], v[62:63], v[94:95]
	v_fma_f64 v[4:5], v[4:5], s[0:1], -v[78:79]
	v_fma_f64 v[6:7], -v[64:65], v[74:75], v[6:7]
	v_fma_f64 v[4:5], -v[64:65], v[76:77], v[4:5]
	v_mul_f64 v[6:7], v[72:73], v[6:7]
	s_add_i32 s8, s7, 0xfffffad8
	s_waitcnt vmcnt(14)
	v_fma_f64 v[8:9], v[8:9], s[0:1], -v[94:95]
	v_fma_f64 v[4:5], -v[6:7], v[82:83], v[4:5]
	v_mov_b32_e32 v66, s8
	ds_read2_b64 v[72:75], v66 offset1:1
	v_fma_f64 v[8:9], -v[64:65], v[92:93], v[8:9]
	v_mul_f64 v[96:97], v[62:63], v[100:101]
	v_mul_f64 v[4:5], v[80:81], v[4:5]
	s_waitcnt lgkmcnt(1)
	v_fma_f64 v[8:9], -v[6:7], v[14:15], v[8:9]
	s_add_i32 s8, s6, 0xfffff8f8
	v_fma_f64 v[10:11], v[10:11], s[0:1], -v[96:97]
	v_fma_f64 v[8:9], -v[4:5], v[12:13], v[8:9]
	v_mov_b32_e32 v12, s8
	v_fma_f64 v[10:11], -v[64:65], v[86:87], v[10:11]
	ds_read2_b64 v[12:15], v12 offset1:1
	v_fma_f64 v[10:11], -v[6:7], v[84:85], v[10:11]
	v_fma_f64 v[10:11], -v[4:5], v[90:91], v[10:11]
	v_mul_f64 v[10:11], v[88:89], v[10:11]
	s_add_i32 s8, s6, 0xfffff8e8
	s_waitcnt lgkmcnt(1)
	v_fma_f64 v[8:9], -v[10:11], v[74:75], v[8:9]
	v_mov_b32_e32 v66, s8
	v_mul_f64 v[8:9], v[72:73], v[8:9]
	ds_read2_b64 v[72:75], v66 offset1:1
	s_waitcnt lgkmcnt(1)
	v_mul_f64 v[14:15], v[62:63], v[14:15]
	s_add_i32 s8, s6, 0xfffff8d8
	v_mov_b32_e32 v66, s8
	s_waitcnt vmcnt(13)
	v_fma_f64 v[14:15], v[70:71], s[0:1], -v[14:15]
	s_add_i32 s8, s7, 0xfffff9d0
	ds_read2_b64 v[76:79], v66 offset1:1
	v_fma_f64 v[12:13], -v[64:65], v[12:13], v[14:15]
	v_mov_b32_e32 v14, s8
	s_add_i32 s8, s6, 0xfffff800
	v_mov_b32_e32 v66, s8
	ds_read_b64 v[14:15], v14
	s_add_i32 s8, s6, 0xfffff7f0
	ds_read_b64 v[66:67], v66
	s_waitcnt lgkmcnt(3)
	v_fma_f64 v[12:13], -v[6:7], v[74:75], v[12:13]
	v_mov_b32_e32 v70, s8
	v_fma_f64 v[12:13], -v[4:5], v[72:73], v[12:13]
	ds_read2_b64 v[70:73], v70 offset1:1
	s_waitcnt lgkmcnt(3)
	v_fma_f64 v[12:13], -v[10:11], v[78:79], v[12:13]
	v_fma_f64 v[12:13], -v[8:9], v[76:77], v[12:13]
	s_waitcnt lgkmcnt(2)
	v_mul_f64 v[14:15], v[14:15], v[12:13]
	s_waitcnt lgkmcnt(1)
	v_mul_f64 v[12:13], v[62:63], v[66:67]
	v_fma_f64 v[12:13], v[68:69], s[0:1], -v[12:13]
	s_add_i32 s8, s6, 0xfffff7e0
	s_waitcnt lgkmcnt(0)
	v_fma_f64 v[12:13], -v[64:65], v[72:73], v[12:13]
	v_mov_b32_e32 v66, s8
	s_add_i32 s8, s6, 0xfffff7d0
	global_store_dwordx2 v[60:61], v[64:65], off offset:-16
	global_store_dwordx4 v[60:61], v[4:7], off offset:-32
	global_store_dwordx4 v[60:61], v[8:11], off offset:-48
	v_fma_f64 v[12:13], -v[6:7], v[70:71], v[12:13]
	v_mov_b32_e32 v70, s8
	ds_read2_b64 v[66:69], v66 offset1:1
	ds_read2_b64 v[70:73], v70 offset1:1
	s_add_i32 s8, s7, 0xfffff8c8
	v_mov_b32_e32 v74, s8
	s_add_i32 s8, s6, 0xfffff6f8
	s_waitcnt lgkmcnt(1)
	v_fma_f64 v[12:13], -v[4:5], v[68:69], v[12:13]
	v_fma_f64 v[12:13], -v[10:11], v[66:67], v[12:13]
	v_mov_b32_e32 v66, s8
	ds_read2_b64 v[66:69], v66 offset1:1
	s_waitcnt lgkmcnt(1)
	v_fma_f64 v[12:13], -v[8:9], v[72:73], v[12:13]
	s_add_i32 s8, s6, 0xfffff6e8
	v_fma_f64 v[12:13], -v[14:15], v[70:71], v[12:13]
	v_mov_b32_e32 v70, s8
	ds_read2_b64 v[70:73], v70 offset1:1
	s_waitcnt lgkmcnt(1)
	v_mul_f64 v[68:69], v[62:63], v[68:69]
	s_waitcnt vmcnt(15)
	v_fma_f64 v[18:19], v[18:19], s[0:1], -v[68:69]
	s_add_i32 s8, s6, 0xfffff6d8
	v_fma_f64 v[18:19], -v[64:65], v[66:67], v[18:19]
	v_mov_b32_e32 v66, s8
	ds_read_b64 v[74:75], v74
	ds_read2_b64 v[66:69], v66 offset1:1
	s_waitcnt lgkmcnt(2)
	v_fma_f64 v[18:19], -v[6:7], v[72:73], v[18:19]
	s_add_i32 s8, s6, 0xfffff6c8
	v_fma_f64 v[18:19], -v[4:5], v[70:71], v[18:19]
	s_waitcnt lgkmcnt(1)
	v_mul_f64 v[12:13], v[74:75], v[12:13]
	v_mov_b32_e32 v74, s8
	s_waitcnt lgkmcnt(0)
	v_fma_f64 v[18:19], -v[10:11], v[68:69], v[18:19]
	s_add_i32 s8, s7, 0xfffff7c0
	ds_read2_b64 v[74:77], v74 offset1:1
	v_fma_f64 v[18:19], -v[8:9], v[66:67], v[18:19]
	v_mov_b32_e32 v66, s8
	s_add_i32 s8, s6, 0xfffff600
	ds_read_b64 v[70:71], v66
	v_mov_b32_e32 v66, s8
	ds_read_b64 v[72:73], v66
	s_add_i32 s8, s6, 0xfffff5f0
	v_mov_b32_e32 v66, s8
	ds_read2_b64 v[66:69], v66 offset1:1
	s_waitcnt lgkmcnt(3)
	v_fma_f64 v[18:19], -v[14:15], v[76:77], v[18:19]
	v_fma_f64 v[18:19], -v[12:13], v[74:75], v[18:19]
	s_waitcnt lgkmcnt(2)
	v_mul_f64 v[18:19], v[70:71], v[18:19]
	s_waitcnt lgkmcnt(1)
	v_mul_f64 v[70:71], v[62:63], v[72:73]
	v_fma_f64 v[16:17], v[16:17], s[0:1], -v[70:71]
	s_add_i32 s8, s6, 0xfffff5e0
	s_waitcnt lgkmcnt(0)
	v_fma_f64 v[16:17], -v[64:65], v[68:69], v[16:17]
	v_mov_b32_e32 v68, s8
	ds_read2_b64 v[68:71], v68 offset1:1
	s_add_i32 s8, s6, 0xfffff5d0
	v_fma_f64 v[16:17], -v[6:7], v[66:67], v[16:17]
	v_mov_b32_e32 v66, s8
	ds_read2_b64 v[72:75], v66 offset1:1
	s_add_i32 s8, s6, 0xfffff5c0
	s_waitcnt lgkmcnt(1)
	v_fma_f64 v[16:17], -v[4:5], v[70:71], v[16:17]
	v_mov_b32_e32 v66, s8
	v_fma_f64 v[16:17], -v[10:11], v[68:69], v[16:17]
	ds_read2_b64 v[66:69], v66 offset1:1
	s_add_i32 s8, s7, 0xfffff6b8
	v_mov_b32_e32 v70, s8
	s_waitcnt lgkmcnt(1)
	v_fma_f64 v[16:17], -v[8:9], v[74:75], v[16:17]
	ds_read_b64 v[70:71], v70
	v_fma_f64 v[16:17], -v[14:15], v[72:73], v[16:17]
	s_waitcnt lgkmcnt(1)
	v_fma_f64 v[16:17], -v[12:13], v[68:69], v[16:17]
	s_add_i32 s8, s6, 0xfffff4f8
	v_fma_f64 v[16:17], -v[18:19], v[66:67], v[16:17]
	v_mov_b32_e32 v66, s8
	ds_read2_b64 v[66:69], v66 offset1:1
	s_add_i32 s8, s6, 0xfffff4e8
	s_waitcnt lgkmcnt(1)
	v_mul_f64 v[16:17], v[70:71], v[16:17]
	v_mov_b32_e32 v70, s8
	ds_read2_b64 v[70:73], v70 offset1:1
	s_waitcnt lgkmcnt(1)
	v_mul_f64 v[68:69], v[62:63], v[68:69]
	s_waitcnt vmcnt(14)
	v_fma_f64 v[22:23], v[22:23], s[0:1], -v[68:69]
	v_fma_f64 v[22:23], -v[64:65], v[66:67], v[22:23]
	s_add_i32 s8, s6, 0xfffff4d8
	s_waitcnt lgkmcnt(0)
	v_fma_f64 v[22:23], -v[6:7], v[72:73], v[22:23]
	v_mov_b32_e32 v66, s8
	s_add_i32 s8, s6, 0xfffff4c8
	global_store_dwordx4 v[60:61], v[12:15], off offset:-64
	global_store_dwordx4 v[60:61], v[16:19], off offset:-80
	v_fma_f64 v[22:23], -v[4:5], v[70:71], v[22:23]
	v_mov_b32_e32 v70, s8
	ds_read2_b64 v[66:69], v66 offset1:1
	ds_read2_b64 v[70:73], v70 offset1:1
	s_add_i32 s8, s6, 0xfffff4b8
	v_mov_b32_e32 v74, s8
	ds_read2_b64 v[74:77], v74 offset1:1
	s_waitcnt lgkmcnt(2)
	v_fma_f64 v[22:23], -v[10:11], v[68:69], v[22:23]
	v_fma_f64 v[22:23], -v[8:9], v[66:67], v[22:23]
	s_waitcnt lgkmcnt(1)
	v_fma_f64 v[22:23], -v[14:15], v[72:73], v[22:23]
	v_fma_f64 v[22:23], -v[12:13], v[70:71], v[22:23]
	s_addk_i32 s7, 0xf5b0
	s_waitcnt lgkmcnt(0)
	v_fma_f64 v[22:23], -v[18:19], v[76:77], v[22:23]
	v_mov_b32_e32 v66, s7
	s_add_i32 s7, s6, 0xfffff3f8
	v_fma_f64 v[22:23], -v[16:17], v[74:75], v[22:23]
	ds_read_b64 v[74:75], v66
	v_mov_b32_e32 v66, s7
	ds_read2_b64 v[66:69], v66 offset1:1
	s_add_i32 s7, s6, 0xfffff3e8
	v_mov_b32_e32 v70, s7
	ds_read2_b64 v[70:73], v70 offset1:1
	s_add_i32 s7, s6, 0xfffff3d8
	s_waitcnt lgkmcnt(1)
	v_mul_f64 v[68:69], v[62:63], v[68:69]
	v_fma_f64 v[20:21], v[20:21], s[0:1], -v[68:69]
	v_fma_f64 v[20:21], -v[64:65], v[66:67], v[20:21]
	v_mov_b32_e32 v66, s7
	ds_read2_b64 v[66:69], v66 offset1:1
	s_waitcnt lgkmcnt(1)
	v_fma_f64 v[20:21], -v[6:7], v[72:73], v[20:21]
	s_add_i32 s7, s6, 0xfffff3c8
	v_fma_f64 v[20:21], -v[4:5], v[70:71], v[20:21]
	v_mov_b32_e32 v70, s7
	ds_read2_b64 v[70:73], v70 offset1:1
	s_waitcnt lgkmcnt(1)
	v_fma_f64 v[20:21], -v[10:11], v[68:69], v[20:21]
	s_add_i32 s7, s6, 0xfffff3b8
	v_fma_f64 v[20:21], -v[8:9], v[66:67], v[20:21]
	v_mov_b32_e32 v66, s7
	ds_read2_b64 v[66:69], v66 offset1:1
	s_mul_i32 s7, s16, 0x108
	s_add_i32 s8, s7, 0xfffff3a0
	s_waitcnt lgkmcnt(1)
	v_fma_f64 v[20:21], -v[14:15], v[72:73], v[20:21]
	v_mul_f64 v[22:23], v[74:75], v[22:23]
	v_mov_b32_e32 v74, s8
	ds_read2_b64 v[74:77], v74 offset1:1
	v_fma_f64 v[20:21], -v[12:13], v[70:71], v[20:21]
	s_waitcnt lgkmcnt(1)
	v_fma_f64 v[20:21], -v[18:19], v[68:69], v[20:21]
	s_add_i32 s8, s6, 0xfffff300
	v_fma_f64 v[20:21], -v[16:17], v[66:67], v[20:21]
	v_mov_b32_e32 v66, s8
	ds_read_b64 v[70:71], v66
	s_add_i32 s8, s6, 0xfffff2f0
	v_mov_b32_e32 v66, s8
	ds_read2_b64 v[66:69], v66 offset1:1
	s_add_i32 s8, s6, 0xfffff2e0
	s_waitcnt lgkmcnt(1)
	v_mul_f64 v[70:71], v[62:63], v[70:71]
	s_waitcnt vmcnt(15)
	v_fma_f64 v[30:31], v[30:31], s[0:1], -v[70:71]
	v_mov_b32_e32 v70, s8
	ds_read2_b64 v[70:73], v70 offset1:1
	v_fma_f64 v[20:21], -v[22:23], v[76:77], v[20:21]
	s_add_i32 s8, s6, 0xfffff2d0
	v_mul_f64 v[20:21], v[74:75], v[20:21]
	v_mov_b32_e32 v74, s8
	ds_read2_b64 v[74:77], v74 offset1:1
	s_waitcnt lgkmcnt(2)
	v_fma_f64 v[30:31], -v[64:65], v[68:69], v[30:31]
	s_add_i32 s8, s6, 0xfffff2c0
	v_fma_f64 v[30:31], -v[6:7], v[66:67], v[30:31]
	v_mov_b32_e32 v66, s8
	ds_read2_b64 v[66:69], v66 offset1:1
	s_waitcnt lgkmcnt(2)
	v_fma_f64 v[30:31], -v[4:5], v[72:73], v[30:31]
	v_fma_f64 v[30:31], -v[10:11], v[70:71], v[30:31]
	s_waitcnt lgkmcnt(1)
	v_fma_f64 v[30:31], -v[8:9], v[76:77], v[30:31]
	s_add_i32 s8, s6, 0xfffff2b0
	v_fma_f64 v[30:31], -v[14:15], v[74:75], v[30:31]
	v_mov_b32_e32 v70, s8
	ds_read2_b64 v[70:73], v70 offset1:1
	s_waitcnt lgkmcnt(1)
	v_fma_f64 v[30:31], -v[12:13], v[68:69], v[30:31]
	s_add_i32 s8, s7, 0xfffff298
	v_fma_f64 v[30:31], -v[18:19], v[66:67], v[30:31]
	v_mov_b32_e32 v66, s8
	ds_read2_b64 v[66:69], v66 offset1:1
	s_add_i32 s8, s6, 0xfffff1f8
	v_mov_b32_e32 v74, s8
	ds_read2_b64 v[74:77], v74 offset1:1
	s_waitcnt lgkmcnt(2)
	v_fma_f64 v[30:31], -v[16:17], v[72:73], v[30:31]
	v_fma_f64 v[30:31], -v[22:23], v[70:71], v[30:31]
	s_waitcnt lgkmcnt(1)
	v_fma_f64 v[30:31], -v[20:21], v[68:69], v[30:31]
	s_add_i32 s8, s6, 0xfffff1e8
	v_mul_f64 v[30:31], v[66:67], v[30:31]
	v_mov_b32_e32 v66, s8
	ds_read2_b64 v[66:69], v66 offset1:1
	s_waitcnt lgkmcnt(1)
	v_mul_f64 v[76:77], v[62:63], v[76:77]
	s_add_i32 s8, s6, 0xfffff1d8
	v_fma_f64 v[28:29], v[28:29], s[0:1], -v[76:77]
	v_mov_b32_e32 v70, s8
	ds_read2_b64 v[70:73], v70 offset1:1
	v_fma_f64 v[28:29], -v[64:65], v[74:75], v[28:29]
	s_waitcnt lgkmcnt(1)
	v_fma_f64 v[28:29], -v[6:7], v[68:69], v[28:29]
	s_add_i32 s8, s6, 0xfffff1c8
	v_fma_f64 v[28:29], -v[4:5], v[66:67], v[28:29]
	v_mov_b32_e32 v66, s8
	ds_read2_b64 v[66:69], v66 offset1:1
	s_waitcnt lgkmcnt(1)
	v_fma_f64 v[28:29], -v[10:11], v[72:73], v[28:29]
	s_add_i32 s8, s6, 0xfffff1b8
	v_fma_f64 v[28:29], -v[8:9], v[70:71], v[28:29]
	v_mov_b32_e32 v70, s8
	ds_read2_b64 v[70:73], v70 offset1:1
	;; [unrolled: 6-line block ×3, first 2 shown]
	s_add_i32 s8, s7, 0xfffff190
	s_waitcnt lgkmcnt(1)
	v_fma_f64 v[28:29], -v[18:19], v[72:73], v[28:29]
	v_mov_b32_e32 v74, s8
	ds_read2_b64 v[74:77], v74 offset1:1
	v_fma_f64 v[28:29], -v[16:17], v[70:71], v[28:29]
	s_waitcnt lgkmcnt(1)
	v_fma_f64 v[28:29], -v[22:23], v[68:69], v[28:29]
	s_add_i32 s8, s6, 0xfffff100
	v_fma_f64 v[28:29], -v[20:21], v[66:67], v[28:29]
	v_mov_b32_e32 v66, s8
	ds_read_b64 v[70:71], v66
	s_add_i32 s8, s6, 0xfffff0f0
	v_mov_b32_e32 v66, s8
	ds_read2_b64 v[66:69], v66 offset1:1
	s_add_i32 s8, s6, 0xfffff0e0
	s_waitcnt lgkmcnt(1)
	v_mul_f64 v[70:71], v[62:63], v[70:71]
	s_waitcnt vmcnt(14)
	v_fma_f64 v[34:35], v[34:35], s[0:1], -v[70:71]
	v_mov_b32_e32 v70, s8
	ds_read2_b64 v[70:73], v70 offset1:1
	v_fma_f64 v[28:29], -v[30:31], v[76:77], v[28:29]
	s_add_i32 s8, s6, 0xfffff0d0
	v_mul_f64 v[28:29], v[74:75], v[28:29]
	v_mov_b32_e32 v74, s8
	ds_read2_b64 v[74:77], v74 offset1:1
	s_waitcnt lgkmcnt(2)
	v_fma_f64 v[34:35], -v[64:65], v[68:69], v[34:35]
	s_add_i32 s8, s6, 0xfffff0c0
	v_fma_f64 v[34:35], -v[6:7], v[66:67], v[34:35]
	v_mov_b32_e32 v66, s8
	ds_read2_b64 v[66:69], v66 offset1:1
	s_waitcnt lgkmcnt(2)
	v_fma_f64 v[34:35], -v[4:5], v[72:73], v[34:35]
	v_fma_f64 v[34:35], -v[10:11], v[70:71], v[34:35]
	s_waitcnt lgkmcnt(1)
	v_fma_f64 v[34:35], -v[8:9], v[76:77], v[34:35]
	s_add_i32 s8, s6, 0xfffff0b0
	v_fma_f64 v[34:35], -v[14:15], v[74:75], v[34:35]
	v_mov_b32_e32 v70, s8
	ds_read2_b64 v[70:73], v70 offset1:1
	s_waitcnt lgkmcnt(1)
	v_fma_f64 v[34:35], -v[12:13], v[68:69], v[34:35]
	s_add_i32 s8, s6, 0xfffff0a0
	v_fma_f64 v[34:35], -v[18:19], v[66:67], v[34:35]
	v_mov_b32_e32 v66, s8
	ds_read2_b64 v[66:69], v66 offset1:1
	s_add_i32 s8, s7, 0xfffff088
	s_waitcnt lgkmcnt(1)
	v_fma_f64 v[34:35], -v[16:17], v[72:73], v[34:35]
	v_mov_b32_e32 v74, s8
	ds_read2_b64 v[74:77], v74 offset1:1
	v_fma_f64 v[34:35], -v[22:23], v[70:71], v[34:35]
	s_waitcnt lgkmcnt(1)
	v_fma_f64 v[34:35], -v[20:21], v[68:69], v[34:35]
	s_add_i32 s8, s6, 0xffffeff8
	v_fma_f64 v[34:35], -v[30:31], v[66:67], v[34:35]
	v_mov_b32_e32 v66, s8
	ds_read2_b64 v[66:69], v66 offset1:1
	s_add_i32 s8, s6, 0xffffefe8
	v_mov_b32_e32 v70, s8
	ds_read2_b64 v[70:73], v70 offset1:1
	s_add_i32 s8, s6, 0xffffefd8
	s_waitcnt lgkmcnt(1)
	v_mul_f64 v[68:69], v[62:63], v[68:69]
	v_fma_f64 v[32:33], v[32:33], s[0:1], -v[68:69]
	v_fma_f64 v[32:33], -v[64:65], v[66:67], v[32:33]
	v_mov_b32_e32 v66, s8
	ds_read2_b64 v[66:69], v66 offset1:1
	v_fma_f64 v[34:35], -v[28:29], v[76:77], v[34:35]
	s_add_i32 s8, s6, 0xffffefc8
	s_waitcnt lgkmcnt(1)
	v_fma_f64 v[32:33], -v[6:7], v[72:73], v[32:33]
	v_mul_f64 v[34:35], v[74:75], v[34:35]
	v_mov_b32_e32 v74, s8
	ds_read2_b64 v[74:77], v74 offset1:1
	v_fma_f64 v[32:33], -v[4:5], v[70:71], v[32:33]
	s_waitcnt lgkmcnt(1)
	v_fma_f64 v[32:33], -v[10:11], v[68:69], v[32:33]
	s_add_i32 s8, s6, 0xffffefb8
	v_fma_f64 v[32:33], -v[8:9], v[66:67], v[32:33]
	v_mov_b32_e32 v66, s8
	ds_read2_b64 v[66:69], v66 offset1:1
	s_waitcnt lgkmcnt(1)
	v_fma_f64 v[32:33], -v[14:15], v[76:77], v[32:33]
	s_add_i32 s8, s6, 0xffffefa8
	v_fma_f64 v[32:33], -v[12:13], v[74:75], v[32:33]
	v_mov_b32_e32 v70, s8
	ds_read2_b64 v[70:73], v70 offset1:1
	;; [unrolled: 6-line block ×3, first 2 shown]
	s_add_i32 s8, s7, 0xffffef80
	s_waitcnt lgkmcnt(1)
	v_fma_f64 v[32:33], -v[22:23], v[72:73], v[32:33]
	v_mov_b32_e32 v74, s8
	ds_read2_b64 v[74:77], v74 offset1:1
	v_fma_f64 v[32:33], -v[20:21], v[70:71], v[32:33]
	s_waitcnt lgkmcnt(1)
	v_fma_f64 v[32:33], -v[30:31], v[68:69], v[32:33]
	s_add_i32 s8, s6, 0xffffef00
	v_fma_f64 v[32:33], -v[28:29], v[66:67], v[32:33]
	v_mov_b32_e32 v66, s8
	s_add_i32 s8, s6, 0xffffeef0
	ds_read_b64 v[70:71], v66
	v_mov_b32_e32 v66, s8
	ds_read2_b64 v[66:69], v66 offset1:1
	s_add_i32 s8, s6, 0xffffeee0
	s_waitcnt lgkmcnt(2)
	v_fma_f64 v[32:33], -v[34:35], v[76:77], v[32:33]
	s_waitcnt lgkmcnt(1)
	v_mul_f64 v[70:71], v[62:63], v[70:71]
	s_waitcnt vmcnt(13)
	v_fma_f64 v[42:43], v[42:43], s[0:1], -v[70:71]
	s_waitcnt lgkmcnt(0)
	v_fma_f64 v[42:43], -v[64:65], v[68:69], v[42:43]
	v_mov_b32_e32 v68, s8
	ds_read2_b64 v[68:71], v68 offset1:1
	s_add_i32 s8, s6, 0xffffeed0
	v_fma_f64 v[42:43], -v[6:7], v[66:67], v[42:43]
	v_mov_b32_e32 v66, s8
	v_mul_f64 v[32:33], v[74:75], v[32:33]
	ds_read2_b64 v[72:75], v66 offset1:1
	s_add_i32 s8, s6, 0xffffeec0
	s_waitcnt lgkmcnt(1)
	v_fma_f64 v[42:43], -v[4:5], v[70:71], v[42:43]
	v_mov_b32_e32 v66, s8
	v_fma_f64 v[42:43], -v[10:11], v[68:69], v[42:43]
	ds_read2_b64 v[66:69], v66 offset1:1
	s_add_i32 s8, s6, 0xffffeeb0
	s_waitcnt lgkmcnt(1)
	v_fma_f64 v[42:43], -v[8:9], v[74:75], v[42:43]
	v_mov_b32_e32 v70, s8
	ds_read2_b64 v[76:79], v70 offset1:1
	v_fma_f64 v[42:43], -v[14:15], v[72:73], v[42:43]
	s_waitcnt lgkmcnt(1)
	v_fma_f64 v[42:43], -v[12:13], v[68:69], v[42:43]
	s_add_i32 s8, s6, 0xffffeea0
	v_fma_f64 v[42:43], -v[18:19], v[66:67], v[42:43]
	v_mov_b32_e32 v66, s8
	ds_read2_b64 v[66:69], v66 offset1:1
	s_waitcnt lgkmcnt(1)
	v_fma_f64 v[42:43], -v[16:17], v[78:79], v[42:43]
	s_add_i32 s8, s6, 0xffffee90
	v_fma_f64 v[42:43], -v[22:23], v[76:77], v[42:43]
	v_mov_b32_e32 v70, s8
	ds_read2_b64 v[70:73], v70 offset1:1
	s_waitcnt lgkmcnt(1)
	v_fma_f64 v[42:43], -v[20:21], v[68:69], v[42:43]
	s_add_i32 s8, s7, 0xffffee78
	v_fma_f64 v[42:43], -v[30:31], v[66:67], v[42:43]
	v_mov_b32_e32 v66, s8
	s_add_i32 s8, s6, 0xffffedf8
	ds_read2_b64 v[66:69], v66 offset1:1
	v_mov_b32_e32 v74, s8
	ds_read2_b64 v[74:77], v74 offset1:1
	s_waitcnt lgkmcnt(2)
	v_fma_f64 v[42:43], -v[28:29], v[72:73], v[42:43]
	v_fma_f64 v[42:43], -v[34:35], v[70:71], v[42:43]
	s_waitcnt lgkmcnt(1)
	v_fma_f64 v[42:43], -v[32:33], v[68:69], v[42:43]
	v_mul_f64 v[42:43], v[66:67], v[42:43]
	s_waitcnt lgkmcnt(0)
	v_mul_f64 v[66:67], v[62:63], v[76:77]
	s_add_i32 s8, s6, 0xffffede8
	v_fma_f64 v[40:41], v[40:41], s[0:1], -v[66:67]
	v_mov_b32_e32 v66, s8
	ds_read2_b64 v[66:69], v66 offset1:1
	s_add_i32 s8, s6, 0xffffedd8
	v_fma_f64 v[40:41], -v[64:65], v[74:75], v[40:41]
	v_mov_b32_e32 v70, s8
	ds_read2_b64 v[70:73], v70 offset1:1
	s_waitcnt lgkmcnt(1)
	v_fma_f64 v[40:41], -v[6:7], v[68:69], v[40:41]
	s_add_i32 s8, s6, 0xffffedc8
	v_fma_f64 v[40:41], -v[4:5], v[66:67], v[40:41]
	v_mov_b32_e32 v66, s8
	ds_read2_b64 v[66:69], v66 offset1:1
	s_add_i32 s8, s6, 0xffffedb8
	s_waitcnt lgkmcnt(1)
	v_fma_f64 v[40:41], -v[10:11], v[72:73], v[40:41]
	v_mov_b32_e32 v74, s8
	ds_read2_b64 v[74:77], v74 offset1:1
	v_fma_f64 v[40:41], -v[8:9], v[70:71], v[40:41]
	s_waitcnt lgkmcnt(1)
	v_fma_f64 v[40:41], -v[14:15], v[68:69], v[40:41]
	s_add_i32 s8, s6, 0xffffeda8
	v_fma_f64 v[40:41], -v[12:13], v[66:67], v[40:41]
	v_mov_b32_e32 v66, s8
	ds_read2_b64 v[66:69], v66 offset1:1
	s_waitcnt lgkmcnt(1)
	v_fma_f64 v[40:41], -v[18:19], v[76:77], v[40:41]
	s_add_i32 s8, s6, 0xffffed98
	v_fma_f64 v[40:41], -v[16:17], v[74:75], v[40:41]
	v_mov_b32_e32 v70, s8
	ds_read2_b64 v[70:73], v70 offset1:1
	;; [unrolled: 6-line block ×3, first 2 shown]
	s_add_i32 s8, s7, 0xffffed70
	s_waitcnt lgkmcnt(1)
	v_fma_f64 v[40:41], -v[30:31], v[72:73], v[40:41]
	v_mov_b32_e32 v74, s8
	ds_read2_b64 v[74:77], v74 offset1:1
	v_fma_f64 v[40:41], -v[28:29], v[70:71], v[40:41]
	s_waitcnt lgkmcnt(1)
	v_fma_f64 v[40:41], -v[34:35], v[68:69], v[40:41]
	s_add_i32 s8, s6, 0xffffed00
	v_fma_f64 v[40:41], -v[32:33], v[66:67], v[40:41]
	v_mov_b32_e32 v66, s8
	s_add_i32 s8, s6, 0xffffecf0
	ds_read_b64 v[70:71], v66
	v_mov_b32_e32 v66, s8
	ds_read2_b64 v[66:69], v66 offset1:1
	s_add_i32 s8, s6, 0xffffece0
	s_waitcnt lgkmcnt(2)
	v_fma_f64 v[40:41], -v[42:43], v[76:77], v[40:41]
	s_waitcnt lgkmcnt(1)
	v_mul_f64 v[70:71], v[62:63], v[70:71]
	s_waitcnt vmcnt(12)
	v_fma_f64 v[46:47], v[46:47], s[0:1], -v[70:71]
	s_waitcnt lgkmcnt(0)
	v_fma_f64 v[46:47], -v[64:65], v[68:69], v[46:47]
	v_mov_b32_e32 v68, s8
	ds_read2_b64 v[68:71], v68 offset1:1
	s_add_i32 s8, s6, 0xffffecd0
	v_fma_f64 v[46:47], -v[6:7], v[66:67], v[46:47]
	v_mov_b32_e32 v66, s8
	v_mul_f64 v[40:41], v[74:75], v[40:41]
	ds_read2_b64 v[72:75], v66 offset1:1
	s_add_i32 s8, s6, 0xffffecc0
	s_waitcnt lgkmcnt(1)
	v_fma_f64 v[46:47], -v[4:5], v[70:71], v[46:47]
	v_mov_b32_e32 v66, s8
	v_fma_f64 v[46:47], -v[10:11], v[68:69], v[46:47]
	ds_read2_b64 v[66:69], v66 offset1:1
	s_add_i32 s8, s6, 0xffffecb0
	s_waitcnt lgkmcnt(1)
	v_fma_f64 v[46:47], -v[8:9], v[74:75], v[46:47]
	v_mov_b32_e32 v70, s8
	ds_read2_b64 v[76:79], v70 offset1:1
	v_fma_f64 v[46:47], -v[14:15], v[72:73], v[46:47]
	s_waitcnt lgkmcnt(1)
	v_fma_f64 v[46:47], -v[12:13], v[68:69], v[46:47]
	s_add_i32 s8, s6, 0xffffeca0
	v_fma_f64 v[46:47], -v[18:19], v[66:67], v[46:47]
	v_mov_b32_e32 v66, s8
	ds_read2_b64 v[66:69], v66 offset1:1
	s_waitcnt lgkmcnt(1)
	v_fma_f64 v[46:47], -v[16:17], v[78:79], v[46:47]
	s_add_i32 s8, s6, 0xffffec90
	v_fma_f64 v[46:47], -v[22:23], v[76:77], v[46:47]
	v_mov_b32_e32 v70, s8
	ds_read2_b64 v[70:73], v70 offset1:1
	;; [unrolled: 6-line block ×3, first 2 shown]
	s_add_i32 s8, s7, 0xffffec68
	s_waitcnt lgkmcnt(1)
	v_fma_f64 v[46:47], -v[28:29], v[72:73], v[46:47]
	v_mov_b32_e32 v74, s8
	ds_read2_b64 v[74:77], v74 offset1:1
	v_fma_f64 v[46:47], -v[34:35], v[70:71], v[46:47]
	s_waitcnt lgkmcnt(1)
	v_fma_f64 v[46:47], -v[32:33], v[68:69], v[46:47]
	s_add_i32 s8, s6, 0xffffebf8
	v_fma_f64 v[46:47], -v[42:43], v[66:67], v[46:47]
	v_mov_b32_e32 v66, s8
	ds_read2_b64 v[66:69], v66 offset1:1
	s_add_i32 s8, s6, 0xffffebe8
	v_mov_b32_e32 v70, s8
	ds_read2_b64 v[70:73], v70 offset1:1
	s_add_i32 s8, s6, 0xffffebd8
	s_waitcnt lgkmcnt(1)
	v_mul_f64 v[68:69], v[62:63], v[68:69]
	v_fma_f64 v[44:45], v[44:45], s[0:1], -v[68:69]
	v_fma_f64 v[44:45], -v[64:65], v[66:67], v[44:45]
	v_mov_b32_e32 v66, s8
	ds_read2_b64 v[66:69], v66 offset1:1
	s_waitcnt lgkmcnt(1)
	v_fma_f64 v[44:45], -v[6:7], v[72:73], v[44:45]
	s_add_i32 s8, s6, 0xffffebc8
	v_fma_f64 v[44:45], -v[4:5], v[70:71], v[44:45]
	v_mov_b32_e32 v70, s8
	ds_read2_b64 v[70:73], v70 offset1:1
	s_waitcnt lgkmcnt(1)
	v_fma_f64 v[44:45], -v[10:11], v[68:69], v[44:45]
	s_add_i32 s8, s6, 0xffffebb8
	v_fma_f64 v[44:45], -v[8:9], v[66:67], v[44:45]
	v_mov_b32_e32 v66, s8
	ds_read2_b64 v[66:69], v66 offset1:1
	v_fma_f64 v[46:47], -v[40:41], v[76:77], v[46:47]
	s_add_i32 s8, s6, 0xffffeba8
	s_waitcnt lgkmcnt(1)
	v_fma_f64 v[44:45], -v[14:15], v[72:73], v[44:45]
	v_mul_f64 v[46:47], v[74:75], v[46:47]
	v_mov_b32_e32 v74, s8
	ds_read2_b64 v[74:77], v74 offset1:1
	v_fma_f64 v[44:45], -v[12:13], v[70:71], v[44:45]
	s_waitcnt lgkmcnt(1)
	v_fma_f64 v[44:45], -v[18:19], v[68:69], v[44:45]
	s_add_i32 s8, s6, 0xffffeb98
	v_fma_f64 v[44:45], -v[16:17], v[66:67], v[44:45]
	v_mov_b32_e32 v66, s8
	ds_read2_b64 v[66:69], v66 offset1:1
	s_waitcnt lgkmcnt(1)
	v_fma_f64 v[44:45], -v[22:23], v[76:77], v[44:45]
	s_add_i32 s8, s6, 0xffffeb88
	v_fma_f64 v[44:45], -v[20:21], v[74:75], v[44:45]
	v_mov_b32_e32 v70, s8
	ds_read2_b64 v[70:73], v70 offset1:1
	;; [unrolled: 6-line block ×3, first 2 shown]
	s_add_i32 s8, s7, 0xffffeb60
	s_waitcnt lgkmcnt(1)
	v_fma_f64 v[44:45], -v[34:35], v[72:73], v[44:45]
	v_mov_b32_e32 v74, s8
	ds_read2_b64 v[74:77], v74 offset1:1
	v_fma_f64 v[44:45], -v[32:33], v[70:71], v[44:45]
	s_waitcnt lgkmcnt(1)
	v_fma_f64 v[44:45], -v[42:43], v[68:69], v[44:45]
	s_add_i32 s8, s6, 0xffffeb00
	v_fma_f64 v[44:45], -v[40:41], v[66:67], v[44:45]
	v_mov_b32_e32 v66, s8
	ds_read_b64 v[70:71], v66
	s_add_i32 s8, s6, 0xffffeaf0
	v_mov_b32_e32 v66, s8
	ds_read2_b64 v[66:69], v66 offset1:1
	s_add_i32 s8, s6, 0xffffeae0
	s_waitcnt lgkmcnt(1)
	v_mul_f64 v[70:71], v[62:63], v[70:71]
	s_waitcnt vmcnt(11)
	v_fma_f64 v[54:55], v[54:55], s[0:1], -v[70:71]
	v_mov_b32_e32 v70, s8
	ds_read2_b64 v[70:73], v70 offset1:1
	v_fma_f64 v[44:45], -v[46:47], v[76:77], v[44:45]
	s_add_i32 s8, s6, 0xffffead0
	v_mul_f64 v[44:45], v[74:75], v[44:45]
	v_mov_b32_e32 v74, s8
	ds_read2_b64 v[74:77], v74 offset1:1
	s_waitcnt lgkmcnt(2)
	v_fma_f64 v[54:55], -v[64:65], v[68:69], v[54:55]
	s_add_i32 s8, s6, 0xffffeac0
	v_fma_f64 v[54:55], -v[6:7], v[66:67], v[54:55]
	v_mov_b32_e32 v66, s8
	ds_read2_b64 v[66:69], v66 offset1:1
	s_waitcnt lgkmcnt(2)
	v_fma_f64 v[54:55], -v[4:5], v[72:73], v[54:55]
	v_fma_f64 v[54:55], -v[10:11], v[70:71], v[54:55]
	s_waitcnt lgkmcnt(1)
	v_fma_f64 v[54:55], -v[8:9], v[76:77], v[54:55]
	s_add_i32 s8, s6, 0xffffeab0
	v_fma_f64 v[54:55], -v[14:15], v[74:75], v[54:55]
	v_mov_b32_e32 v70, s8
	ds_read2_b64 v[70:73], v70 offset1:1
	s_waitcnt lgkmcnt(1)
	v_fma_f64 v[54:55], -v[12:13], v[68:69], v[54:55]
	s_add_i32 s8, s6, 0xffffeaa0
	v_fma_f64 v[54:55], -v[18:19], v[66:67], v[54:55]
	v_mov_b32_e32 v66, s8
	ds_read2_b64 v[66:69], v66 offset1:1
	s_add_i32 s8, s6, 0xffffea90
	s_waitcnt lgkmcnt(1)
	v_fma_f64 v[54:55], -v[16:17], v[72:73], v[54:55]
	v_mov_b32_e32 v74, s8
	ds_read2_b64 v[74:77], v74 offset1:1
	v_fma_f64 v[54:55], -v[22:23], v[70:71], v[54:55]
	s_waitcnt lgkmcnt(1)
	v_fma_f64 v[54:55], -v[20:21], v[68:69], v[54:55]
	s_add_i32 s8, s6, 0xffffea80
	v_fma_f64 v[54:55], -v[30:31], v[66:67], v[54:55]
	v_mov_b32_e32 v66, s8
	ds_read2_b64 v[66:69], v66 offset1:1
	s_waitcnt lgkmcnt(1)
	v_fma_f64 v[54:55], -v[28:29], v[76:77], v[54:55]
	s_add_i32 s8, s6, 0xffffea70
	v_fma_f64 v[54:55], -v[34:35], v[74:75], v[54:55]
	v_mov_b32_e32 v70, s8
	ds_read2_b64 v[70:73], v70 offset1:1
	;; [unrolled: 6-line block ×3, first 2 shown]
	s_add_i32 s8, s6, 0xffffe9f8
	v_mov_b32_e32 v74, s8
	ds_read2_b64 v[74:77], v74 offset1:1
	s_waitcnt lgkmcnt(2)
	v_fma_f64 v[54:55], -v[40:41], v[72:73], v[54:55]
	v_fma_f64 v[54:55], -v[46:47], v[70:71], v[54:55]
	s_waitcnt lgkmcnt(1)
	v_fma_f64 v[54:55], -v[44:45], v[68:69], v[54:55]
	s_add_i32 s8, s6, 0xffffe9e8
	v_mul_f64 v[54:55], v[66:67], v[54:55]
	v_mov_b32_e32 v66, s8
	ds_read2_b64 v[66:69], v66 offset1:1
	s_waitcnt lgkmcnt(1)
	v_mul_f64 v[76:77], v[62:63], v[76:77]
	s_add_i32 s8, s6, 0xffffe9d8
	v_fma_f64 v[52:53], v[52:53], s[0:1], -v[76:77]
	v_mov_b32_e32 v70, s8
	ds_read2_b64 v[70:73], v70 offset1:1
	v_fma_f64 v[52:53], -v[64:65], v[74:75], v[52:53]
	s_waitcnt lgkmcnt(1)
	v_fma_f64 v[52:53], -v[6:7], v[68:69], v[52:53]
	s_add_i32 s8, s6, 0xffffe9c8
	v_fma_f64 v[52:53], -v[4:5], v[66:67], v[52:53]
	v_mov_b32_e32 v66, s8
	ds_read2_b64 v[66:69], v66 offset1:1
	s_waitcnt lgkmcnt(1)
	v_fma_f64 v[52:53], -v[10:11], v[72:73], v[52:53]
	s_add_i32 s8, s6, 0xffffe9b8
	v_fma_f64 v[52:53], -v[8:9], v[70:71], v[52:53]
	v_mov_b32_e32 v70, s8
	ds_read2_b64 v[70:73], v70 offset1:1
	;; [unrolled: 6-line block ×3, first 2 shown]
	s_add_i32 s8, s6, 0xffffe998
	s_waitcnt lgkmcnt(1)
	v_fma_f64 v[52:53], -v[18:19], v[72:73], v[52:53]
	v_mov_b32_e32 v74, s8
	ds_read2_b64 v[74:77], v74 offset1:1
	v_fma_f64 v[52:53], -v[16:17], v[70:71], v[52:53]
	s_waitcnt lgkmcnt(1)
	v_fma_f64 v[52:53], -v[22:23], v[68:69], v[52:53]
	s_add_i32 s8, s6, 0xffffe988
	v_fma_f64 v[52:53], -v[20:21], v[66:67], v[52:53]
	v_mov_b32_e32 v66, s8
	ds_read2_b64 v[66:69], v66 offset1:1
	s_waitcnt lgkmcnt(1)
	v_fma_f64 v[52:53], -v[30:31], v[76:77], v[52:53]
	s_add_i32 s8, s6, 0xffffe978
	v_fma_f64 v[52:53], -v[28:29], v[74:75], v[52:53]
	v_mov_b32_e32 v70, s8
	ds_read2_b64 v[70:73], v70 offset1:1
	;; [unrolled: 6-line block ×3, first 2 shown]
	s_add_i32 s8, s7, 0xffffe950
	s_waitcnt lgkmcnt(1)
	v_fma_f64 v[52:53], -v[42:43], v[72:73], v[52:53]
	v_mov_b32_e32 v74, s8
	ds_read2_b64 v[74:77], v74 offset1:1
	v_fma_f64 v[52:53], -v[40:41], v[70:71], v[52:53]
	s_waitcnt lgkmcnt(1)
	v_fma_f64 v[52:53], -v[46:47], v[68:69], v[52:53]
	s_add_i32 s8, s6, 0xffffe900
	v_fma_f64 v[52:53], -v[44:45], v[66:67], v[52:53]
	v_mov_b32_e32 v66, s8
	ds_read_b64 v[70:71], v66
	s_add_i32 s8, s6, 0xffffe8f0
	v_mov_b32_e32 v66, s8
	ds_read2_b64 v[66:69], v66 offset1:1
	s_add_i32 s8, s6, 0xffffe8e0
	s_waitcnt lgkmcnt(1)
	v_mul_f64 v[70:71], v[62:63], v[70:71]
	s_waitcnt vmcnt(10)
	v_fma_f64 v[58:59], v[58:59], s[0:1], -v[70:71]
	v_mov_b32_e32 v70, s8
	ds_read2_b64 v[70:73], v70 offset1:1
	v_fma_f64 v[52:53], -v[54:55], v[76:77], v[52:53]
	s_add_i32 s8, s6, 0xffffe8d0
	v_mul_f64 v[52:53], v[74:75], v[52:53]
	v_mov_b32_e32 v74, s8
	ds_read2_b64 v[74:77], v74 offset1:1
	s_waitcnt lgkmcnt(2)
	v_fma_f64 v[58:59], -v[64:65], v[68:69], v[58:59]
	s_add_i32 s8, s6, 0xffffe8c0
	v_fma_f64 v[58:59], -v[6:7], v[66:67], v[58:59]
	v_mov_b32_e32 v66, s8
	ds_read2_b64 v[66:69], v66 offset1:1
	s_waitcnt lgkmcnt(2)
	v_fma_f64 v[58:59], -v[4:5], v[72:73], v[58:59]
	v_fma_f64 v[58:59], -v[10:11], v[70:71], v[58:59]
	s_waitcnt lgkmcnt(1)
	v_fma_f64 v[58:59], -v[8:9], v[76:77], v[58:59]
	s_add_i32 s8, s6, 0xffffe8b0
	v_fma_f64 v[58:59], -v[14:15], v[74:75], v[58:59]
	v_mov_b32_e32 v70, s8
	ds_read2_b64 v[70:73], v70 offset1:1
	s_waitcnt lgkmcnt(1)
	v_fma_f64 v[58:59], -v[12:13], v[68:69], v[58:59]
	s_add_i32 s8, s6, 0xffffe8a0
	v_fma_f64 v[58:59], -v[18:19], v[66:67], v[58:59]
	v_mov_b32_e32 v66, s8
	ds_read2_b64 v[66:69], v66 offset1:1
	s_add_i32 s8, s6, 0xffffe890
	s_waitcnt lgkmcnt(1)
	v_fma_f64 v[58:59], -v[16:17], v[72:73], v[58:59]
	v_mov_b32_e32 v74, s8
	ds_read2_b64 v[74:77], v74 offset1:1
	v_fma_f64 v[58:59], -v[22:23], v[70:71], v[58:59]
	s_waitcnt lgkmcnt(1)
	v_fma_f64 v[58:59], -v[20:21], v[68:69], v[58:59]
	s_add_i32 s8, s6, 0xffffe880
	v_fma_f64 v[58:59], -v[30:31], v[66:67], v[58:59]
	v_mov_b32_e32 v66, s8
	ds_read2_b64 v[66:69], v66 offset1:1
	s_waitcnt lgkmcnt(1)
	v_fma_f64 v[58:59], -v[28:29], v[76:77], v[58:59]
	s_add_i32 s8, s6, 0xffffe870
	v_fma_f64 v[58:59], -v[34:35], v[74:75], v[58:59]
	v_mov_b32_e32 v70, s8
	ds_read2_b64 v[70:73], v70 offset1:1
	s_waitcnt lgkmcnt(1)
	v_fma_f64 v[58:59], -v[32:33], v[68:69], v[58:59]
	s_add_i32 s8, s6, 0xffffe860
	v_fma_f64 v[58:59], -v[42:43], v[66:67], v[58:59]
	v_mov_b32_e32 v66, s8
	ds_read2_b64 v[66:69], v66 offset1:1
	s_add_i32 s8, s7, 0xffffe848
	s_waitcnt lgkmcnt(1)
	v_fma_f64 v[58:59], -v[40:41], v[72:73], v[58:59]
	v_mov_b32_e32 v74, s8
	ds_read2_b64 v[74:77], v74 offset1:1
	v_fma_f64 v[58:59], -v[46:47], v[70:71], v[58:59]
	s_waitcnt lgkmcnt(1)
	v_fma_f64 v[58:59], -v[44:45], v[68:69], v[58:59]
	s_add_i32 s8, s6, 0xffffe7f8
	v_fma_f64 v[58:59], -v[54:55], v[66:67], v[58:59]
	v_mov_b32_e32 v66, s8
	ds_read2_b64 v[66:69], v66 offset1:1
	s_add_i32 s8, s6, 0xffffe7e8
	v_mov_b32_e32 v70, s8
	ds_read2_b64 v[70:73], v70 offset1:1
	s_add_i32 s8, s6, 0xffffe7d8
	s_waitcnt lgkmcnt(1)
	v_mul_f64 v[68:69], v[62:63], v[68:69]
	v_fma_f64 v[56:57], v[56:57], s[0:1], -v[68:69]
	v_fma_f64 v[56:57], -v[64:65], v[66:67], v[56:57]
	v_mov_b32_e32 v66, s8
	ds_read2_b64 v[66:69], v66 offset1:1
	v_fma_f64 v[58:59], -v[52:53], v[76:77], v[58:59]
	s_add_i32 s8, s6, 0xffffe7c8
	s_waitcnt lgkmcnt(1)
	v_fma_f64 v[56:57], -v[6:7], v[72:73], v[56:57]
	v_mul_f64 v[58:59], v[74:75], v[58:59]
	v_mov_b32_e32 v74, s8
	ds_read2_b64 v[74:77], v74 offset1:1
	v_fma_f64 v[56:57], -v[4:5], v[70:71], v[56:57]
	s_waitcnt lgkmcnt(1)
	v_fma_f64 v[56:57], -v[10:11], v[68:69], v[56:57]
	s_add_i32 s8, s6, 0xffffe7b8
	v_fma_f64 v[56:57], -v[8:9], v[66:67], v[56:57]
	v_mov_b32_e32 v66, s8
	ds_read2_b64 v[66:69], v66 offset1:1
	s_waitcnt lgkmcnt(1)
	v_fma_f64 v[56:57], -v[14:15], v[76:77], v[56:57]
	s_add_i32 s8, s6, 0xffffe7a8
	v_fma_f64 v[56:57], -v[12:13], v[74:75], v[56:57]
	v_mov_b32_e32 v70, s8
	ds_read2_b64 v[70:73], v70 offset1:1
	;; [unrolled: 6-line block ×3, first 2 shown]
	s_add_i32 s8, s6, 0xffffe788
	s_waitcnt lgkmcnt(1)
	v_fma_f64 v[56:57], -v[22:23], v[72:73], v[56:57]
	v_mov_b32_e32 v74, s8
	ds_read2_b64 v[74:77], v74 offset1:1
	v_fma_f64 v[56:57], -v[20:21], v[70:71], v[56:57]
	s_waitcnt lgkmcnt(1)
	v_fma_f64 v[56:57], -v[30:31], v[68:69], v[56:57]
	s_add_i32 s8, s6, 0xffffe778
	v_fma_f64 v[56:57], -v[28:29], v[66:67], v[56:57]
	v_mov_b32_e32 v66, s8
	ds_read2_b64 v[66:69], v66 offset1:1
	s_waitcnt lgkmcnt(1)
	v_fma_f64 v[56:57], -v[34:35], v[76:77], v[56:57]
	s_add_i32 s8, s6, 0xffffe768
	v_fma_f64 v[56:57], -v[32:33], v[74:75], v[56:57]
	v_mov_b32_e32 v70, s8
	ds_read2_b64 v[70:73], v70 offset1:1
	;; [unrolled: 6-line block ×3, first 2 shown]
	s_add_i32 s8, s7, 0xffffe740
	s_waitcnt lgkmcnt(1)
	v_fma_f64 v[56:57], -v[46:47], v[72:73], v[56:57]
	v_mov_b32_e32 v74, s8
	ds_read2_b64 v[74:77], v74 offset1:1
	v_fma_f64 v[56:57], -v[44:45], v[70:71], v[56:57]
	s_waitcnt lgkmcnt(1)
	v_fma_f64 v[56:57], -v[54:55], v[68:69], v[56:57]
	s_add_i32 s8, s6, 0xffffe700
	v_fma_f64 v[56:57], -v[52:53], v[66:67], v[56:57]
	v_mov_b32_e32 v66, s8
	s_add_i32 s8, s6, 0xffffe6f0
	ds_read_b64 v[70:71], v66
	v_mov_b32_e32 v66, s8
	ds_read2_b64 v[66:69], v66 offset1:1
	s_add_i32 s8, s6, 0xffffe6e0
	s_waitcnt lgkmcnt(2)
	v_fma_f64 v[56:57], -v[58:59], v[76:77], v[56:57]
	s_waitcnt lgkmcnt(1)
	v_mul_f64 v[70:71], v[62:63], v[70:71]
	s_waitcnt vmcnt(9)
	v_fma_f64 v[50:51], v[50:51], s[0:1], -v[70:71]
	s_waitcnt lgkmcnt(0)
	v_fma_f64 v[50:51], -v[64:65], v[68:69], v[50:51]
	v_mov_b32_e32 v68, s8
	ds_read2_b64 v[68:71], v68 offset1:1
	s_add_i32 s8, s6, 0xffffe6d0
	v_fma_f64 v[50:51], -v[6:7], v[66:67], v[50:51]
	v_mov_b32_e32 v66, s8
	v_mul_f64 v[56:57], v[74:75], v[56:57]
	ds_read2_b64 v[72:75], v66 offset1:1
	s_add_i32 s8, s6, 0xffffe6c0
	s_waitcnt lgkmcnt(1)
	v_fma_f64 v[50:51], -v[4:5], v[70:71], v[50:51]
	v_mov_b32_e32 v66, s8
	v_fma_f64 v[50:51], -v[10:11], v[68:69], v[50:51]
	ds_read2_b64 v[66:69], v66 offset1:1
	s_add_i32 s8, s6, 0xffffe6b0
	s_waitcnt lgkmcnt(1)
	v_fma_f64 v[50:51], -v[8:9], v[74:75], v[50:51]
	v_mov_b32_e32 v70, s8
	ds_read2_b64 v[76:79], v70 offset1:1
	v_fma_f64 v[50:51], -v[14:15], v[72:73], v[50:51]
	s_waitcnt lgkmcnt(1)
	v_fma_f64 v[50:51], -v[12:13], v[68:69], v[50:51]
	s_add_i32 s8, s6, 0xffffe6a0
	v_fma_f64 v[50:51], -v[18:19], v[66:67], v[50:51]
	v_mov_b32_e32 v66, s8
	ds_read2_b64 v[66:69], v66 offset1:1
	s_waitcnt lgkmcnt(1)
	v_fma_f64 v[50:51], -v[16:17], v[78:79], v[50:51]
	s_add_i32 s8, s6, 0xffffe690
	v_fma_f64 v[50:51], -v[22:23], v[76:77], v[50:51]
	v_mov_b32_e32 v70, s8
	ds_read2_b64 v[70:73], v70 offset1:1
	;; [unrolled: 6-line block ×3, first 2 shown]
	s_add_i32 s8, s6, 0xffffe670
	s_waitcnt lgkmcnt(1)
	v_fma_f64 v[50:51], -v[28:29], v[72:73], v[50:51]
	v_mov_b32_e32 v74, s8
	ds_read2_b64 v[74:77], v74 offset1:1
	v_fma_f64 v[50:51], -v[34:35], v[70:71], v[50:51]
	s_waitcnt lgkmcnt(1)
	v_fma_f64 v[50:51], -v[32:33], v[68:69], v[50:51]
	s_add_i32 s8, s6, 0xffffe660
	v_fma_f64 v[50:51], -v[42:43], v[66:67], v[50:51]
	v_mov_b32_e32 v66, s8
	ds_read2_b64 v[66:69], v66 offset1:1
	s_waitcnt lgkmcnt(1)
	v_fma_f64 v[50:51], -v[40:41], v[76:77], v[50:51]
	s_add_i32 s8, s6, 0xffffe650
	v_fma_f64 v[50:51], -v[46:47], v[74:75], v[50:51]
	v_mov_b32_e32 v70, s8
	ds_read2_b64 v[70:73], v70 offset1:1
	s_waitcnt lgkmcnt(1)
	v_fma_f64 v[50:51], -v[44:45], v[68:69], v[50:51]
	s_add_i32 s8, s7, 0xffffe638
	v_fma_f64 v[50:51], -v[54:55], v[66:67], v[50:51]
	v_mov_b32_e32 v66, s8
	s_add_i32 s8, s6, 0xffffe5f8
	ds_read2_b64 v[66:69], v66 offset1:1
	v_mov_b32_e32 v74, s8
	ds_read2_b64 v[74:77], v74 offset1:1
	s_waitcnt lgkmcnt(2)
	v_fma_f64 v[50:51], -v[52:53], v[72:73], v[50:51]
	v_fma_f64 v[50:51], -v[58:59], v[70:71], v[50:51]
	s_waitcnt lgkmcnt(1)
	v_fma_f64 v[50:51], -v[56:57], v[68:69], v[50:51]
	v_mul_f64 v[50:51], v[66:67], v[50:51]
	s_waitcnt lgkmcnt(0)
	v_mul_f64 v[66:67], v[62:63], v[76:77]
	s_add_i32 s8, s6, 0xffffe5e8
	v_fma_f64 v[48:49], v[48:49], s[0:1], -v[66:67]
	v_mov_b32_e32 v66, s8
	ds_read2_b64 v[66:69], v66 offset1:1
	s_add_i32 s8, s6, 0xffffe5d8
	v_fma_f64 v[48:49], -v[64:65], v[74:75], v[48:49]
	v_mov_b32_e32 v70, s8
	ds_read2_b64 v[70:73], v70 offset1:1
	s_waitcnt lgkmcnt(1)
	v_fma_f64 v[48:49], -v[6:7], v[68:69], v[48:49]
	s_add_i32 s8, s6, 0xffffe5c8
	v_fma_f64 v[48:49], -v[4:5], v[66:67], v[48:49]
	v_mov_b32_e32 v66, s8
	ds_read2_b64 v[66:69], v66 offset1:1
	s_add_i32 s8, s6, 0xffffe5b8
	s_waitcnt lgkmcnt(1)
	v_fma_f64 v[48:49], -v[10:11], v[72:73], v[48:49]
	v_mov_b32_e32 v74, s8
	ds_read2_b64 v[74:77], v74 offset1:1
	v_fma_f64 v[48:49], -v[8:9], v[70:71], v[48:49]
	s_waitcnt lgkmcnt(1)
	v_fma_f64 v[48:49], -v[14:15], v[68:69], v[48:49]
	s_add_i32 s8, s6, 0xffffe5a8
	v_fma_f64 v[48:49], -v[12:13], v[66:67], v[48:49]
	v_mov_b32_e32 v66, s8
	ds_read2_b64 v[66:69], v66 offset1:1
	s_waitcnt lgkmcnt(1)
	v_fma_f64 v[48:49], -v[18:19], v[76:77], v[48:49]
	s_add_i32 s8, s6, 0xffffe598
	v_fma_f64 v[48:49], -v[16:17], v[74:75], v[48:49]
	v_mov_b32_e32 v70, s8
	ds_read2_b64 v[70:73], v70 offset1:1
	;; [unrolled: 6-line block ×3, first 2 shown]
	s_add_i32 s8, s6, 0xffffe578
	s_waitcnt lgkmcnt(1)
	v_fma_f64 v[48:49], -v[30:31], v[72:73], v[48:49]
	v_mov_b32_e32 v74, s8
	ds_read2_b64 v[74:77], v74 offset1:1
	v_fma_f64 v[48:49], -v[28:29], v[70:71], v[48:49]
	s_waitcnt lgkmcnt(1)
	v_fma_f64 v[48:49], -v[34:35], v[68:69], v[48:49]
	s_add_i32 s8, s6, 0xffffe568
	v_fma_f64 v[48:49], -v[32:33], v[66:67], v[48:49]
	v_mov_b32_e32 v66, s8
	ds_read2_b64 v[66:69], v66 offset1:1
	s_waitcnt lgkmcnt(1)
	v_fma_f64 v[48:49], -v[42:43], v[76:77], v[48:49]
	s_add_i32 s8, s6, 0xffffe558
	v_fma_f64 v[48:49], -v[40:41], v[74:75], v[48:49]
	v_mov_b32_e32 v70, s8
	ds_read2_b64 v[70:73], v70 offset1:1
	;; [unrolled: 6-line block ×3, first 2 shown]
	s_add_i32 s8, s7, 0xffffe530
	s_waitcnt lgkmcnt(1)
	v_fma_f64 v[48:49], -v[54:55], v[72:73], v[48:49]
	v_mov_b32_e32 v74, s8
	ds_read2_b64 v[74:77], v74 offset1:1
	v_fma_f64 v[48:49], -v[52:53], v[70:71], v[48:49]
	s_waitcnt lgkmcnt(1)
	v_fma_f64 v[48:49], -v[58:59], v[68:69], v[48:49]
	s_add_i32 s8, s6, 0xffffe500
	v_fma_f64 v[48:49], -v[56:57], v[66:67], v[48:49]
	v_mov_b32_e32 v66, s8
	s_add_i32 s8, s6, 0xffffe4f0
	ds_read_b64 v[70:71], v66
	v_mov_b32_e32 v66, s8
	ds_read2_b64 v[66:69], v66 offset1:1
	s_add_i32 s8, s6, 0xffffe4e0
	s_waitcnt lgkmcnt(2)
	v_fma_f64 v[48:49], -v[50:51], v[76:77], v[48:49]
	s_waitcnt lgkmcnt(1)
	v_mul_f64 v[70:71], v[62:63], v[70:71]
	s_waitcnt vmcnt(8)
	v_fma_f64 v[38:39], v[38:39], s[0:1], -v[70:71]
	s_waitcnt lgkmcnt(0)
	v_fma_f64 v[38:39], -v[64:65], v[68:69], v[38:39]
	v_mov_b32_e32 v68, s8
	ds_read2_b64 v[68:71], v68 offset1:1
	s_add_i32 s8, s6, 0xffffe4d0
	v_fma_f64 v[38:39], -v[6:7], v[66:67], v[38:39]
	v_mov_b32_e32 v66, s8
	v_mul_f64 v[48:49], v[74:75], v[48:49]
	ds_read2_b64 v[72:75], v66 offset1:1
	s_add_i32 s8, s6, 0xffffe4c0
	s_waitcnt lgkmcnt(1)
	v_fma_f64 v[38:39], -v[4:5], v[70:71], v[38:39]
	v_mov_b32_e32 v66, s8
	v_fma_f64 v[38:39], -v[10:11], v[68:69], v[38:39]
	ds_read2_b64 v[66:69], v66 offset1:1
	s_add_i32 s8, s6, 0xffffe4b0
	s_waitcnt lgkmcnt(1)
	v_fma_f64 v[38:39], -v[8:9], v[74:75], v[38:39]
	v_mov_b32_e32 v70, s8
	ds_read2_b64 v[76:79], v70 offset1:1
	v_fma_f64 v[38:39], -v[14:15], v[72:73], v[38:39]
	s_waitcnt lgkmcnt(1)
	v_fma_f64 v[38:39], -v[12:13], v[68:69], v[38:39]
	s_add_i32 s8, s6, 0xffffe4a0
	v_fma_f64 v[38:39], -v[18:19], v[66:67], v[38:39]
	v_mov_b32_e32 v66, s8
	ds_read2_b64 v[66:69], v66 offset1:1
	s_waitcnt lgkmcnt(1)
	v_fma_f64 v[38:39], -v[16:17], v[78:79], v[38:39]
	s_add_i32 s8, s6, 0xffffe490
	v_fma_f64 v[38:39], -v[22:23], v[76:77], v[38:39]
	v_mov_b32_e32 v70, s8
	ds_read2_b64 v[70:73], v70 offset1:1
	;; [unrolled: 6-line block ×3, first 2 shown]
	s_add_i32 s8, s6, 0xffffe470
	s_waitcnt lgkmcnt(1)
	v_fma_f64 v[38:39], -v[28:29], v[72:73], v[38:39]
	v_mov_b32_e32 v74, s8
	ds_read2_b64 v[74:77], v74 offset1:1
	v_fma_f64 v[38:39], -v[34:35], v[70:71], v[38:39]
	s_waitcnt lgkmcnt(1)
	v_fma_f64 v[38:39], -v[32:33], v[68:69], v[38:39]
	s_add_i32 s8, s6, 0xffffe460
	v_fma_f64 v[38:39], -v[42:43], v[66:67], v[38:39]
	v_mov_b32_e32 v66, s8
	ds_read2_b64 v[66:69], v66 offset1:1
	s_waitcnt lgkmcnt(1)
	v_fma_f64 v[38:39], -v[40:41], v[76:77], v[38:39]
	s_add_i32 s8, s6, 0xffffe450
	v_fma_f64 v[38:39], -v[46:47], v[74:75], v[38:39]
	v_mov_b32_e32 v70, s8
	ds_read2_b64 v[70:73], v70 offset1:1
	;; [unrolled: 6-line block ×3, first 2 shown]
	s_add_i32 s8, s7, 0xffffe428
	s_waitcnt lgkmcnt(1)
	v_fma_f64 v[38:39], -v[52:53], v[72:73], v[38:39]
	v_mov_b32_e32 v74, s8
	ds_read2_b64 v[74:77], v74 offset1:1
	v_fma_f64 v[38:39], -v[58:59], v[70:71], v[38:39]
	s_waitcnt lgkmcnt(1)
	v_fma_f64 v[38:39], -v[56:57], v[68:69], v[38:39]
	s_add_i32 s8, s6, 0xffffe3f8
	v_fma_f64 v[38:39], -v[50:51], v[66:67], v[38:39]
	v_mov_b32_e32 v66, s8
	ds_read2_b64 v[66:69], v66 offset1:1
	s_add_i32 s8, s6, 0xffffe3e8
	v_mov_b32_e32 v70, s8
	ds_read2_b64 v[70:73], v70 offset1:1
	s_add_i32 s8, s6, 0xffffe3d8
	s_waitcnt lgkmcnt(1)
	v_mul_f64 v[68:69], v[62:63], v[68:69]
	v_fma_f64 v[36:37], v[36:37], s[0:1], -v[68:69]
	v_fma_f64 v[36:37], -v[64:65], v[66:67], v[36:37]
	v_mov_b32_e32 v66, s8
	ds_read2_b64 v[66:69], v66 offset1:1
	s_waitcnt lgkmcnt(1)
	v_fma_f64 v[36:37], -v[6:7], v[72:73], v[36:37]
	s_add_i32 s8, s6, 0xffffe3c8
	v_fma_f64 v[36:37], -v[4:5], v[70:71], v[36:37]
	v_mov_b32_e32 v70, s8
	ds_read2_b64 v[70:73], v70 offset1:1
	s_waitcnt lgkmcnt(1)
	v_fma_f64 v[36:37], -v[10:11], v[68:69], v[36:37]
	s_add_i32 s8, s6, 0xffffe3b8
	v_fma_f64 v[36:37], -v[8:9], v[66:67], v[36:37]
	v_mov_b32_e32 v66, s8
	ds_read2_b64 v[66:69], v66 offset1:1
	v_fma_f64 v[38:39], -v[48:49], v[76:77], v[38:39]
	s_add_i32 s8, s6, 0xffffe3a8
	s_waitcnt lgkmcnt(1)
	v_fma_f64 v[36:37], -v[14:15], v[72:73], v[36:37]
	v_mul_f64 v[38:39], v[74:75], v[38:39]
	v_mov_b32_e32 v74, s8
	ds_read2_b64 v[74:77], v74 offset1:1
	v_fma_f64 v[36:37], -v[12:13], v[70:71], v[36:37]
	s_waitcnt lgkmcnt(1)
	v_fma_f64 v[36:37], -v[18:19], v[68:69], v[36:37]
	s_add_i32 s8, s6, 0xffffe398
	v_fma_f64 v[36:37], -v[16:17], v[66:67], v[36:37]
	v_mov_b32_e32 v66, s8
	ds_read2_b64 v[66:69], v66 offset1:1
	s_waitcnt lgkmcnt(1)
	v_fma_f64 v[36:37], -v[22:23], v[76:77], v[36:37]
	s_add_i32 s8, s6, 0xffffe388
	v_fma_f64 v[36:37], -v[20:21], v[74:75], v[36:37]
	v_mov_b32_e32 v70, s8
	ds_read2_b64 v[70:73], v70 offset1:1
	;; [unrolled: 6-line block ×3, first 2 shown]
	s_add_i32 s8, s6, 0xffffe368
	s_waitcnt lgkmcnt(1)
	v_fma_f64 v[36:37], -v[34:35], v[72:73], v[36:37]
	v_mov_b32_e32 v74, s8
	ds_read2_b64 v[74:77], v74 offset1:1
	v_fma_f64 v[36:37], -v[32:33], v[70:71], v[36:37]
	s_waitcnt lgkmcnt(1)
	v_fma_f64 v[36:37], -v[42:43], v[68:69], v[36:37]
	s_add_i32 s8, s6, 0xffffe358
	v_fma_f64 v[36:37], -v[40:41], v[66:67], v[36:37]
	v_mov_b32_e32 v66, s8
	ds_read2_b64 v[66:69], v66 offset1:1
	s_waitcnt lgkmcnt(1)
	v_fma_f64 v[36:37], -v[46:47], v[76:77], v[36:37]
	s_add_i32 s8, s6, 0xffffe348
	v_fma_f64 v[36:37], -v[44:45], v[74:75], v[36:37]
	v_mov_b32_e32 v70, s8
	ds_read2_b64 v[70:73], v70 offset1:1
	;; [unrolled: 6-line block ×3, first 2 shown]
	s_add_i32 s8, s7, 0xffffe320
	s_waitcnt lgkmcnt(1)
	v_fma_f64 v[36:37], -v[58:59], v[72:73], v[36:37]
	v_mov_b32_e32 v74, s8
	ds_read2_b64 v[74:77], v74 offset1:1
	v_fma_f64 v[36:37], -v[56:57], v[70:71], v[36:37]
	s_waitcnt lgkmcnt(1)
	v_fma_f64 v[36:37], -v[50:51], v[68:69], v[36:37]
	s_add_i32 s8, s6, 0xffffe300
	v_fma_f64 v[36:37], -v[48:49], v[66:67], v[36:37]
	v_mov_b32_e32 v66, s8
	ds_read_b64 v[70:71], v66
	s_add_i32 s8, s6, 0xffffe2f0
	v_mov_b32_e32 v66, s8
	ds_read2_b64 v[66:69], v66 offset1:1
	s_add_i32 s8, s6, 0xffffe2e0
	s_waitcnt lgkmcnt(1)
	v_mul_f64 v[70:71], v[62:63], v[70:71]
	s_waitcnt vmcnt(7)
	v_fma_f64 v[26:27], v[26:27], s[0:1], -v[70:71]
	v_mov_b32_e32 v70, s8
	ds_read2_b64 v[70:73], v70 offset1:1
	v_fma_f64 v[36:37], -v[38:39], v[76:77], v[36:37]
	s_add_i32 s8, s6, 0xffffe2d0
	v_mul_f64 v[36:37], v[74:75], v[36:37]
	v_mov_b32_e32 v74, s8
	ds_read2_b64 v[74:77], v74 offset1:1
	s_waitcnt lgkmcnt(2)
	v_fma_f64 v[26:27], -v[64:65], v[68:69], v[26:27]
	s_add_i32 s8, s6, 0xffffe2c0
	v_fma_f64 v[26:27], -v[6:7], v[66:67], v[26:27]
	v_mov_b32_e32 v66, s8
	ds_read2_b64 v[66:69], v66 offset1:1
	s_waitcnt lgkmcnt(2)
	v_fma_f64 v[26:27], -v[4:5], v[72:73], v[26:27]
	v_fma_f64 v[26:27], -v[10:11], v[70:71], v[26:27]
	s_waitcnt lgkmcnt(1)
	v_fma_f64 v[26:27], -v[8:9], v[76:77], v[26:27]
	s_add_i32 s8, s6, 0xffffe2b0
	v_fma_f64 v[26:27], -v[14:15], v[74:75], v[26:27]
	v_mov_b32_e32 v70, s8
	ds_read2_b64 v[70:73], v70 offset1:1
	s_waitcnt lgkmcnt(1)
	v_fma_f64 v[26:27], -v[12:13], v[68:69], v[26:27]
	s_add_i32 s8, s6, 0xffffe2a0
	v_fma_f64 v[26:27], -v[18:19], v[66:67], v[26:27]
	v_mov_b32_e32 v66, s8
	ds_read2_b64 v[66:69], v66 offset1:1
	s_add_i32 s8, s6, 0xffffe290
	s_waitcnt lgkmcnt(1)
	v_fma_f64 v[26:27], -v[16:17], v[72:73], v[26:27]
	v_mov_b32_e32 v74, s8
	ds_read2_b64 v[74:77], v74 offset1:1
	v_fma_f64 v[26:27], -v[22:23], v[70:71], v[26:27]
	s_waitcnt lgkmcnt(1)
	v_fma_f64 v[26:27], -v[20:21], v[68:69], v[26:27]
	s_add_i32 s8, s6, 0xffffe280
	v_fma_f64 v[26:27], -v[30:31], v[66:67], v[26:27]
	v_mov_b32_e32 v66, s8
	ds_read2_b64 v[66:69], v66 offset1:1
	s_waitcnt lgkmcnt(1)
	v_fma_f64 v[26:27], -v[28:29], v[76:77], v[26:27]
	s_add_i32 s8, s6, 0xffffe270
	v_fma_f64 v[26:27], -v[34:35], v[74:75], v[26:27]
	v_mov_b32_e32 v70, s8
	ds_read2_b64 v[70:73], v70 offset1:1
	;; [unrolled: 6-line block ×3, first 2 shown]
	s_add_i32 s8, s6, 0xffffe250
	s_waitcnt lgkmcnt(1)
	v_fma_f64 v[26:27], -v[40:41], v[72:73], v[26:27]
	v_mov_b32_e32 v74, s8
	ds_read2_b64 v[74:77], v74 offset1:1
	v_fma_f64 v[26:27], -v[46:47], v[70:71], v[26:27]
	s_waitcnt lgkmcnt(1)
	v_fma_f64 v[26:27], -v[44:45], v[68:69], v[26:27]
	s_add_i32 s8, s6, 0xffffe240
	v_fma_f64 v[26:27], -v[54:55], v[66:67], v[26:27]
	v_mov_b32_e32 v66, s8
	ds_read2_b64 v[66:69], v66 offset1:1
	s_waitcnt lgkmcnt(1)
	v_fma_f64 v[26:27], -v[52:53], v[76:77], v[26:27]
	s_add_i32 s8, s6, 0xffffe230
	v_fma_f64 v[26:27], -v[58:59], v[74:75], v[26:27]
	v_mov_b32_e32 v70, s8
	ds_read2_b64 v[70:73], v70 offset1:1
	;; [unrolled: 6-line block ×3, first 2 shown]
	s_add_i32 s8, s6, 0xffffe1f8
	v_mov_b32_e32 v74, s8
	ds_read2_b64 v[74:77], v74 offset1:1
	s_waitcnt lgkmcnt(2)
	v_fma_f64 v[26:27], -v[48:49], v[72:73], v[26:27]
	v_fma_f64 v[26:27], -v[38:39], v[70:71], v[26:27]
	s_waitcnt lgkmcnt(1)
	v_fma_f64 v[26:27], -v[36:37], v[68:69], v[26:27]
	s_add_i32 s8, s6, 0xffffe1e8
	v_mul_f64 v[26:27], v[66:67], v[26:27]
	v_mov_b32_e32 v66, s8
	ds_read2_b64 v[66:69], v66 offset1:1
	s_waitcnt lgkmcnt(1)
	v_mul_f64 v[76:77], v[62:63], v[76:77]
	s_add_i32 s8, s6, 0xffffe1d8
	v_fma_f64 v[24:25], v[24:25], s[0:1], -v[76:77]
	v_mov_b32_e32 v70, s8
	ds_read2_b64 v[70:73], v70 offset1:1
	v_fma_f64 v[24:25], -v[64:65], v[74:75], v[24:25]
	s_waitcnt lgkmcnt(1)
	v_fma_f64 v[24:25], -v[6:7], v[68:69], v[24:25]
	s_add_i32 s8, s6, 0xffffe1c8
	v_fma_f64 v[24:25], -v[4:5], v[66:67], v[24:25]
	v_mov_b32_e32 v66, s8
	ds_read2_b64 v[66:69], v66 offset1:1
	s_waitcnt lgkmcnt(1)
	v_fma_f64 v[24:25], -v[10:11], v[72:73], v[24:25]
	s_add_i32 s8, s6, 0xffffe1b8
	v_fma_f64 v[24:25], -v[8:9], v[70:71], v[24:25]
	v_mov_b32_e32 v70, s8
	ds_read2_b64 v[70:73], v70 offset1:1
	s_waitcnt lgkmcnt(1)
	v_fma_f64 v[24:25], -v[14:15], v[68:69], v[24:25]
	s_add_i32 s8, s6, 0xffffe1a8
	v_fma_f64 v[24:25], -v[12:13], v[66:67], v[24:25]
	v_mov_b32_e32 v66, s8
	ds_read2_b64 v[66:69], v66 offset1:1
	s_add_i32 s8, s6, 0xffffe198
	s_waitcnt lgkmcnt(1)
	v_fma_f64 v[24:25], -v[18:19], v[72:73], v[24:25]
	v_mov_b32_e32 v74, s8
	ds_read2_b64 v[74:77], v74 offset1:1
	v_fma_f64 v[24:25], -v[16:17], v[70:71], v[24:25]
	s_waitcnt lgkmcnt(1)
	v_fma_f64 v[24:25], -v[22:23], v[68:69], v[24:25]
	s_add_i32 s8, s6, 0xffffe188
	v_fma_f64 v[24:25], -v[20:21], v[66:67], v[24:25]
	v_mov_b32_e32 v66, s8
	ds_read2_b64 v[66:69], v66 offset1:1
	s_waitcnt lgkmcnt(1)
	v_fma_f64 v[24:25], -v[30:31], v[76:77], v[24:25]
	s_add_i32 s8, s6, 0xffffe178
	v_fma_f64 v[24:25], -v[28:29], v[74:75], v[24:25]
	v_mov_b32_e32 v70, s8
	ds_read2_b64 v[70:73], v70 offset1:1
	s_waitcnt lgkmcnt(1)
	v_fma_f64 v[24:25], -v[34:35], v[68:69], v[24:25]
	s_add_i32 s8, s6, 0xffffe168
	v_fma_f64 v[24:25], -v[32:33], v[66:67], v[24:25]
	v_mov_b32_e32 v66, s8
	ds_read2_b64 v[66:69], v66 offset1:1
	s_add_i32 s8, s6, 0xffffe158
	s_waitcnt lgkmcnt(1)
	v_fma_f64 v[24:25], -v[42:43], v[72:73], v[24:25]
	;; [unrolled: 24-line block ×3, first 2 shown]
	v_mov_b32_e32 v74, s8
	ds_read2_b64 v[74:77], v74 offset1:1
	v_fma_f64 v[24:25], -v[48:49], v[70:71], v[24:25]
	s_waitcnt lgkmcnt(1)
	v_fma_f64 v[24:25], -v[38:39], v[68:69], v[24:25]
	s_add_i32 s8, s6, 0xffffe100
	v_fma_f64 v[24:25], -v[36:37], v[66:67], v[24:25]
	v_mov_b32_e32 v66, s8
	ds_read_b64 v[70:71], v66
	s_add_i32 s8, s6, 0xffffe0f0
	v_mov_b32_e32 v66, s8
	ds_read2_b64 v[66:69], v66 offset1:1
	s_add_i32 s8, s6, 0xffffe0e0
	s_waitcnt lgkmcnt(1)
	v_mul_f64 v[70:71], v[62:63], v[70:71]
	s_waitcnt vmcnt(6)
	v_fma_f64 v[2:3], v[2:3], s[0:1], -v[70:71]
	v_mov_b32_e32 v70, s8
	ds_read2_b64 v[70:73], v70 offset1:1
	v_fma_f64 v[24:25], -v[26:27], v[76:77], v[24:25]
	s_add_i32 s8, s6, 0xffffe0d0
	v_mul_f64 v[24:25], v[74:75], v[24:25]
	v_mov_b32_e32 v74, s8
	ds_read2_b64 v[74:77], v74 offset1:1
	s_waitcnt lgkmcnt(2)
	v_fma_f64 v[2:3], -v[64:65], v[68:69], v[2:3]
	s_add_i32 s8, s6, 0xffffe0c0
	v_fma_f64 v[2:3], -v[6:7], v[66:67], v[2:3]
	v_mov_b32_e32 v66, s8
	ds_read2_b64 v[66:69], v66 offset1:1
	s_waitcnt lgkmcnt(2)
	v_fma_f64 v[2:3], -v[4:5], v[72:73], v[2:3]
	v_fma_f64 v[2:3], -v[10:11], v[70:71], v[2:3]
	s_waitcnt lgkmcnt(1)
	v_fma_f64 v[2:3], -v[8:9], v[76:77], v[2:3]
	s_add_i32 s8, s6, 0xffffe0b0
	v_fma_f64 v[2:3], -v[14:15], v[74:75], v[2:3]
	v_mov_b32_e32 v70, s8
	ds_read2_b64 v[70:73], v70 offset1:1
	s_waitcnt lgkmcnt(1)
	v_fma_f64 v[2:3], -v[12:13], v[68:69], v[2:3]
	s_add_i32 s8, s6, 0xffffe0a0
	v_fma_f64 v[2:3], -v[18:19], v[66:67], v[2:3]
	v_mov_b32_e32 v66, s8
	ds_read2_b64 v[66:69], v66 offset1:1
	s_add_i32 s8, s6, 0xffffe090
	s_waitcnt lgkmcnt(1)
	v_fma_f64 v[2:3], -v[16:17], v[72:73], v[2:3]
	v_mov_b32_e32 v74, s8
	ds_read2_b64 v[74:77], v74 offset1:1
	v_fma_f64 v[2:3], -v[22:23], v[70:71], v[2:3]
	s_waitcnt lgkmcnt(1)
	v_fma_f64 v[2:3], -v[20:21], v[68:69], v[2:3]
	s_add_i32 s8, s6, 0xffffe080
	v_fma_f64 v[2:3], -v[30:31], v[66:67], v[2:3]
	v_mov_b32_e32 v66, s8
	ds_read2_b64 v[66:69], v66 offset1:1
	s_waitcnt lgkmcnt(1)
	v_fma_f64 v[2:3], -v[28:29], v[76:77], v[2:3]
	s_add_i32 s8, s6, 0xffffe070
	v_fma_f64 v[2:3], -v[34:35], v[74:75], v[2:3]
	v_mov_b32_e32 v70, s8
	ds_read2_b64 v[70:73], v70 offset1:1
	s_waitcnt lgkmcnt(1)
	v_fma_f64 v[2:3], -v[32:33], v[68:69], v[2:3]
	s_add_i32 s8, s6, 0xffffe060
	v_fma_f64 v[2:3], -v[42:43], v[66:67], v[2:3]
	v_mov_b32_e32 v66, s8
	ds_read2_b64 v[66:69], v66 offset1:1
	s_add_i32 s8, s6, 0xffffe050
	s_waitcnt lgkmcnt(1)
	v_fma_f64 v[2:3], -v[40:41], v[72:73], v[2:3]
	v_mov_b32_e32 v74, s8
	ds_read2_b64 v[74:77], v74 offset1:1
	v_fma_f64 v[2:3], -v[46:47], v[70:71], v[2:3]
	s_waitcnt lgkmcnt(1)
	v_fma_f64 v[2:3], -v[44:45], v[68:69], v[2:3]
	s_add_i32 s8, s6, 0xffffe040
	v_fma_f64 v[2:3], -v[54:55], v[66:67], v[2:3]
	v_mov_b32_e32 v66, s8
	ds_read2_b64 v[66:69], v66 offset1:1
	;; [unrolled: 24-line block ×3, first 2 shown]
	s_add_i32 s8, s6, 0xffffdfe8
	v_mov_b32_e32 v70, s8
	ds_read2_b64 v[70:73], v70 offset1:1
	s_add_i32 s8, s6, 0xffffdfd8
	s_waitcnt lgkmcnt(1)
	v_mul_f64 v[62:63], v[62:63], v[68:69]
	v_fma_f64 v[0:1], v[0:1], s[0:1], -v[62:63]
	v_mov_b32_e32 v62, s8
	v_fma_f64 v[0:1], -v[64:65], v[66:67], v[0:1]
	s_add_i32 s8, s6, 0xffffdfc8
	ds_read2_b64 v[62:65], v62 offset1:1
	v_mov_b32_e32 v66, s8
	ds_read2_b64 v[66:69], v66 offset1:1
	s_waitcnt lgkmcnt(2)
	v_fma_f64 v[0:1], -v[6:7], v[72:73], v[0:1]
	s_add_i32 s8, s6, 0xffffdfb8
	v_fma_f64 v[0:1], -v[4:5], v[70:71], v[0:1]
	v_mov_b32_e32 v4, s8
	ds_read2_b64 v[4:7], v4 offset1:1
	s_waitcnt lgkmcnt(2)
	v_fma_f64 v[0:1], -v[10:11], v[64:65], v[0:1]
	v_fma_f64 v[0:1], -v[8:9], v[62:63], v[0:1]
	s_waitcnt lgkmcnt(1)
	v_fma_f64 v[0:1], -v[14:15], v[68:69], v[0:1]
	s_add_i32 s8, s6, 0xffffdfa8
	v_fma_f64 v[0:1], -v[12:13], v[66:67], v[0:1]
	v_mov_b32_e32 v8, s8
	ds_read2_b64 v[8:11], v8 offset1:1
	s_waitcnt lgkmcnt(1)
	v_fma_f64 v[0:1], -v[18:19], v[6:7], v[0:1]
	s_add_i32 s8, s6, 0xffffdf98
	v_fma_f64 v[0:1], -v[16:17], v[4:5], v[0:1]
	v_mov_b32_e32 v4, s8
	ds_read2_b64 v[4:7], v4 offset1:1
	s_add_i32 s8, s6, 0xffffdf88
	s_waitcnt lgkmcnt(1)
	v_fma_f64 v[0:1], -v[22:23], v[10:11], v[0:1]
	v_mov_b32_e32 v12, s8
	ds_read2_b64 v[12:15], v12 offset1:1
	v_fma_f64 v[0:1], -v[20:21], v[8:9], v[0:1]
	s_waitcnt lgkmcnt(1)
	v_fma_f64 v[0:1], -v[30:31], v[6:7], v[0:1]
	s_add_i32 s8, s6, 0xffffdf78
	v_fma_f64 v[0:1], -v[28:29], v[4:5], v[0:1]
	v_mov_b32_e32 v4, s8
	ds_read2_b64 v[4:7], v4 offset1:1
	s_waitcnt lgkmcnt(1)
	v_fma_f64 v[0:1], -v[34:35], v[14:15], v[0:1]
	s_add_i32 s8, s6, 0xffffdf68
	v_fma_f64 v[0:1], -v[32:33], v[12:13], v[0:1]
	v_mov_b32_e32 v8, s8
	ds_read2_b64 v[8:11], v8 offset1:1
	;; [unrolled: 6-line block ×3, first 2 shown]
	s_add_i32 s8, s6, 0xffffdf48
	s_waitcnt lgkmcnt(1)
	v_fma_f64 v[0:1], -v[46:47], v[10:11], v[0:1]
	v_mov_b32_e32 v12, s8
	ds_read2_b64 v[12:15], v12 offset1:1
	v_fma_f64 v[0:1], -v[44:45], v[8:9], v[0:1]
	s_waitcnt lgkmcnt(1)
	v_fma_f64 v[0:1], -v[54:55], v[6:7], v[0:1]
	s_add_i32 s8, s6, 0xffffdf38
	v_fma_f64 v[0:1], -v[52:53], v[4:5], v[0:1]
	v_mov_b32_e32 v4, s8
	ds_read2_b64 v[4:7], v4 offset1:1
	s_waitcnt lgkmcnt(1)
	v_fma_f64 v[0:1], -v[58:59], v[14:15], v[0:1]
	s_add_i32 s8, s6, 0xffffdf28
	v_fma_f64 v[0:1], -v[56:57], v[12:13], v[0:1]
	v_mov_b32_e32 v8, s8
	ds_read2_b64 v[8:11], v8 offset1:1
	s_waitcnt lgkmcnt(1)
	v_fma_f64 v[0:1], -v[50:51], v[6:7], v[0:1]
	s_addk_i32 s6, 0xdf18
	v_fma_f64 v[0:1], -v[48:49], v[4:5], v[0:1]
	v_mov_b32_e32 v4, s6
	s_add_i32 s6, s7, 0xffffdf00
	ds_read2_b64 v[4:7], v4 offset1:1
	v_mov_b32_e32 v12, s6
	ds_read2_b64 v[12:15], v12 offset1:1
	s_waitcnt lgkmcnt(2)
	v_fma_f64 v[0:1], -v[38:39], v[10:11], v[0:1]
	v_fma_f64 v[0:1], -v[36:37], v[8:9], v[0:1]
	;; [unrolled: 1-line block ×3, first 2 shown]
	s_waitcnt lgkmcnt(1)
	v_fma_f64 v[0:1], -v[26:27], v[6:7], v[0:1]
	v_mul_f64 v[2:3], v[74:75], v[2:3]
	v_fma_f64 v[0:1], -v[24:25], v[4:5], v[0:1]
	s_waitcnt lgkmcnt(0)
	v_fma_f64 v[0:1], -v[2:3], v[14:15], v[0:1]
	v_mul_f64 v[0:1], v[12:13], v[0:1]
	s_sub_i32 s6, s16, 33
	global_store_dwordx4 v[60:61], v[20:23], off offset:-96
	global_store_dwordx4 v[60:61], v[28:31], off offset:-112
	;; [unrolled: 1-line block ×11, first 2 shown]
.LBB105_14:
	s_cmp_gt_i32 s6, -1
	s_cbranch_scc0 .LBB105_37
; %bb.15:
	s_cmp_lt_u32 s6, 27
	s_cbranch_scc1 .LBB105_20
; %bb.16:
	s_mov_b32 s7, 0
	s_lshl_b64 s[8:9], s[6:7], 3
	v_mov_b32_e32 v1, s9
	v_add_co_u32_e32 v0, vcc, s8, v172
	v_addc_co_u32_e32 v1, vcc, v173, v1, vcc
	global_load_dwordx4 v[2:5], v[0:1], off offset:-8
	global_load_dwordx4 v[6:9], v[0:1], off offset:-24
	;; [unrolled: 1-line block ×14, first 2 shown]
	s_cmp_le_i32 s18, s6
	s_waitcnt vmcnt(13)
	v_mul_f64 v[54:55], v[4:5], s[0:1]
	v_mul_f64 v[50:51], v[2:3], s[0:1]
	s_waitcnt vmcnt(12)
	v_mul_f64 v[2:3], v[8:9], s[0:1]
	v_mul_f64 v[58:59], v[6:7], s[0:1]
	;; [unrolled: 3-line block ×14, first 2 shown]
	s_cbranch_scc1 .LBB105_19
; %bb.17:
	s_lshl_b32 s7, s6, 8
	s_lshl_b32 s8, s16, 3
	s_add_i32 s7, s7, s8
	s_ashr_i32 s19, s18, 31
	s_addk_i32 s7, 0xe4f8
	s_lshl_b64 s[8:9], s[18:19], 3
	s_add_u32 s8, s10, s8
	s_addc_u32 s9, s11, s9
	s_add_u32 s8, s8, s4
	s_addc_u32 s9, s9, s5
	;; [unrolled: 2-line block ×3, first 2 shown]
	v_mov_b32_e32 v57, s9
	v_add_co_u32_e32 v56, vcc, s8, v174
	v_addc_co_u32_e32 v57, vcc, v57, v175, vcc
	s_mov_b32 s8, s18
.LBB105_18:                             ; =>This Inner Loop Header: Depth=1
	global_load_dwordx2 v[116:117], v[56:57], off
	v_mov_b32_e32 v72, s7
	v_add_u32_e32 v80, 0x1800, v72
	v_add_u32_e32 v96, 0x1000, v72
	;; [unrolled: 1-line block ×3, first 2 shown]
	ds_read2_b64 v[60:63], v72 offset0:192 offset1:224
	ds_read2_b64 v[64:67], v72 offset0:128 offset1:160
	;; [unrolled: 1-line block ×3, first 2 shown]
	ds_read2_b64 v[72:75], v72 offset1:32
	ds_read2_b64 v[76:79], v80 offset0:64 offset1:96
	ds_read2_b64 v[80:83], v80 offset1:32
	ds_read2_b64 v[84:87], v96 offset0:192 offset1:224
	ds_read2_b64 v[88:91], v96 offset0:128 offset1:160
	;; [unrolled: 1-line block ×3, first 2 shown]
	ds_read2_b64 v[96:99], v96 offset1:32
	ds_read2_b64 v[100:103], v112 offset0:192 offset1:224
	ds_read2_b64 v[104:107], v112 offset0:128 offset1:160
	ds_read2_b64 v[108:111], v112 offset0:64 offset1:96
	ds_read2_b64 v[112:115], v112 offset1:32
	s_add_i32 s8, s8, -1
	s_add_i32 s7, s7, -8
	v_add_co_u32_e32 v56, vcc, -8, v56
	v_addc_co_u32_e32 v57, vcc, -1, v57, vcc
	s_cmp_gt_i32 s8, s6
	s_waitcnt vmcnt(0) lgkmcnt(9)
	v_fma_f64 v[54:55], -v[116:117], v[78:79], v[54:55]
	v_fma_f64 v[50:51], -v[116:117], v[76:77], v[50:51]
	s_waitcnt lgkmcnt(8)
	v_fma_f64 v[2:3], -v[116:117], v[82:83], v[2:3]
	v_fma_f64 v[58:59], -v[116:117], v[80:81], v[58:59]
	s_waitcnt lgkmcnt(7)
	;; [unrolled: 3-line block ×9, first 2 shown]
	v_fma_f64 v[34:35], -v[116:117], v[114:115], v[34:35]
	v_fma_f64 v[32:33], -v[116:117], v[112:113], v[32:33]
	v_fma_f64 v[38:39], -v[116:117], v[62:63], v[38:39]
	v_fma_f64 v[36:37], -v[116:117], v[60:61], v[36:37]
	v_fma_f64 v[42:43], -v[116:117], v[66:67], v[42:43]
	v_fma_f64 v[40:41], -v[116:117], v[64:65], v[40:41]
	v_fma_f64 v[46:47], -v[116:117], v[70:71], v[46:47]
	v_fma_f64 v[44:45], -v[116:117], v[68:69], v[44:45]
	v_fma_f64 v[52:53], -v[116:117], v[74:75], v[52:53]
	v_fma_f64 v[48:49], -v[116:117], v[72:73], v[48:49]
	s_cbranch_scc1 .LBB105_18
.LBB105_19:
	s_mul_i32 s8, s6, 0x108
	v_mov_b32_e32 v56, s8
	s_add_i32 s7, s8, 0xfffffef8
	ds_read_b64 v[56:57], v56
	v_mov_b32_e32 v60, s7
	ds_read2_b64 v[60:63], v60 offset1:1
	s_ashr_i32 s7, s6, 31
	s_lshl_b64 s[12:13], s[6:7], 3
	s_lshl_b32 s7, s6, 5
	s_add_i32 s7, s7, s6
	s_waitcnt lgkmcnt(1)
	v_mul_f64 v[54:55], v[56:57], v[54:55]
	s_lshl_b32 s7, s7, 3
	global_store_dwordx2 v[0:1], v[54:55], off
	s_waitcnt lgkmcnt(0)
	v_fma_f64 v[0:1], -v[54:55], v[62:63], v[50:51]
	s_add_i32 s9, s7, 0xfffffe00
	v_mul_f64 v[56:57], v[60:61], v[0:1]
	v_mov_b32_e32 v0, s9
	s_add_i32 s9, s8, 0xfffffdf0
	v_mov_b32_e32 v50, s9
	ds_read_b64 v[0:1], v0
	ds_read2_b64 v[60:63], v50 offset1:1
	s_add_i32 s9, s7, 0xfffffcf8
	v_mov_b32_e32 v51, s13
	v_add_co_u32_e32 v50, vcc, s12, v172
	s_waitcnt lgkmcnt(1)
	v_fma_f64 v[0:1], -v[54:55], v[0:1], v[2:3]
	v_mov_b32_e32 v2, s9
	s_waitcnt lgkmcnt(0)
	v_fma_f64 v[0:1], -v[56:57], v[62:63], v[0:1]
	ds_read2_b64 v[62:65], v2 offset1:1
	s_add_i32 s9, s8, 0xfffffce8
	v_mul_f64 v[2:3], v[60:61], v[0:1]
	v_mov_b32_e32 v0, s9
	s_add_i32 s9, s7, 0xfffffc00
	v_addc_co_u32_e32 v51, vcc, v173, v51, vcc
	ds_read2_b64 v[66:69], v0 offset1:1
	s_waitcnt lgkmcnt(1)
	v_fma_f64 v[0:1], -v[54:55], v[64:65], v[58:59]
	v_mov_b32_e32 v58, s9
	s_add_i32 s9, s7, 0xfffffbf0
	global_store_dwordx2 v[50:51], v[56:57], off offset:-8
	v_mov_b32_e32 v59, s9
	v_fma_f64 v[0:1], -v[56:57], v[62:63], v[0:1]
	ds_read_b64 v[62:63], v58
	ds_read2_b64 v[58:61], v59 offset1:1
	s_add_i32 s9, s8, 0xfffffbe0
	s_waitcnt lgkmcnt(2)
	v_fma_f64 v[0:1], -v[2:3], v[68:69], v[0:1]
	v_mul_f64 v[0:1], v[66:67], v[0:1]
	s_waitcnt lgkmcnt(1)
	v_fma_f64 v[6:7], -v[54:55], v[62:63], v[6:7]
	s_waitcnt lgkmcnt(0)
	v_fma_f64 v[6:7], -v[56:57], v[60:61], v[6:7]
	v_mov_b32_e32 v60, s9
	ds_read2_b64 v[60:63], v60 offset1:1
	s_add_i32 s9, s7, 0xfffffaf8
	v_fma_f64 v[6:7], -v[2:3], v[58:59], v[6:7]
	v_mov_b32_e32 v58, s9
	ds_read2_b64 v[64:67], v58 offset1:1
	s_add_i32 s9, s7, 0xfffffae8
	s_waitcnt lgkmcnt(1)
	v_fma_f64 v[6:7], -v[0:1], v[62:63], v[6:7]
	v_mov_b32_e32 v58, s9
	v_mul_f64 v[6:7], v[60:61], v[6:7]
	s_add_i32 s9, s8, 0xfffffad8
	ds_read2_b64 v[58:61], v58 offset1:1
	v_mov_b32_e32 v62, s9
	ds_read2_b64 v[68:71], v62 offset1:1
	s_waitcnt lgkmcnt(2)
	v_fma_f64 v[4:5], -v[54:55], v[66:67], v[4:5]
	v_fma_f64 v[4:5], -v[56:57], v[64:65], v[4:5]
	s_waitcnt lgkmcnt(1)
	v_fma_f64 v[4:5], -v[2:3], v[60:61], v[4:5]
	v_fma_f64 v[4:5], -v[0:1], v[58:59], v[4:5]
	s_waitcnt lgkmcnt(0)
	v_fma_f64 v[4:5], -v[6:7], v[70:71], v[4:5]
	s_add_i32 s9, s7, 0xfffff9f8
	v_mul_f64 v[4:5], v[68:69], v[4:5]
	v_mov_b32_e32 v58, s9
	s_add_i32 s9, s7, 0xfffff9e8
	global_store_dwordx4 v[50:51], v[0:3], off offset:-24
	global_store_dwordx4 v[50:51], v[4:7], off offset:-40
	v_mov_b32_e32 v62, s9
	ds_read2_b64 v[58:61], v58 offset1:1
	ds_read2_b64 v[62:65], v62 offset1:1
	s_add_i32 s9, s7, 0xfffff9d8
	v_mov_b32_e32 v66, s9
	ds_read2_b64 v[66:69], v66 offset1:1
	s_waitcnt lgkmcnt(2)
	v_fma_f64 v[10:11], -v[54:55], v[60:61], v[10:11]
	s_add_i32 s9, s8, 0xfffff9d0
	v_fma_f64 v[10:11], -v[56:57], v[58:59], v[10:11]
	v_mov_b32_e32 v58, s9
	ds_read_b64 v[58:59], v58
	s_add_i32 s9, s7, 0xfffff900
	s_waitcnt lgkmcnt(2)
	v_fma_f64 v[10:11], -v[2:3], v[64:65], v[10:11]
	v_mov_b32_e32 v60, s9
	v_fma_f64 v[10:11], -v[0:1], v[62:63], v[10:11]
	ds_read_b64 v[62:63], v60
	s_waitcnt lgkmcnt(2)
	v_fma_f64 v[10:11], -v[6:7], v[68:69], v[10:11]
	v_fma_f64 v[10:11], -v[4:5], v[66:67], v[10:11]
	s_add_i32 s9, s7, 0xfffff8f0
	s_waitcnt lgkmcnt(1)
	v_mul_f64 v[10:11], v[58:59], v[10:11]
	v_mov_b32_e32 v58, s9
	ds_read2_b64 v[58:61], v58 offset1:1
	s_add_i32 s9, s7, 0xfffff8e0
	s_waitcnt lgkmcnt(1)
	v_fma_f64 v[8:9], -v[54:55], v[62:63], v[8:9]
	v_mov_b32_e32 v62, s9
	ds_read2_b64 v[62:65], v62 offset1:1
	s_add_i32 s9, s7, 0xfffff8d0
	v_mov_b32_e32 v66, s9
	ds_read2_b64 v[66:69], v66 offset1:1
	s_waitcnt lgkmcnt(2)
	v_fma_f64 v[8:9], -v[56:57], v[60:61], v[8:9]
	v_fma_f64 v[8:9], -v[2:3], v[58:59], v[8:9]
	s_waitcnt lgkmcnt(1)
	v_fma_f64 v[8:9], -v[0:1], v[64:65], v[8:9]
	v_fma_f64 v[8:9], -v[6:7], v[62:63], v[8:9]
	s_add_i32 s9, s8, 0xfffff8c8
	s_waitcnt lgkmcnt(0)
	v_fma_f64 v[8:9], -v[4:5], v[68:69], v[8:9]
	v_mov_b32_e32 v58, s9
	s_add_i32 s9, s7, 0xfffff7f8
	v_fma_f64 v[8:9], -v[10:11], v[66:67], v[8:9]
	ds_read_b64 v[66:67], v58
	v_mov_b32_e32 v58, s9
	ds_read2_b64 v[58:61], v58 offset1:1
	s_add_i32 s9, s7, 0xfffff7e8
	v_mov_b32_e32 v62, s9
	ds_read2_b64 v[62:65], v62 offset1:1
	s_add_i32 s9, s7, 0xfffff7d8
	s_waitcnt lgkmcnt(1)
	v_fma_f64 v[14:15], -v[54:55], v[60:61], v[14:15]
	v_fma_f64 v[14:15], -v[56:57], v[58:59], v[14:15]
	v_mov_b32_e32 v58, s9
	ds_read2_b64 v[58:61], v58 offset1:1
	s_waitcnt lgkmcnt(1)
	v_fma_f64 v[14:15], -v[2:3], v[64:65], v[14:15]
	s_add_i32 s9, s7, 0xfffff7c8
	v_fma_f64 v[14:15], -v[0:1], v[62:63], v[14:15]
	v_mov_b32_e32 v62, s9
	ds_read2_b64 v[62:65], v62 offset1:1
	s_waitcnt lgkmcnt(1)
	v_fma_f64 v[14:15], -v[6:7], v[60:61], v[14:15]
	s_add_i32 s9, s8, 0xfffff7c0
	v_fma_f64 v[14:15], -v[4:5], v[58:59], v[14:15]
	v_mov_b32_e32 v58, s9
	s_add_i32 s9, s7, 0xfffff700
	v_mul_f64 v[8:9], v[66:67], v[8:9]
	ds_read_b64 v[66:67], v58
	v_mov_b32_e32 v58, s9
	s_add_i32 s9, s7, 0xfffff6f0
	global_store_dwordx4 v[50:51], v[8:11], off offset:-56
	v_mov_b32_e32 v59, s9
	ds_read_b64 v[68:69], v58
	ds_read2_b64 v[58:61], v59 offset1:1
	s_add_i32 s9, s7, 0xfffff6e0
	s_waitcnt lgkmcnt(3)
	v_fma_f64 v[14:15], -v[10:11], v[64:65], v[14:15]
	v_fma_f64 v[14:15], -v[8:9], v[62:63], v[14:15]
	s_waitcnt lgkmcnt(1)
	v_fma_f64 v[12:13], -v[54:55], v[68:69], v[12:13]
	s_waitcnt lgkmcnt(0)
	v_fma_f64 v[12:13], -v[56:57], v[60:61], v[12:13]
	v_fma_f64 v[12:13], -v[2:3], v[58:59], v[12:13]
	v_mov_b32_e32 v58, s9
	s_add_i32 s9, s7, 0xfffff6d0
	v_mov_b32_e32 v62, s9
	ds_read2_b64 v[58:61], v58 offset1:1
	ds_read2_b64 v[62:65], v62 offset1:1
	s_add_i32 s9, s7, 0xfffff6c0
	v_mul_f64 v[14:15], v[66:67], v[14:15]
	v_mov_b32_e32 v66, s9
	ds_read2_b64 v[66:69], v66 offset1:1
	s_waitcnt lgkmcnt(2)
	v_fma_f64 v[12:13], -v[0:1], v[60:61], v[12:13]
	v_fma_f64 v[12:13], -v[6:7], v[58:59], v[12:13]
	s_waitcnt lgkmcnt(1)
	v_fma_f64 v[12:13], -v[4:5], v[64:65], v[12:13]
	v_fma_f64 v[12:13], -v[10:11], v[62:63], v[12:13]
	s_add_i32 s9, s8, 0xfffff6b8
	s_waitcnt lgkmcnt(0)
	v_fma_f64 v[12:13], -v[8:9], v[68:69], v[12:13]
	v_mov_b32_e32 v58, s9
	s_add_i32 s9, s7, 0xfffff5f8
	v_fma_f64 v[12:13], -v[14:15], v[66:67], v[12:13]
	ds_read_b64 v[66:67], v58
	v_mov_b32_e32 v58, s9
	s_add_i32 s9, s7, 0xfffff5e8
	ds_read2_b64 v[58:61], v58 offset1:1
	v_mov_b32_e32 v62, s9
	ds_read2_b64 v[62:65], v62 offset1:1
	s_add_i32 s9, s7, 0xfffff5d8
	s_waitcnt lgkmcnt(2)
	v_mul_f64 v[12:13], v[66:67], v[12:13]
	s_waitcnt lgkmcnt(1)
	v_fma_f64 v[18:19], -v[54:55], v[60:61], v[18:19]
	v_fma_f64 v[18:19], -v[56:57], v[58:59], v[18:19]
	s_waitcnt lgkmcnt(0)
	v_fma_f64 v[18:19], -v[2:3], v[64:65], v[18:19]
	v_mov_b32_e32 v58, s9
	s_add_i32 s9, s7, 0xfffff5c8
	global_store_dwordx4 v[50:51], v[12:15], off offset:-72
	v_fma_f64 v[18:19], -v[0:1], v[62:63], v[18:19]
	v_mov_b32_e32 v62, s9
	ds_read2_b64 v[58:61], v58 offset1:1
	ds_read2_b64 v[62:65], v62 offset1:1
	s_add_i32 s9, s7, 0xfffff5b8
	v_mov_b32_e32 v66, s9
	ds_read2_b64 v[66:69], v66 offset1:1
	s_waitcnt lgkmcnt(2)
	v_fma_f64 v[18:19], -v[6:7], v[60:61], v[18:19]
	v_fma_f64 v[18:19], -v[4:5], v[58:59], v[18:19]
	s_waitcnt lgkmcnt(1)
	v_fma_f64 v[18:19], -v[10:11], v[64:65], v[18:19]
	s_add_i32 s9, s8, 0xfffff5b0
	v_fma_f64 v[18:19], -v[8:9], v[62:63], v[18:19]
	v_mov_b32_e32 v58, s9
	s_add_i32 s9, s7, 0xfffff4f8
	s_waitcnt lgkmcnt(0)
	v_fma_f64 v[18:19], -v[14:15], v[68:69], v[18:19]
	ds_read_b64 v[68:69], v58
	v_mov_b32_e32 v58, s9
	ds_read2_b64 v[58:61], v58 offset1:1
	s_add_i32 s9, s7, 0xfffff4e8
	v_mov_b32_e32 v62, s9
	ds_read2_b64 v[62:65], v62 offset1:1
	s_add_i32 s9, s7, 0xfffff4d8
	s_waitcnt lgkmcnt(1)
	v_fma_f64 v[16:17], -v[54:55], v[60:61], v[16:17]
	v_fma_f64 v[16:17], -v[56:57], v[58:59], v[16:17]
	v_mov_b32_e32 v58, s9
	ds_read2_b64 v[58:61], v58 offset1:1
	s_waitcnt lgkmcnt(1)
	v_fma_f64 v[16:17], -v[2:3], v[64:65], v[16:17]
	s_add_i32 s9, s7, 0xfffff4c8
	v_fma_f64 v[16:17], -v[0:1], v[62:63], v[16:17]
	v_mov_b32_e32 v62, s9
	ds_read2_b64 v[62:65], v62 offset1:1
	s_waitcnt lgkmcnt(1)
	v_fma_f64 v[16:17], -v[6:7], v[60:61], v[16:17]
	s_add_i32 s9, s7, 0xfffff4b8
	v_fma_f64 v[16:17], -v[4:5], v[58:59], v[16:17]
	v_mov_b32_e32 v58, s9
	ds_read2_b64 v[58:61], v58 offset1:1
	s_add_i32 s9, s8, 0xfffff4a8
	s_waitcnt lgkmcnt(1)
	v_fma_f64 v[16:17], -v[10:11], v[64:65], v[16:17]
	v_fma_f64 v[18:19], -v[12:13], v[66:67], v[18:19]
	v_mov_b32_e32 v66, s9
	v_fma_f64 v[16:17], -v[8:9], v[62:63], v[16:17]
	v_mul_f64 v[18:19], v[68:69], v[18:19]
	ds_read2_b64 v[66:69], v66 offset1:1
	s_waitcnt lgkmcnt(1)
	v_fma_f64 v[16:17], -v[14:15], v[60:61], v[16:17]
	s_add_i32 s9, s7, 0xfffff400
	v_fma_f64 v[16:17], -v[12:13], v[58:59], v[16:17]
	v_mov_b32_e32 v58, s9
	ds_read_b64 v[62:63], v58
	s_add_i32 s9, s7, 0xfffff3f0
	v_mov_b32_e32 v58, s9
	ds_read2_b64 v[58:61], v58 offset1:1
	s_add_i32 s9, s7, 0xfffff3e0
	s_waitcnt lgkmcnt(1)
	v_fma_f64 v[22:23], -v[54:55], v[62:63], v[22:23]
	v_mov_b32_e32 v62, s9
	ds_read2_b64 v[62:65], v62 offset1:1
	v_fma_f64 v[16:17], -v[18:19], v[68:69], v[16:17]
	s_add_i32 s9, s7, 0xfffff3d0
	v_mul_f64 v[16:17], v[66:67], v[16:17]
	v_mov_b32_e32 v66, s9
	ds_read2_b64 v[66:69], v66 offset1:1
	s_waitcnt lgkmcnt(2)
	v_fma_f64 v[22:23], -v[56:57], v[60:61], v[22:23]
	s_add_i32 s9, s7, 0xfffff3c0
	v_fma_f64 v[22:23], -v[2:3], v[58:59], v[22:23]
	v_mov_b32_e32 v58, s9
	ds_read2_b64 v[58:61], v58 offset1:1
	s_waitcnt lgkmcnt(2)
	v_fma_f64 v[22:23], -v[0:1], v[64:65], v[22:23]
	v_fma_f64 v[22:23], -v[6:7], v[62:63], v[22:23]
	s_waitcnt lgkmcnt(1)
	v_fma_f64 v[22:23], -v[4:5], v[68:69], v[22:23]
	s_add_i32 s9, s7, 0xfffff3b0
	v_fma_f64 v[22:23], -v[10:11], v[66:67], v[22:23]
	v_mov_b32_e32 v62, s9
	ds_read2_b64 v[62:65], v62 offset1:1
	s_waitcnt lgkmcnt(1)
	v_fma_f64 v[22:23], -v[8:9], v[60:61], v[22:23]
	s_add_i32 s9, s8, 0xfffff3a0
	v_fma_f64 v[22:23], -v[14:15], v[58:59], v[22:23]
	v_mov_b32_e32 v58, s9
	ds_read2_b64 v[58:61], v58 offset1:1
	s_add_i32 s9, s7, 0xfffff2f8
	s_waitcnt lgkmcnt(1)
	v_fma_f64 v[22:23], -v[12:13], v[64:65], v[22:23]
	v_mov_b32_e32 v66, s9
	ds_read2_b64 v[66:69], v66 offset1:1
	v_fma_f64 v[22:23], -v[18:19], v[62:63], v[22:23]
	s_waitcnt lgkmcnt(1)
	v_fma_f64 v[22:23], -v[16:17], v[60:61], v[22:23]
	s_add_i32 s9, s7, 0xfffff2e8
	v_mul_f64 v[22:23], v[58:59], v[22:23]
	v_mov_b32_e32 v58, s9
	ds_read2_b64 v[58:61], v58 offset1:1
	s_waitcnt lgkmcnt(1)
	v_fma_f64 v[20:21], -v[54:55], v[68:69], v[20:21]
	s_add_i32 s9, s7, 0xfffff2d8
	v_fma_f64 v[20:21], -v[56:57], v[66:67], v[20:21]
	v_mov_b32_e32 v62, s9
	ds_read2_b64 v[62:65], v62 offset1:1
	s_waitcnt lgkmcnt(1)
	v_fma_f64 v[20:21], -v[2:3], v[60:61], v[20:21]
	s_add_i32 s9, s7, 0xfffff2c8
	v_fma_f64 v[20:21], -v[0:1], v[58:59], v[20:21]
	v_mov_b32_e32 v58, s9
	ds_read2_b64 v[58:61], v58 offset1:1
	s_add_i32 s9, s7, 0xfffff2b8
	s_waitcnt lgkmcnt(1)
	v_fma_f64 v[20:21], -v[6:7], v[64:65], v[20:21]
	v_mov_b32_e32 v66, s9
	ds_read2_b64 v[66:69], v66 offset1:1
	v_fma_f64 v[20:21], -v[4:5], v[62:63], v[20:21]
	s_waitcnt lgkmcnt(1)
	v_fma_f64 v[20:21], -v[10:11], v[60:61], v[20:21]
	s_add_i32 s9, s7, 0xfffff2a8
	v_fma_f64 v[20:21], -v[8:9], v[58:59], v[20:21]
	v_mov_b32_e32 v58, s9
	ds_read2_b64 v[58:61], v58 offset1:1
	s_waitcnt lgkmcnt(1)
	v_fma_f64 v[20:21], -v[14:15], v[68:69], v[20:21]
	s_add_i32 s9, s8, 0xfffff298
	v_fma_f64 v[20:21], -v[12:13], v[66:67], v[20:21]
	v_mov_b32_e32 v62, s9
	ds_read2_b64 v[62:65], v62 offset1:1
	s_waitcnt lgkmcnt(1)
	v_fma_f64 v[20:21], -v[18:19], v[60:61], v[20:21]
	s_add_i32 s9, s7, 0xfffff200
	v_fma_f64 v[20:21], -v[16:17], v[58:59], v[20:21]
	v_mov_b32_e32 v58, s9
	s_add_i32 s9, s7, 0xfffff1f0
	global_store_dwordx4 v[50:51], v[16:19], off offset:-88
	v_mov_b32_e32 v59, s9
	ds_read_b64 v[66:67], v58
	ds_read2_b64 v[58:61], v59 offset1:1
	s_add_i32 s9, s7, 0xfffff1e0
	s_waitcnt lgkmcnt(2)
	v_fma_f64 v[20:21], -v[22:23], v[64:65], v[20:21]
	v_mul_f64 v[20:21], v[62:63], v[20:21]
	s_waitcnt lgkmcnt(1)
	v_fma_f64 v[26:27], -v[54:55], v[66:67], v[26:27]
	s_waitcnt lgkmcnt(0)
	v_fma_f64 v[26:27], -v[56:57], v[60:61], v[26:27]
	v_mov_b32_e32 v60, s9
	ds_read2_b64 v[60:63], v60 offset1:1
	s_add_i32 s9, s7, 0xfffff1d0
	v_fma_f64 v[26:27], -v[2:3], v[58:59], v[26:27]
	v_mov_b32_e32 v58, s9
	ds_read2_b64 v[64:67], v58 offset1:1
	s_add_i32 s9, s7, 0xfffff1c0
	s_waitcnt lgkmcnt(1)
	v_fma_f64 v[26:27], -v[0:1], v[62:63], v[26:27]
	v_mov_b32_e32 v58, s9
	v_fma_f64 v[26:27], -v[6:7], v[60:61], v[26:27]
	ds_read2_b64 v[58:61], v58 offset1:1
	s_add_i32 s9, s7, 0xfffff1b0
	s_waitcnt lgkmcnt(1)
	v_fma_f64 v[26:27], -v[4:5], v[66:67], v[26:27]
	v_mov_b32_e32 v62, s9
	ds_read2_b64 v[68:71], v62 offset1:1
	v_fma_f64 v[26:27], -v[10:11], v[64:65], v[26:27]
	s_waitcnt lgkmcnt(1)
	v_fma_f64 v[26:27], -v[8:9], v[60:61], v[26:27]
	s_add_i32 s9, s7, 0xfffff1a0
	v_fma_f64 v[26:27], -v[14:15], v[58:59], v[26:27]
	v_mov_b32_e32 v58, s9
	ds_read2_b64 v[58:61], v58 offset1:1
	s_waitcnt lgkmcnt(1)
	v_fma_f64 v[26:27], -v[12:13], v[70:71], v[26:27]
	s_add_i32 s9, s8, 0xfffff190
	v_fma_f64 v[26:27], -v[18:19], v[68:69], v[26:27]
	v_mov_b32_e32 v62, s9
	ds_read2_b64 v[62:65], v62 offset1:1
	s_waitcnt lgkmcnt(1)
	v_fma_f64 v[26:27], -v[16:17], v[60:61], v[26:27]
	s_add_i32 s9, s7, 0xfffff0f8
	v_fma_f64 v[26:27], -v[22:23], v[58:59], v[26:27]
	v_mov_b32_e32 v58, s9
	ds_read2_b64 v[58:61], v58 offset1:1
	s_add_i32 s9, s7, 0xfffff0e8
	v_mov_b32_e32 v66, s9
	ds_read2_b64 v[66:69], v66 offset1:1
	s_add_i32 s9, s7, 0xfffff0d8
	s_waitcnt lgkmcnt(1)
	v_fma_f64 v[24:25], -v[54:55], v[60:61], v[24:25]
	v_fma_f64 v[24:25], -v[56:57], v[58:59], v[24:25]
	v_mov_b32_e32 v58, s9
	ds_read2_b64 v[58:61], v58 offset1:1
	v_fma_f64 v[26:27], -v[20:21], v[64:65], v[26:27]
	s_waitcnt lgkmcnt(1)
	v_fma_f64 v[24:25], -v[2:3], v[68:69], v[24:25]
	s_add_i32 s9, s7, 0xfffff0c8
	v_mul_f64 v[26:27], v[62:63], v[26:27]
	v_fma_f64 v[24:25], -v[0:1], v[66:67], v[24:25]
	v_mov_b32_e32 v62, s9
	ds_read2_b64 v[62:65], v62 offset1:1
	s_waitcnt lgkmcnt(1)
	v_fma_f64 v[24:25], -v[6:7], v[60:61], v[24:25]
	s_add_i32 s9, s7, 0xfffff0b8
	v_fma_f64 v[24:25], -v[4:5], v[58:59], v[24:25]
	v_mov_b32_e32 v58, s9
	ds_read2_b64 v[58:61], v58 offset1:1
	s_add_i32 s9, s7, 0xfffff0a8
	s_waitcnt lgkmcnt(1)
	v_fma_f64 v[24:25], -v[10:11], v[64:65], v[24:25]
	v_mov_b32_e32 v66, s9
	ds_read2_b64 v[66:69], v66 offset1:1
	v_fma_f64 v[24:25], -v[8:9], v[62:63], v[24:25]
	s_waitcnt lgkmcnt(1)
	v_fma_f64 v[24:25], -v[14:15], v[60:61], v[24:25]
	s_add_i32 s9, s7, 0xfffff098
	v_fma_f64 v[24:25], -v[12:13], v[58:59], v[24:25]
	v_mov_b32_e32 v58, s9
	ds_read2_b64 v[58:61], v58 offset1:1
	s_waitcnt lgkmcnt(1)
	v_fma_f64 v[24:25], -v[18:19], v[68:69], v[24:25]
	s_add_i32 s9, s8, 0xfffff088
	v_fma_f64 v[24:25], -v[16:17], v[66:67], v[24:25]
	v_mov_b32_e32 v62, s9
	ds_read2_b64 v[62:65], v62 offset1:1
	s_waitcnt lgkmcnt(1)
	v_fma_f64 v[24:25], -v[22:23], v[60:61], v[24:25]
	s_add_i32 s9, s7, 0xfffff000
	v_fma_f64 v[24:25], -v[20:21], v[58:59], v[24:25]
	v_mov_b32_e32 v58, s9
	s_add_i32 s9, s7, 0xffffeff0
	global_store_dwordx4 v[50:51], v[20:23], off offset:-104
	v_mov_b32_e32 v59, s9
	ds_read_b64 v[66:67], v58
	ds_read2_b64 v[58:61], v59 offset1:1
	s_add_i32 s9, s7, 0xffffefe0
	s_waitcnt lgkmcnt(2)
	v_fma_f64 v[24:25], -v[26:27], v[64:65], v[24:25]
	v_mul_f64 v[24:25], v[62:63], v[24:25]
	s_waitcnt lgkmcnt(1)
	v_fma_f64 v[30:31], -v[54:55], v[66:67], v[30:31]
	s_waitcnt lgkmcnt(0)
	v_fma_f64 v[30:31], -v[56:57], v[60:61], v[30:31]
	v_mov_b32_e32 v60, s9
	ds_read2_b64 v[60:63], v60 offset1:1
	s_add_i32 s9, s7, 0xffffefd0
	v_fma_f64 v[30:31], -v[2:3], v[58:59], v[30:31]
	v_mov_b32_e32 v58, s9
	ds_read2_b64 v[64:67], v58 offset1:1
	s_add_i32 s9, s7, 0xffffefc0
	s_waitcnt lgkmcnt(1)
	v_fma_f64 v[30:31], -v[0:1], v[62:63], v[30:31]
	v_mov_b32_e32 v58, s9
	v_fma_f64 v[30:31], -v[6:7], v[60:61], v[30:31]
	ds_read2_b64 v[58:61], v58 offset1:1
	s_add_i32 s9, s7, 0xffffefb0
	s_waitcnt lgkmcnt(1)
	v_fma_f64 v[30:31], -v[4:5], v[66:67], v[30:31]
	v_mov_b32_e32 v62, s9
	ds_read2_b64 v[68:71], v62 offset1:1
	v_fma_f64 v[30:31], -v[10:11], v[64:65], v[30:31]
	s_waitcnt lgkmcnt(1)
	v_fma_f64 v[30:31], -v[8:9], v[60:61], v[30:31]
	s_add_i32 s9, s7, 0xffffefa0
	v_fma_f64 v[30:31], -v[14:15], v[58:59], v[30:31]
	v_mov_b32_e32 v58, s9
	ds_read2_b64 v[58:61], v58 offset1:1
	s_waitcnt lgkmcnt(1)
	v_fma_f64 v[30:31], -v[12:13], v[70:71], v[30:31]
	s_add_i32 s9, s7, 0xffffef90
	v_fma_f64 v[30:31], -v[18:19], v[68:69], v[30:31]
	v_mov_b32_e32 v62, s9
	ds_read2_b64 v[62:65], v62 offset1:1
	;; [unrolled: 6-line block ×3, first 2 shown]
	s_add_i32 s9, s7, 0xffffeef8
	s_waitcnt lgkmcnt(1)
	v_fma_f64 v[30:31], -v[20:21], v[64:65], v[30:31]
	v_mov_b32_e32 v66, s9
	ds_read2_b64 v[66:69], v66 offset1:1
	v_fma_f64 v[30:31], -v[26:27], v[62:63], v[30:31]
	s_waitcnt lgkmcnt(1)
	v_fma_f64 v[30:31], -v[24:25], v[60:61], v[30:31]
	s_add_i32 s9, s7, 0xffffeee8
	v_mul_f64 v[30:31], v[58:59], v[30:31]
	v_mov_b32_e32 v58, s9
	ds_read2_b64 v[58:61], v58 offset1:1
	s_waitcnt lgkmcnt(1)
	v_fma_f64 v[28:29], -v[54:55], v[68:69], v[28:29]
	s_add_i32 s9, s7, 0xffffeed8
	v_fma_f64 v[28:29], -v[56:57], v[66:67], v[28:29]
	v_mov_b32_e32 v62, s9
	ds_read2_b64 v[62:65], v62 offset1:1
	s_waitcnt lgkmcnt(1)
	v_fma_f64 v[28:29], -v[2:3], v[60:61], v[28:29]
	s_add_i32 s9, s7, 0xffffeec8
	v_fma_f64 v[28:29], -v[0:1], v[58:59], v[28:29]
	v_mov_b32_e32 v58, s9
	ds_read2_b64 v[58:61], v58 offset1:1
	s_add_i32 s9, s7, 0xffffeeb8
	s_waitcnt lgkmcnt(1)
	v_fma_f64 v[28:29], -v[6:7], v[64:65], v[28:29]
	v_mov_b32_e32 v66, s9
	ds_read2_b64 v[66:69], v66 offset1:1
	v_fma_f64 v[28:29], -v[4:5], v[62:63], v[28:29]
	s_waitcnt lgkmcnt(1)
	v_fma_f64 v[28:29], -v[10:11], v[60:61], v[28:29]
	s_add_i32 s9, s7, 0xffffeea8
	v_fma_f64 v[28:29], -v[8:9], v[58:59], v[28:29]
	v_mov_b32_e32 v58, s9
	ds_read2_b64 v[58:61], v58 offset1:1
	s_waitcnt lgkmcnt(1)
	v_fma_f64 v[28:29], -v[14:15], v[68:69], v[28:29]
	s_add_i32 s9, s7, 0xffffee98
	v_fma_f64 v[28:29], -v[12:13], v[66:67], v[28:29]
	v_mov_b32_e32 v62, s9
	ds_read2_b64 v[62:65], v62 offset1:1
	;; [unrolled: 6-line block ×3, first 2 shown]
	s_add_i32 s9, s8, 0xffffee78
	s_waitcnt lgkmcnt(1)
	v_fma_f64 v[28:29], -v[22:23], v[64:65], v[28:29]
	v_mov_b32_e32 v66, s9
	ds_read2_b64 v[66:69], v66 offset1:1
	v_fma_f64 v[28:29], -v[20:21], v[62:63], v[28:29]
	s_waitcnt lgkmcnt(1)
	v_fma_f64 v[28:29], -v[26:27], v[60:61], v[28:29]
	s_add_i32 s9, s7, 0xffffee00
	v_fma_f64 v[28:29], -v[24:25], v[58:59], v[28:29]
	v_mov_b32_e32 v58, s9
	ds_read_b64 v[62:63], v58
	s_add_i32 s9, s7, 0xffffedf0
	v_mov_b32_e32 v58, s9
	ds_read2_b64 v[58:61], v58 offset1:1
	s_add_i32 s9, s7, 0xffffede0
	s_waitcnt lgkmcnt(1)
	v_fma_f64 v[34:35], -v[54:55], v[62:63], v[34:35]
	v_mov_b32_e32 v62, s9
	ds_read2_b64 v[62:65], v62 offset1:1
	v_fma_f64 v[28:29], -v[30:31], v[68:69], v[28:29]
	s_add_i32 s9, s7, 0xffffedd0
	v_mul_f64 v[28:29], v[66:67], v[28:29]
	v_mov_b32_e32 v66, s9
	ds_read2_b64 v[66:69], v66 offset1:1
	s_waitcnt lgkmcnt(2)
	v_fma_f64 v[34:35], -v[56:57], v[60:61], v[34:35]
	s_add_i32 s9, s7, 0xffffedc0
	v_fma_f64 v[34:35], -v[2:3], v[58:59], v[34:35]
	v_mov_b32_e32 v58, s9
	ds_read2_b64 v[58:61], v58 offset1:1
	s_waitcnt lgkmcnt(2)
	v_fma_f64 v[34:35], -v[0:1], v[64:65], v[34:35]
	v_fma_f64 v[34:35], -v[6:7], v[62:63], v[34:35]
	s_waitcnt lgkmcnt(1)
	v_fma_f64 v[34:35], -v[4:5], v[68:69], v[34:35]
	s_add_i32 s9, s7, 0xffffedb0
	v_fma_f64 v[34:35], -v[10:11], v[66:67], v[34:35]
	v_mov_b32_e32 v62, s9
	ds_read2_b64 v[62:65], v62 offset1:1
	s_waitcnt lgkmcnt(1)
	v_fma_f64 v[34:35], -v[8:9], v[60:61], v[34:35]
	s_add_i32 s9, s7, 0xffffeda0
	v_fma_f64 v[34:35], -v[14:15], v[58:59], v[34:35]
	v_mov_b32_e32 v58, s9
	ds_read2_b64 v[58:61], v58 offset1:1
	s_add_i32 s9, s7, 0xffffed90
	s_waitcnt lgkmcnt(1)
	v_fma_f64 v[34:35], -v[12:13], v[64:65], v[34:35]
	v_mov_b32_e32 v66, s9
	ds_read2_b64 v[66:69], v66 offset1:1
	v_fma_f64 v[34:35], -v[18:19], v[62:63], v[34:35]
	s_waitcnt lgkmcnt(1)
	v_fma_f64 v[34:35], -v[16:17], v[60:61], v[34:35]
	s_add_i32 s9, s7, 0xffffed80
	v_fma_f64 v[34:35], -v[22:23], v[58:59], v[34:35]
	v_mov_b32_e32 v58, s9
	ds_read2_b64 v[58:61], v58 offset1:1
	s_waitcnt lgkmcnt(1)
	v_fma_f64 v[34:35], -v[20:21], v[68:69], v[34:35]
	s_add_i32 s9, s8, 0xffffed70
	v_fma_f64 v[34:35], -v[26:27], v[66:67], v[34:35]
	v_mov_b32_e32 v62, s9
	ds_read2_b64 v[62:65], v62 offset1:1
	;; [unrolled: 6-line block ×3, first 2 shown]
	s_add_i32 s9, s7, 0xffffece8
	v_mov_b32_e32 v66, s9
	ds_read2_b64 v[66:69], v66 offset1:1
	s_add_i32 s9, s7, 0xffffecd8
	s_waitcnt lgkmcnt(1)
	v_fma_f64 v[32:33], -v[54:55], v[60:61], v[32:33]
	v_fma_f64 v[32:33], -v[56:57], v[58:59], v[32:33]
	v_mov_b32_e32 v58, s9
	ds_read2_b64 v[58:61], v58 offset1:1
	v_fma_f64 v[34:35], -v[28:29], v[64:65], v[34:35]
	s_waitcnt lgkmcnt(1)
	v_fma_f64 v[32:33], -v[2:3], v[68:69], v[32:33]
	s_add_i32 s9, s7, 0xffffecc8
	v_mul_f64 v[34:35], v[62:63], v[34:35]
	v_fma_f64 v[32:33], -v[0:1], v[66:67], v[32:33]
	v_mov_b32_e32 v62, s9
	ds_read2_b64 v[62:65], v62 offset1:1
	s_waitcnt lgkmcnt(1)
	v_fma_f64 v[32:33], -v[6:7], v[60:61], v[32:33]
	s_add_i32 s9, s7, 0xffffecb8
	v_fma_f64 v[32:33], -v[4:5], v[58:59], v[32:33]
	v_mov_b32_e32 v58, s9
	ds_read2_b64 v[58:61], v58 offset1:1
	s_add_i32 s9, s7, 0xffffeca8
	s_waitcnt lgkmcnt(1)
	v_fma_f64 v[32:33], -v[10:11], v[64:65], v[32:33]
	v_mov_b32_e32 v66, s9
	ds_read2_b64 v[66:69], v66 offset1:1
	v_fma_f64 v[32:33], -v[8:9], v[62:63], v[32:33]
	s_waitcnt lgkmcnt(1)
	v_fma_f64 v[32:33], -v[14:15], v[60:61], v[32:33]
	s_add_i32 s9, s7, 0xffffec98
	v_fma_f64 v[32:33], -v[12:13], v[58:59], v[32:33]
	v_mov_b32_e32 v58, s9
	ds_read2_b64 v[58:61], v58 offset1:1
	s_waitcnt lgkmcnt(1)
	v_fma_f64 v[32:33], -v[18:19], v[68:69], v[32:33]
	s_add_i32 s9, s7, 0xffffec88
	v_fma_f64 v[32:33], -v[16:17], v[66:67], v[32:33]
	v_mov_b32_e32 v62, s9
	ds_read2_b64 v[62:65], v62 offset1:1
	;; [unrolled: 6-line block ×3, first 2 shown]
	s_add_i32 s9, s8, 0xffffec68
	s_waitcnt lgkmcnt(1)
	v_fma_f64 v[32:33], -v[26:27], v[64:65], v[32:33]
	v_mov_b32_e32 v66, s9
	ds_read2_b64 v[66:69], v66 offset1:1
	v_fma_f64 v[32:33], -v[24:25], v[62:63], v[32:33]
	s_waitcnt lgkmcnt(1)
	v_fma_f64 v[32:33], -v[30:31], v[60:61], v[32:33]
	s_add_i32 s9, s7, 0xffffec00
	v_fma_f64 v[32:33], -v[28:29], v[58:59], v[32:33]
	v_mov_b32_e32 v58, s9
	ds_read_b64 v[62:63], v58
	s_add_i32 s9, s7, 0xffffebf0
	v_mov_b32_e32 v58, s9
	ds_read2_b64 v[58:61], v58 offset1:1
	s_add_i32 s9, s7, 0xffffebe0
	s_waitcnt lgkmcnt(1)
	v_fma_f64 v[38:39], -v[54:55], v[62:63], v[38:39]
	v_mov_b32_e32 v62, s9
	ds_read2_b64 v[62:65], v62 offset1:1
	v_fma_f64 v[32:33], -v[34:35], v[68:69], v[32:33]
	s_add_i32 s9, s7, 0xffffebd0
	v_mul_f64 v[32:33], v[66:67], v[32:33]
	v_mov_b32_e32 v66, s9
	ds_read2_b64 v[66:69], v66 offset1:1
	s_waitcnt lgkmcnt(2)
	v_fma_f64 v[38:39], -v[56:57], v[60:61], v[38:39]
	s_add_i32 s9, s7, 0xffffebc0
	v_fma_f64 v[38:39], -v[2:3], v[58:59], v[38:39]
	v_mov_b32_e32 v58, s9
	ds_read2_b64 v[58:61], v58 offset1:1
	s_waitcnt lgkmcnt(2)
	v_fma_f64 v[38:39], -v[0:1], v[64:65], v[38:39]
	v_fma_f64 v[38:39], -v[6:7], v[62:63], v[38:39]
	s_waitcnt lgkmcnt(1)
	v_fma_f64 v[38:39], -v[4:5], v[68:69], v[38:39]
	s_add_i32 s9, s7, 0xffffebb0
	v_fma_f64 v[38:39], -v[10:11], v[66:67], v[38:39]
	v_mov_b32_e32 v62, s9
	ds_read2_b64 v[62:65], v62 offset1:1
	s_waitcnt lgkmcnt(1)
	v_fma_f64 v[38:39], -v[8:9], v[60:61], v[38:39]
	s_add_i32 s9, s7, 0xffffeba0
	v_fma_f64 v[38:39], -v[14:15], v[58:59], v[38:39]
	v_mov_b32_e32 v58, s9
	ds_read2_b64 v[58:61], v58 offset1:1
	s_add_i32 s9, s7, 0xffffeb90
	s_waitcnt lgkmcnt(1)
	v_fma_f64 v[38:39], -v[12:13], v[64:65], v[38:39]
	v_mov_b32_e32 v66, s9
	ds_read2_b64 v[66:69], v66 offset1:1
	v_fma_f64 v[38:39], -v[18:19], v[62:63], v[38:39]
	s_waitcnt lgkmcnt(1)
	v_fma_f64 v[38:39], -v[16:17], v[60:61], v[38:39]
	s_add_i32 s9, s7, 0xffffeb80
	v_fma_f64 v[38:39], -v[22:23], v[58:59], v[38:39]
	v_mov_b32_e32 v58, s9
	ds_read2_b64 v[58:61], v58 offset1:1
	s_waitcnt lgkmcnt(1)
	v_fma_f64 v[38:39], -v[20:21], v[68:69], v[38:39]
	s_add_i32 s9, s7, 0xffffeb70
	v_fma_f64 v[38:39], -v[26:27], v[66:67], v[38:39]
	v_mov_b32_e32 v62, s9
	ds_read2_b64 v[62:65], v62 offset1:1
	s_waitcnt lgkmcnt(1)
	v_fma_f64 v[38:39], -v[24:25], v[60:61], v[38:39]
	s_add_i32 s9, s8, 0xffffeb60
	v_fma_f64 v[38:39], -v[30:31], v[58:59], v[38:39]
	v_mov_b32_e32 v58, s9
	ds_read2_b64 v[58:61], v58 offset1:1
	s_add_i32 s9, s7, 0xffffeaf8
	s_waitcnt lgkmcnt(1)
	v_fma_f64 v[38:39], -v[28:29], v[64:65], v[38:39]
	v_mov_b32_e32 v66, s9
	ds_read2_b64 v[66:69], v66 offset1:1
	v_fma_f64 v[38:39], -v[34:35], v[62:63], v[38:39]
	s_waitcnt lgkmcnt(1)
	v_fma_f64 v[38:39], -v[32:33], v[60:61], v[38:39]
	s_add_i32 s9, s7, 0xffffeae8
	v_mul_f64 v[38:39], v[58:59], v[38:39]
	v_mov_b32_e32 v58, s9
	ds_read2_b64 v[58:61], v58 offset1:1
	s_waitcnt lgkmcnt(1)
	v_fma_f64 v[36:37], -v[54:55], v[68:69], v[36:37]
	s_add_i32 s9, s7, 0xffffead8
	v_fma_f64 v[36:37], -v[56:57], v[66:67], v[36:37]
	v_mov_b32_e32 v62, s9
	ds_read2_b64 v[62:65], v62 offset1:1
	s_waitcnt lgkmcnt(1)
	v_fma_f64 v[36:37], -v[2:3], v[60:61], v[36:37]
	s_add_i32 s9, s7, 0xffffeac8
	v_fma_f64 v[36:37], -v[0:1], v[58:59], v[36:37]
	v_mov_b32_e32 v58, s9
	ds_read2_b64 v[58:61], v58 offset1:1
	s_add_i32 s9, s7, 0xffffeab8
	s_waitcnt lgkmcnt(1)
	v_fma_f64 v[36:37], -v[6:7], v[64:65], v[36:37]
	v_mov_b32_e32 v66, s9
	ds_read2_b64 v[66:69], v66 offset1:1
	v_fma_f64 v[36:37], -v[4:5], v[62:63], v[36:37]
	s_waitcnt lgkmcnt(1)
	v_fma_f64 v[36:37], -v[10:11], v[60:61], v[36:37]
	s_add_i32 s9, s7, 0xffffeaa8
	v_fma_f64 v[36:37], -v[8:9], v[58:59], v[36:37]
	v_mov_b32_e32 v58, s9
	ds_read2_b64 v[58:61], v58 offset1:1
	s_waitcnt lgkmcnt(1)
	v_fma_f64 v[36:37], -v[14:15], v[68:69], v[36:37]
	s_add_i32 s9, s7, 0xffffea98
	v_fma_f64 v[36:37], -v[12:13], v[66:67], v[36:37]
	v_mov_b32_e32 v62, s9
	ds_read2_b64 v[62:65], v62 offset1:1
	;; [unrolled: 6-line block ×3, first 2 shown]
	s_add_i32 s9, s7, 0xffffea78
	s_waitcnt lgkmcnt(1)
	v_fma_f64 v[36:37], -v[22:23], v[64:65], v[36:37]
	v_mov_b32_e32 v66, s9
	ds_read2_b64 v[66:69], v66 offset1:1
	v_fma_f64 v[36:37], -v[20:21], v[62:63], v[36:37]
	s_waitcnt lgkmcnt(1)
	v_fma_f64 v[36:37], -v[26:27], v[60:61], v[36:37]
	s_add_i32 s9, s7, 0xffffea68
	v_fma_f64 v[36:37], -v[24:25], v[58:59], v[36:37]
	v_mov_b32_e32 v58, s9
	ds_read2_b64 v[58:61], v58 offset1:1
	s_waitcnt lgkmcnt(1)
	v_fma_f64 v[36:37], -v[30:31], v[68:69], v[36:37]
	s_add_i32 s9, s8, 0xffffea58
	v_fma_f64 v[36:37], -v[28:29], v[66:67], v[36:37]
	v_mov_b32_e32 v62, s9
	ds_read2_b64 v[62:65], v62 offset1:1
	s_waitcnt lgkmcnt(1)
	v_fma_f64 v[36:37], -v[34:35], v[60:61], v[36:37]
	s_add_i32 s9, s7, 0xffffea00
	v_fma_f64 v[36:37], -v[32:33], v[58:59], v[36:37]
	v_mov_b32_e32 v58, s9
	s_add_i32 s9, s7, 0xffffe9f0
	global_store_dwordx4 v[50:51], v[24:27], off offset:-120
	global_store_dwordx4 v[50:51], v[28:31], off offset:-136
	;; [unrolled: 1-line block ×3, first 2 shown]
	v_mov_b32_e32 v59, s9
	ds_read_b64 v[66:67], v58
	ds_read2_b64 v[58:61], v59 offset1:1
	s_add_i32 s9, s7, 0xffffe9e0
	s_waitcnt lgkmcnt(2)
	v_fma_f64 v[36:37], -v[38:39], v[64:65], v[36:37]
	v_mul_f64 v[36:37], v[62:63], v[36:37]
	s_waitcnt lgkmcnt(1)
	v_fma_f64 v[42:43], -v[54:55], v[66:67], v[42:43]
	s_waitcnt lgkmcnt(0)
	v_fma_f64 v[42:43], -v[56:57], v[60:61], v[42:43]
	v_mov_b32_e32 v60, s9
	ds_read2_b64 v[60:63], v60 offset1:1
	s_add_i32 s9, s7, 0xffffe9d0
	v_fma_f64 v[42:43], -v[2:3], v[58:59], v[42:43]
	v_mov_b32_e32 v58, s9
	ds_read2_b64 v[64:67], v58 offset1:1
	s_add_i32 s9, s7, 0xffffe9c0
	s_waitcnt lgkmcnt(1)
	v_fma_f64 v[42:43], -v[0:1], v[62:63], v[42:43]
	v_mov_b32_e32 v58, s9
	v_fma_f64 v[42:43], -v[6:7], v[60:61], v[42:43]
	ds_read2_b64 v[58:61], v58 offset1:1
	s_add_i32 s9, s7, 0xffffe9b0
	s_waitcnt lgkmcnt(1)
	v_fma_f64 v[42:43], -v[4:5], v[66:67], v[42:43]
	v_mov_b32_e32 v62, s9
	ds_read2_b64 v[68:71], v62 offset1:1
	v_fma_f64 v[42:43], -v[10:11], v[64:65], v[42:43]
	s_waitcnt lgkmcnt(1)
	v_fma_f64 v[42:43], -v[8:9], v[60:61], v[42:43]
	s_add_i32 s9, s7, 0xffffe9a0
	v_fma_f64 v[42:43], -v[14:15], v[58:59], v[42:43]
	v_mov_b32_e32 v58, s9
	ds_read2_b64 v[58:61], v58 offset1:1
	s_waitcnt lgkmcnt(1)
	v_fma_f64 v[42:43], -v[12:13], v[70:71], v[42:43]
	s_add_i32 s9, s7, 0xffffe990
	v_fma_f64 v[42:43], -v[18:19], v[68:69], v[42:43]
	v_mov_b32_e32 v62, s9
	ds_read2_b64 v[62:65], v62 offset1:1
	;; [unrolled: 6-line block ×3, first 2 shown]
	s_add_i32 s9, s7, 0xffffe970
	s_waitcnt lgkmcnt(1)
	v_fma_f64 v[42:43], -v[20:21], v[64:65], v[42:43]
	v_mov_b32_e32 v66, s9
	ds_read2_b64 v[66:69], v66 offset1:1
	v_fma_f64 v[42:43], -v[26:27], v[62:63], v[42:43]
	s_waitcnt lgkmcnt(1)
	v_fma_f64 v[42:43], -v[24:25], v[60:61], v[42:43]
	s_add_i32 s9, s7, 0xffffe960
	v_fma_f64 v[42:43], -v[30:31], v[58:59], v[42:43]
	v_mov_b32_e32 v58, s9
	ds_read2_b64 v[58:61], v58 offset1:1
	s_waitcnt lgkmcnt(1)
	v_fma_f64 v[42:43], -v[28:29], v[68:69], v[42:43]
	s_add_i32 s9, s8, 0xffffe950
	v_fma_f64 v[42:43], -v[34:35], v[66:67], v[42:43]
	v_mov_b32_e32 v62, s9
	ds_read2_b64 v[62:65], v62 offset1:1
	;; [unrolled: 6-line block ×3, first 2 shown]
	s_add_i32 s9, s7, 0xffffe8e8
	v_mov_b32_e32 v66, s9
	ds_read2_b64 v[66:69], v66 offset1:1
	s_add_i32 s9, s7, 0xffffe8d8
	s_waitcnt lgkmcnt(1)
	v_fma_f64 v[40:41], -v[54:55], v[60:61], v[40:41]
	v_fma_f64 v[40:41], -v[56:57], v[58:59], v[40:41]
	v_mov_b32_e32 v58, s9
	ds_read2_b64 v[58:61], v58 offset1:1
	v_fma_f64 v[42:43], -v[36:37], v[64:65], v[42:43]
	s_waitcnt lgkmcnt(1)
	v_fma_f64 v[40:41], -v[2:3], v[68:69], v[40:41]
	s_add_i32 s9, s7, 0xffffe8c8
	v_mul_f64 v[42:43], v[62:63], v[42:43]
	v_fma_f64 v[40:41], -v[0:1], v[66:67], v[40:41]
	v_mov_b32_e32 v62, s9
	ds_read2_b64 v[62:65], v62 offset1:1
	s_waitcnt lgkmcnt(1)
	v_fma_f64 v[40:41], -v[6:7], v[60:61], v[40:41]
	s_add_i32 s9, s7, 0xffffe8b8
	v_fma_f64 v[40:41], -v[4:5], v[58:59], v[40:41]
	v_mov_b32_e32 v58, s9
	ds_read2_b64 v[58:61], v58 offset1:1
	s_add_i32 s9, s7, 0xffffe8a8
	s_waitcnt lgkmcnt(1)
	v_fma_f64 v[40:41], -v[10:11], v[64:65], v[40:41]
	v_mov_b32_e32 v66, s9
	ds_read2_b64 v[66:69], v66 offset1:1
	v_fma_f64 v[40:41], -v[8:9], v[62:63], v[40:41]
	s_waitcnt lgkmcnt(1)
	v_fma_f64 v[40:41], -v[14:15], v[60:61], v[40:41]
	s_add_i32 s9, s7, 0xffffe898
	v_fma_f64 v[40:41], -v[12:13], v[58:59], v[40:41]
	v_mov_b32_e32 v58, s9
	ds_read2_b64 v[58:61], v58 offset1:1
	s_waitcnt lgkmcnt(1)
	v_fma_f64 v[40:41], -v[18:19], v[68:69], v[40:41]
	s_add_i32 s9, s7, 0xffffe888
	v_fma_f64 v[40:41], -v[16:17], v[66:67], v[40:41]
	v_mov_b32_e32 v62, s9
	ds_read2_b64 v[62:65], v62 offset1:1
	;; [unrolled: 6-line block ×3, first 2 shown]
	s_add_i32 s9, s7, 0xffffe868
	s_waitcnt lgkmcnt(1)
	v_fma_f64 v[40:41], -v[26:27], v[64:65], v[40:41]
	v_mov_b32_e32 v66, s9
	ds_read2_b64 v[66:69], v66 offset1:1
	v_fma_f64 v[40:41], -v[24:25], v[62:63], v[40:41]
	s_waitcnt lgkmcnt(1)
	v_fma_f64 v[40:41], -v[30:31], v[60:61], v[40:41]
	s_add_i32 s9, s7, 0xffffe858
	v_fma_f64 v[40:41], -v[28:29], v[58:59], v[40:41]
	v_mov_b32_e32 v58, s9
	ds_read2_b64 v[58:61], v58 offset1:1
	s_waitcnt lgkmcnt(1)
	v_fma_f64 v[40:41], -v[34:35], v[68:69], v[40:41]
	s_add_i32 s9, s8, 0xffffe848
	v_fma_f64 v[40:41], -v[32:33], v[66:67], v[40:41]
	v_mov_b32_e32 v62, s9
	ds_read2_b64 v[62:65], v62 offset1:1
	s_waitcnt lgkmcnt(1)
	v_fma_f64 v[40:41], -v[38:39], v[60:61], v[40:41]
	s_add_i32 s9, s7, 0xffffe800
	v_fma_f64 v[40:41], -v[36:37], v[58:59], v[40:41]
	v_mov_b32_e32 v58, s9
	s_add_i32 s9, s7, 0xffffe7f0
	global_store_dwordx4 v[50:51], v[36:39], off offset:-168
	v_mov_b32_e32 v59, s9
	ds_read_b64 v[66:67], v58
	ds_read2_b64 v[58:61], v59 offset1:1
	s_add_i32 s9, s7, 0xffffe7e0
	s_waitcnt lgkmcnt(2)
	v_fma_f64 v[40:41], -v[42:43], v[64:65], v[40:41]
	v_mul_f64 v[40:41], v[62:63], v[40:41]
	s_waitcnt lgkmcnt(1)
	v_fma_f64 v[46:47], -v[54:55], v[66:67], v[46:47]
	s_waitcnt lgkmcnt(0)
	v_fma_f64 v[46:47], -v[56:57], v[60:61], v[46:47]
	v_mov_b32_e32 v60, s9
	ds_read2_b64 v[60:63], v60 offset1:1
	s_add_i32 s9, s7, 0xffffe7d0
	v_fma_f64 v[46:47], -v[2:3], v[58:59], v[46:47]
	v_mov_b32_e32 v58, s9
	ds_read2_b64 v[64:67], v58 offset1:1
	s_add_i32 s9, s7, 0xffffe7c0
	s_waitcnt lgkmcnt(1)
	v_fma_f64 v[46:47], -v[0:1], v[62:63], v[46:47]
	v_mov_b32_e32 v58, s9
	v_fma_f64 v[46:47], -v[6:7], v[60:61], v[46:47]
	ds_read2_b64 v[58:61], v58 offset1:1
	s_add_i32 s9, s7, 0xffffe7b0
	s_waitcnt lgkmcnt(1)
	v_fma_f64 v[46:47], -v[4:5], v[66:67], v[46:47]
	v_mov_b32_e32 v62, s9
	ds_read2_b64 v[68:71], v62 offset1:1
	v_fma_f64 v[46:47], -v[10:11], v[64:65], v[46:47]
	s_waitcnt lgkmcnt(1)
	v_fma_f64 v[46:47], -v[8:9], v[60:61], v[46:47]
	s_add_i32 s9, s7, 0xffffe7a0
	v_fma_f64 v[46:47], -v[14:15], v[58:59], v[46:47]
	v_mov_b32_e32 v58, s9
	ds_read2_b64 v[58:61], v58 offset1:1
	s_waitcnt lgkmcnt(1)
	v_fma_f64 v[46:47], -v[12:13], v[70:71], v[46:47]
	s_add_i32 s9, s7, 0xffffe790
	v_fma_f64 v[46:47], -v[18:19], v[68:69], v[46:47]
	v_mov_b32_e32 v62, s9
	ds_read2_b64 v[62:65], v62 offset1:1
	;; [unrolled: 6-line block ×3, first 2 shown]
	s_add_i32 s9, s7, 0xffffe770
	s_waitcnt lgkmcnt(1)
	v_fma_f64 v[46:47], -v[20:21], v[64:65], v[46:47]
	v_mov_b32_e32 v66, s9
	ds_read2_b64 v[66:69], v66 offset1:1
	v_fma_f64 v[46:47], -v[26:27], v[62:63], v[46:47]
	s_waitcnt lgkmcnt(1)
	v_fma_f64 v[46:47], -v[24:25], v[60:61], v[46:47]
	s_add_i32 s9, s7, 0xffffe760
	v_fma_f64 v[46:47], -v[30:31], v[58:59], v[46:47]
	v_mov_b32_e32 v58, s9
	ds_read2_b64 v[58:61], v58 offset1:1
	s_waitcnt lgkmcnt(1)
	v_fma_f64 v[46:47], -v[28:29], v[68:69], v[46:47]
	s_add_i32 s9, s7, 0xffffe750
	v_fma_f64 v[46:47], -v[34:35], v[66:67], v[46:47]
	v_mov_b32_e32 v62, s9
	ds_read2_b64 v[62:65], v62 offset1:1
	;; [unrolled: 6-line block ×3, first 2 shown]
	s_add_i32 s9, s7, 0xffffe6f8
	s_waitcnt lgkmcnt(1)
	v_fma_f64 v[46:47], -v[36:37], v[64:65], v[46:47]
	v_mov_b32_e32 v66, s9
	ds_read2_b64 v[66:69], v66 offset1:1
	v_fma_f64 v[46:47], -v[42:43], v[62:63], v[46:47]
	s_waitcnt lgkmcnt(1)
	v_fma_f64 v[46:47], -v[40:41], v[60:61], v[46:47]
	s_add_i32 s9, s7, 0xffffe6e8
	v_mul_f64 v[46:47], v[58:59], v[46:47]
	v_mov_b32_e32 v58, s9
	ds_read2_b64 v[58:61], v58 offset1:1
	s_waitcnt lgkmcnt(1)
	v_fma_f64 v[44:45], -v[54:55], v[68:69], v[44:45]
	s_add_i32 s9, s7, 0xffffe6d8
	v_fma_f64 v[44:45], -v[56:57], v[66:67], v[44:45]
	v_mov_b32_e32 v62, s9
	ds_read2_b64 v[62:65], v62 offset1:1
	s_waitcnt lgkmcnt(1)
	v_fma_f64 v[44:45], -v[2:3], v[60:61], v[44:45]
	s_add_i32 s9, s7, 0xffffe6c8
	v_fma_f64 v[44:45], -v[0:1], v[58:59], v[44:45]
	v_mov_b32_e32 v58, s9
	ds_read2_b64 v[58:61], v58 offset1:1
	s_add_i32 s9, s7, 0xffffe6b8
	s_waitcnt lgkmcnt(1)
	v_fma_f64 v[44:45], -v[6:7], v[64:65], v[44:45]
	v_mov_b32_e32 v66, s9
	ds_read2_b64 v[66:69], v66 offset1:1
	v_fma_f64 v[44:45], -v[4:5], v[62:63], v[44:45]
	s_waitcnt lgkmcnt(1)
	v_fma_f64 v[44:45], -v[10:11], v[60:61], v[44:45]
	s_add_i32 s9, s7, 0xffffe6a8
	v_fma_f64 v[44:45], -v[8:9], v[58:59], v[44:45]
	v_mov_b32_e32 v58, s9
	ds_read2_b64 v[58:61], v58 offset1:1
	s_waitcnt lgkmcnt(1)
	v_fma_f64 v[44:45], -v[14:15], v[68:69], v[44:45]
	s_add_i32 s9, s7, 0xffffe698
	v_fma_f64 v[44:45], -v[12:13], v[66:67], v[44:45]
	v_mov_b32_e32 v62, s9
	ds_read2_b64 v[62:65], v62 offset1:1
	s_waitcnt lgkmcnt(1)
	v_fma_f64 v[44:45], -v[18:19], v[60:61], v[44:45]
	s_add_i32 s9, s7, 0xffffe688
	v_fma_f64 v[44:45], -v[16:17], v[58:59], v[44:45]
	v_mov_b32_e32 v58, s9
	ds_read2_b64 v[58:61], v58 offset1:1
	s_add_i32 s9, s7, 0xffffe678
	s_waitcnt lgkmcnt(1)
	v_fma_f64 v[44:45], -v[22:23], v[64:65], v[44:45]
	v_mov_b32_e32 v66, s9
	ds_read2_b64 v[66:69], v66 offset1:1
	v_fma_f64 v[44:45], -v[20:21], v[62:63], v[44:45]
	s_waitcnt lgkmcnt(1)
	v_fma_f64 v[44:45], -v[26:27], v[60:61], v[44:45]
	s_add_i32 s9, s7, 0xffffe668
	v_fma_f64 v[44:45], -v[24:25], v[58:59], v[44:45]
	;; [unrolled: 24-line block ×3, first 2 shown]
	v_mov_b32_e32 v58, s9
	ds_read_b64 v[62:63], v58
	s_add_i32 s9, s7, 0xffffe5f0
	v_mov_b32_e32 v58, s9
	ds_read2_b64 v[58:61], v58 offset1:1
	s_add_i32 s9, s7, 0xffffe5e0
	s_waitcnt lgkmcnt(1)
	v_fma_f64 v[52:53], -v[54:55], v[62:63], v[52:53]
	v_mov_b32_e32 v62, s9
	ds_read2_b64 v[62:65], v62 offset1:1
	v_fma_f64 v[44:45], -v[46:47], v[68:69], v[44:45]
	s_add_i32 s9, s7, 0xffffe5d0
	v_mul_f64 v[44:45], v[66:67], v[44:45]
	v_mov_b32_e32 v66, s9
	ds_read2_b64 v[66:69], v66 offset1:1
	s_waitcnt lgkmcnt(2)
	v_fma_f64 v[52:53], -v[56:57], v[60:61], v[52:53]
	s_add_i32 s9, s7, 0xffffe5c0
	v_fma_f64 v[52:53], -v[2:3], v[58:59], v[52:53]
	v_mov_b32_e32 v58, s9
	ds_read2_b64 v[58:61], v58 offset1:1
	s_waitcnt lgkmcnt(2)
	v_fma_f64 v[52:53], -v[0:1], v[64:65], v[52:53]
	v_fma_f64 v[52:53], -v[6:7], v[62:63], v[52:53]
	s_waitcnt lgkmcnt(1)
	v_fma_f64 v[52:53], -v[4:5], v[68:69], v[52:53]
	s_add_i32 s9, s7, 0xffffe5b0
	v_fma_f64 v[52:53], -v[10:11], v[66:67], v[52:53]
	v_mov_b32_e32 v62, s9
	ds_read2_b64 v[62:65], v62 offset1:1
	s_waitcnt lgkmcnt(1)
	v_fma_f64 v[52:53], -v[8:9], v[60:61], v[52:53]
	s_add_i32 s9, s7, 0xffffe5a0
	v_fma_f64 v[52:53], -v[14:15], v[58:59], v[52:53]
	v_mov_b32_e32 v58, s9
	ds_read2_b64 v[58:61], v58 offset1:1
	s_add_i32 s9, s7, 0xffffe590
	s_waitcnt lgkmcnt(1)
	v_fma_f64 v[52:53], -v[12:13], v[64:65], v[52:53]
	v_mov_b32_e32 v66, s9
	ds_read2_b64 v[66:69], v66 offset1:1
	v_fma_f64 v[52:53], -v[18:19], v[62:63], v[52:53]
	s_waitcnt lgkmcnt(1)
	v_fma_f64 v[52:53], -v[16:17], v[60:61], v[52:53]
	s_add_i32 s9, s7, 0xffffe580
	v_fma_f64 v[52:53], -v[22:23], v[58:59], v[52:53]
	v_mov_b32_e32 v58, s9
	ds_read2_b64 v[58:61], v58 offset1:1
	s_waitcnt lgkmcnt(1)
	v_fma_f64 v[52:53], -v[20:21], v[68:69], v[52:53]
	s_add_i32 s9, s7, 0xffffe570
	v_fma_f64 v[52:53], -v[26:27], v[66:67], v[52:53]
	v_mov_b32_e32 v62, s9
	ds_read2_b64 v[62:65], v62 offset1:1
	;; [unrolled: 6-line block ×3, first 2 shown]
	s_add_i32 s9, s7, 0xffffe550
	s_waitcnt lgkmcnt(1)
	v_fma_f64 v[52:53], -v[28:29], v[64:65], v[52:53]
	v_mov_b32_e32 v66, s9
	ds_read2_b64 v[66:69], v66 offset1:1
	v_fma_f64 v[52:53], -v[34:35], v[62:63], v[52:53]
	s_waitcnt lgkmcnt(1)
	v_fma_f64 v[52:53], -v[32:33], v[60:61], v[52:53]
	s_addk_i32 s7, 0xe540
	v_fma_f64 v[52:53], -v[38:39], v[58:59], v[52:53]
	v_mov_b32_e32 v58, s7
	ds_read2_b64 v[58:61], v58 offset1:1
	s_add_i32 s7, s8, 0xffffe530
	v_mov_b32_e32 v62, s7
	ds_read2_b64 v[62:65], v62 offset1:1
	s_sub_i32 s7, s6, 27
	s_lshl_b32 s7, s7, 5
	s_waitcnt lgkmcnt(2)
	v_fma_f64 v[52:53], -v[36:37], v[68:69], v[52:53]
	s_add_i32 s7, s7, s6
	v_fma_f64 v[52:53], -v[42:43], v[66:67], v[52:53]
	s_lshl_b32 s7, s7, 3
	s_waitcnt lgkmcnt(1)
	v_fma_f64 v[52:53], -v[40:41], v[60:61], v[52:53]
	s_add_i32 s9, s7, -8
	v_fma_f64 v[52:53], -v[46:47], v[58:59], v[52:53]
	v_mov_b32_e32 v58, s9
	s_sub_i32 s9, s7, 24
	ds_read2_b64 v[58:61], v58 offset1:1
	v_mov_b32_e32 v66, s9
	ds_read2_b64 v[66:69], v66 offset1:1
	s_sub_i32 s9, s7, 40
	s_waitcnt lgkmcnt(2)
	v_fma_f64 v[52:53], -v[44:45], v[64:65], v[52:53]
	s_waitcnt lgkmcnt(1)
	v_fma_f64 v[48:49], -v[54:55], v[60:61], v[48:49]
	v_fma_f64 v[48:49], -v[56:57], v[58:59], v[48:49]
	s_waitcnt lgkmcnt(0)
	v_fma_f64 v[2:3], -v[2:3], v[68:69], v[48:49]
	v_mov_b32_e32 v48, s9
	v_mul_f64 v[62:63], v[62:63], v[52:53]
	ds_read2_b64 v[52:55], v48 offset1:1
	s_sub_i32 s9, s7, 56
	v_fma_f64 v[48:49], -v[0:1], v[66:67], v[2:3]
	v_mov_b32_e32 v0, s9
	ds_read2_b64 v[0:3], v0 offset1:1
	s_waitcnt lgkmcnt(1)
	v_fma_f64 v[6:7], -v[6:7], v[54:55], v[48:49]
	s_add_i32 s9, s7, 0xffffffb8
	v_fma_f64 v[48:49], -v[4:5], v[52:53], v[6:7]
	v_mov_b32_e32 v4, s9
	ds_read2_b64 v[4:7], v4 offset1:1
	s_add_i32 s9, s7, 0xffffffa8
	v_mov_b32_e32 v52, s9
	ds_read2_b64 v[52:55], v52 offset1:1
	s_waitcnt lgkmcnt(2)
	v_fma_f64 v[2:3], -v[10:11], v[2:3], v[48:49]
	v_fma_f64 v[0:1], -v[8:9], v[0:1], v[2:3]
	s_waitcnt lgkmcnt(1)
	v_fma_f64 v[0:1], -v[14:15], v[6:7], v[0:1]
	v_fma_f64 v[0:1], -v[12:13], v[4:5], v[0:1]
	s_add_i32 s9, s7, 0xffffff98
	s_waitcnt lgkmcnt(0)
	v_fma_f64 v[4:5], -v[18:19], v[54:55], v[0:1]
	v_mov_b32_e32 v0, s9
	ds_read2_b64 v[0:3], v0 offset1:1
	s_add_i32 s9, s7, 0xffffff88
	v_fma_f64 v[8:9], -v[16:17], v[52:53], v[4:5]
	v_mov_b32_e32 v4, s9
	ds_read2_b64 v[4:7], v4 offset1:1
	s_waitcnt lgkmcnt(1)
	v_fma_f64 v[2:3], -v[22:23], v[2:3], v[8:9]
	s_add_i32 s9, s7, 0xffffff78
	v_fma_f64 v[12:13], -v[20:21], v[0:1], v[2:3]
	v_mov_b32_e32 v0, s9
	s_add_i32 s9, s7, 0xffffff68
	ds_read2_b64 v[0:3], v0 offset1:1
	v_mov_b32_e32 v8, s9
	ds_read2_b64 v[8:11], v8 offset1:1
	s_waitcnt lgkmcnt(2)
	v_fma_f64 v[6:7], -v[26:27], v[6:7], v[12:13]
	v_fma_f64 v[4:5], -v[24:25], v[4:5], v[6:7]
	s_waitcnt lgkmcnt(1)
	v_fma_f64 v[2:3], -v[30:31], v[2:3], v[4:5]
	v_fma_f64 v[0:1], -v[28:29], v[0:1], v[2:3]
	s_add_i32 s9, s7, 0xffffff58
	s_waitcnt lgkmcnt(0)
	v_fma_f64 v[4:5], -v[34:35], v[10:11], v[0:1]
	v_mov_b32_e32 v0, s9
	ds_read2_b64 v[0:3], v0 offset1:1
	s_add_i32 s9, s7, 0xffffff48
	v_fma_f64 v[8:9], -v[32:33], v[8:9], v[4:5]
	v_mov_b32_e32 v4, s9
	ds_read2_b64 v[4:7], v4 offset1:1
	s_waitcnt lgkmcnt(1)
	v_fma_f64 v[2:3], -v[38:39], v[2:3], v[8:9]
	s_addk_i32 s7, 0xff38
	v_fma_f64 v[12:13], -v[36:37], v[0:1], v[2:3]
	v_mov_b32_e32 v0, s7
	s_add_i32 s7, s8, 0xffffe428
	ds_read2_b64 v[0:3], v0 offset1:1
	v_mov_b32_e32 v8, s7
	ds_read2_b64 v[8:11], v8 offset1:1
	s_waitcnt lgkmcnt(2)
	v_fma_f64 v[6:7], -v[42:43], v[6:7], v[12:13]
	v_fma_f64 v[4:5], -v[40:41], v[4:5], v[6:7]
	s_waitcnt lgkmcnt(1)
	v_fma_f64 v[2:3], -v[46:47], v[2:3], v[4:5]
	v_fma_f64 v[0:1], -v[44:45], v[0:1], v[2:3]
	s_waitcnt lgkmcnt(0)
	v_fma_f64 v[0:1], -v[62:63], v[10:11], v[0:1]
	v_mul_f64 v[60:61], v[8:9], v[0:1]
	s_sub_i32 s6, s6, 28
	global_store_dwordx4 v[50:51], v[40:43], off offset:-184
	global_store_dwordx4 v[50:51], v[44:47], off offset:-200
	;; [unrolled: 1-line block ×3, first 2 shown]
.LBB105_20:
	s_cmp_lt_i32 s6, 0
	s_cbranch_scc1 .LBB105_37
; %bb.21:
	s_add_i32 s7, s6, 1
	s_and_b32 s7, s7, 3
	s_cmp_eq_u32 s7, 0
	s_mov_b32 s8, s6
	s_cbranch_scc1 .LBB105_26
; %bb.22:
	s_lshl_b32 s8, s6, 8
	s_lshl_b32 s9, s16, 3
	s_add_i32 s8, s8, s9
	s_ashr_i32 s19, s18, 31
	s_add_i32 s12, s8, -8
	s_lshl_b64 s[8:9], s[18:19], 3
	s_add_u32 s8, s10, s8
	s_addc_u32 s9, s11, s9
	s_add_u32 s8, s8, s4
	s_addc_u32 s9, s9, s5
	;; [unrolled: 2-line block ×3, first 2 shown]
	v_mov_b32_e32 v1, s9
	v_add_co_u32_e32 v0, vcc, s8, v174
	s_mov_b32 s9, 0
	v_addc_co_u32_e32 v1, vcc, v1, v175, vcc
	s_mov_b32 s8, s6
	s_mov_b32 s13, s9
	s_branch .LBB105_24
.LBB105_23:                             ;   in Loop: Header=BB105_24 Depth=1
	s_mul_i32 s15, s8, 0x108
	v_mov_b32_e32 v4, s15
	ds_read_b64 v[4:5], v4
	s_ashr_i32 s21, s8, 31
	s_mov_b32 s20, s8
	s_lshl_b64 s[20:21], s[20:21], 3
	v_mov_b32_e32 v6, s21
	s_waitcnt lgkmcnt(0)
	v_mul_f64 v[2:3], v[4:5], v[2:3]
	v_add_co_u32_e32 v4, vcc, s20, v172
	s_add_i32 s8, s8, -1
	s_add_i32 s13, s13, 1
	s_addk_i32 s12, 0xff00
	v_addc_co_u32_e32 v5, vcc, v173, v6, vcc
	s_cmp_lg_u32 s13, s7
	global_store_dwordx2 v[4:5], v[2:3], off
	s_cbranch_scc0 .LBB105_26
.LBB105_24:                             ; =>This Loop Header: Depth=1
                                        ;     Child Loop BB105_25 Depth 2
	s_lshl_b64 s[20:21], s[8:9], 3
	v_mov_b32_e32 v3, s21
	v_add_co_u32_e32 v2, vcc, s20, v172
	v_addc_co_u32_e32 v3, vcc, v173, v3, vcc
	global_load_dwordx2 v[2:3], v[2:3], off
	v_pk_mov_b32 v[4:5], v[0:1], v[0:1] op_sel:[0,1]
	s_mov_b32 s15, s12
	s_cmp_le_i32 s18, s8
	s_mov_b32 s17, s18
	s_waitcnt vmcnt(0)
	v_mul_f64 v[2:3], v[2:3], s[0:1]
	s_cbranch_scc1 .LBB105_23
.LBB105_25:                             ;   Parent Loop BB105_24 Depth=1
                                        ; =>  This Inner Loop Header: Depth=2
	global_load_dwordx2 v[6:7], v[4:5], off
	v_mov_b32_e32 v8, s15
	ds_read_b64 v[8:9], v8
	s_add_i32 s17, s17, -1
	s_add_i32 s15, s15, -8
	v_add_co_u32_e32 v4, vcc, -8, v4
	v_addc_co_u32_e32 v5, vcc, -1, v5, vcc
	s_cmp_gt_i32 s17, s8
	s_waitcnt vmcnt(0) lgkmcnt(0)
	v_fma_f64 v[2:3], -v[6:7], v[8:9], v[2:3]
	s_cbranch_scc1 .LBB105_25
	s_branch .LBB105_23
.LBB105_26:
	s_cmp_lt_u32 s6, 3
	s_cbranch_scc1 .LBB105_37
; %bb.27:
	s_lshl_b32 s6, s8, 8
	s_lshl_b32 s7, s16, 3
	s_add_i32 s9, s6, s7
	s_ashr_i32 s19, s18, 31
	s_add_i32 s12, s9, -8
	s_lshl_b64 s[6:7], s[18:19], 3
	s_add_u32 s6, s10, s6
	s_addc_u32 s7, s11, s7
	s_add_u32 s6, s6, s4
	s_addc_u32 s7, s7, s5
	;; [unrolled: 2-line block ×3, first 2 shown]
	v_mov_b32_e32 v1, s7
	v_add_co_u32_e32 v0, vcc, s6, v174
	v_addc_co_u32_e32 v1, vcc, v1, v175, vcc
	s_add_i32 s13, s9, 0xfffffef8
	s_add_i32 s15, s9, 0xfffffdf8
	;; [unrolled: 1-line block ×3, first 2 shown]
	s_mov_b32 s9, 0
	s_branch .LBB105_29
.LBB105_28:                             ;   in Loop: Header=BB105_29 Depth=1
	s_add_i32 s6, s7, 0xfffffef8
	v_mov_b32_e32 v6, s6
	ds_read_b64 v[6:7], v6
	s_add_i32 s6, s8, -4
	s_addk_i32 s12, 0xfc00
	s_addk_i32 s13, 0xfc00
	s_addk_i32 s15, 0xfc00
	s_addk_i32 s17, 0xfc00
	s_waitcnt lgkmcnt(0)
	v_mul_f64 v[4:5], v[6:7], v[4:5]
	s_cmp_lt_i32 s8, 4
	s_mov_b32 s8, s6
	global_store_dwordx2 v[2:3], v[4:5], off offset:-24
	s_cbranch_scc1 .LBB105_37
.LBB105_29:                             ; =>This Loop Header: Depth=1
                                        ;     Child Loop BB105_30 Depth 2
                                        ;     Child Loop BB105_32 Depth 2
	;; [unrolled: 1-line block ×4, first 2 shown]
	s_lshl_b64 s[6:7], s[8:9], 3
	v_mov_b32_e32 v3, s7
	v_add_co_u32_e32 v2, vcc, s6, v172
	v_addc_co_u32_e32 v3, vcc, v173, v3, vcc
	global_load_dwordx2 v[4:5], v[2:3], off
	v_pk_mov_b32 v[2:3], v[0:1], v[0:1] op_sel:[0,1]
	s_mov_b32 s6, s12
	s_cmp_le_i32 s18, s8
	s_mov_b32 s7, s18
	s_waitcnt vmcnt(0)
	v_mul_f64 v[4:5], v[4:5], s[0:1]
	s_cbranch_scc1 .LBB105_31
.LBB105_30:                             ;   Parent Loop BB105_29 Depth=1
                                        ; =>  This Inner Loop Header: Depth=2
	global_load_dwordx2 v[6:7], v[2:3], off
	v_mov_b32_e32 v8, s6
	ds_read_b64 v[8:9], v8
	s_add_i32 s7, s7, -1
	s_add_i32 s6, s6, -8
	v_add_co_u32_e32 v2, vcc, -8, v2
	v_addc_co_u32_e32 v3, vcc, -1, v3, vcc
	s_cmp_gt_i32 s7, s8
	s_waitcnt vmcnt(0) lgkmcnt(0)
	v_fma_f64 v[4:5], -v[6:7], v[8:9], v[4:5]
	s_cbranch_scc1 .LBB105_30
.LBB105_31:                             ;   in Loop: Header=BB105_29 Depth=1
	s_add_i32 s6, s8, -1
	s_mov_b32 s7, s9
	s_lshl_b64 s[6:7], s[6:7], 3
	v_mov_b32_e32 v3, s7
	v_add_co_u32_e32 v2, vcc, s6, v172
	v_addc_co_u32_e32 v3, vcc, v173, v3, vcc
	global_load_dwordx2 v[8:9], v[2:3], off
	s_mul_i32 s19, s8, 0x108
	v_mov_b32_e32 v2, s19
	ds_read_b64 v[10:11], v2
	s_ashr_i32 s21, s8, 31
	s_mov_b32 s20, s8
	s_lshl_b64 s[20:21], s[20:21], 3
	v_mov_b32_e32 v3, s21
	v_add_co_u32_e32 v2, vcc, s20, v172
	v_addc_co_u32_e32 v3, vcc, v173, v3, vcc
	s_waitcnt lgkmcnt(0)
	v_mul_f64 v[4:5], v[10:11], v[4:5]
	v_pk_mov_b32 v[6:7], v[0:1], v[0:1] op_sel:[0,1]
	s_mov_b32 s6, s13
	s_cmp_lt_i32 s18, s8
	global_store_dwordx2 v[2:3], v[4:5], off
	s_mov_b32 s7, s16
	s_waitcnt vmcnt(1)
	v_mul_f64 v[4:5], v[8:9], s[0:1]
	s_cbranch_scc1 .LBB105_33
.LBB105_32:                             ;   Parent Loop BB105_29 Depth=1
                                        ; =>  This Inner Loop Header: Depth=2
	global_load_dwordx2 v[8:9], v[6:7], off
	v_mov_b32_e32 v10, s6
	ds_read_b64 v[10:11], v10
	s_add_i32 s7, s7, -1
	s_add_i32 s6, s6, -8
	v_add_co_u32_e32 v6, vcc, -8, v6
	v_addc_co_u32_e32 v7, vcc, -1, v7, vcc
	s_cmp_gt_i32 s7, s8
	s_waitcnt vmcnt(0) lgkmcnt(0)
	v_fma_f64 v[4:5], -v[8:9], v[10:11], v[4:5]
	s_cbranch_scc1 .LBB105_32
.LBB105_33:                             ;   in Loop: Header=BB105_29 Depth=1
	s_add_i32 s6, s8, -2
	s_mov_b32 s7, s9
	s_lshl_b64 s[20:21], s[6:7], 3
	v_mov_b32_e32 v7, s21
	v_add_co_u32_e32 v6, vcc, s20, v172
	v_addc_co_u32_e32 v7, vcc, v173, v7, vcc
	global_load_dwordx2 v[8:9], v[6:7], off
	s_addk_i32 s19, 0xfef8
	v_mov_b32_e32 v6, s19
	ds_read_b64 v[10:11], v6
	v_pk_mov_b32 v[6:7], v[0:1], v[0:1] op_sel:[0,1]
	s_mov_b32 s7, s15
	s_cmp_le_i32 s18, s6
	s_mov_b32 s20, s18
	s_waitcnt lgkmcnt(0)
	v_mul_f64 v[4:5], v[10:11], v[4:5]
	global_store_dwordx2 v[2:3], v[4:5], off offset:-8
	s_waitcnt vmcnt(1)
	v_mul_f64 v[4:5], v[8:9], s[0:1]
	s_cbranch_scc1 .LBB105_35
.LBB105_34:                             ;   Parent Loop BB105_29 Depth=1
                                        ; =>  This Inner Loop Header: Depth=2
	global_load_dwordx2 v[8:9], v[6:7], off
	v_mov_b32_e32 v10, s7
	ds_read_b64 v[10:11], v10
	s_add_i32 s20, s20, -1
	s_add_i32 s7, s7, -8
	v_add_co_u32_e32 v6, vcc, -8, v6
	v_addc_co_u32_e32 v7, vcc, -1, v7, vcc
	s_cmp_gt_i32 s20, s6
	s_waitcnt vmcnt(0) lgkmcnt(0)
	v_fma_f64 v[4:5], -v[8:9], v[10:11], v[4:5]
	s_cbranch_scc1 .LBB105_34
.LBB105_35:                             ;   in Loop: Header=BB105_29 Depth=1
	s_add_i32 s6, s8, -3
	s_mov_b32 s7, s9
	s_lshl_b64 s[20:21], s[6:7], 3
	v_mov_b32_e32 v7, s21
	v_add_co_u32_e32 v6, vcc, s20, v172
	v_addc_co_u32_e32 v7, vcc, v173, v7, vcc
	global_load_dwordx2 v[8:9], v[6:7], off
	s_add_i32 s7, s19, 0xfffffef8
	v_mov_b32_e32 v6, s7
	ds_read_b64 v[10:11], v6
	v_pk_mov_b32 v[6:7], v[0:1], v[0:1] op_sel:[0,1]
	s_mov_b32 s19, s17
	s_cmp_le_i32 s18, s6
	s_mov_b32 s20, s18
	s_waitcnt lgkmcnt(0)
	v_mul_f64 v[4:5], v[10:11], v[4:5]
	global_store_dwordx2 v[2:3], v[4:5], off offset:-16
	s_waitcnt vmcnt(1)
	v_mul_f64 v[4:5], v[8:9], s[0:1]
	s_cbranch_scc1 .LBB105_28
.LBB105_36:                             ;   Parent Loop BB105_29 Depth=1
                                        ; =>  This Inner Loop Header: Depth=2
	global_load_dwordx2 v[8:9], v[6:7], off
	v_mov_b32_e32 v10, s19
	ds_read_b64 v[10:11], v10
	s_add_i32 s20, s20, -1
	s_add_i32 s19, s19, -8
	v_add_co_u32_e32 v6, vcc, -8, v6
	v_addc_co_u32_e32 v7, vcc, -1, v7, vcc
	s_cmp_gt_i32 s20, s6
	s_waitcnt vmcnt(0) lgkmcnt(0)
	v_fma_f64 v[4:5], -v[8:9], v[10:11], v[4:5]
	s_cbranch_scc1 .LBB105_36
	s_branch .LBB105_28
.LBB105_37:
	s_mov_b64 s[6:7], 0
.LBB105_38:
	s_and_b64 vcc, exec, s[6:7]
	s_cbranch_vccz .LBB105_58
; %bb.39:
	s_cmp_gt_i32 s14, 31
	s_cselect_b64 s[6:7], -1, 0
	s_mov_b32 s8, 0
	s_and_b64 vcc, exec, s[6:7]
	s_cbranch_vccz .LBB105_41
; %bb.40:
	global_load_dwordx4 v[60:63], v[172:173], off
	global_load_dwordx4 v[56:59], v[172:173], off offset:16
	global_load_dwordx4 v[52:55], v[172:173], off offset:32
	;; [unrolled: 1-line block ×15, first 2 shown]
	v_mov_b32_e32 v176, 0
	ds_read_b128 v[72:75], v176
	ds_read_b128 v[68:71], v176 offset:16
	ds_read2_b64 v[64:67], v176 offset0:33 offset1:34
	ds_read2_b64 v[80:83], v176 offset0:35 offset1:36
	;; [unrolled: 1-line block ×4, first 2 shown]
	ds_read_b128 v[88:91], v176 offset:32
	ds_read_b128 v[108:111], v176 offset:48
	;; [unrolled: 1-line block ×6, first 2 shown]
	ds_read2_b64 v[112:115], v176 offset0:37 offset1:38
	ds_read2_b64 v[128:131], v176 offset0:39 offset1:40
	;; [unrolled: 1-line block ×8, first 2 shown]
	ds_read_b128 v[148:151], v176 offset:64
	ds_read_b128 v[144:147], v176 offset:80
	;; [unrolled: 1-line block ×5, first 2 shown]
	ds_read2_b64 v[164:167], v176 offset0:61 offset1:62
	ds_read_b128 v[178:181], v176 offset:1584
	ds_read2_b64 v[168:171], v176 offset0:189 offset1:190
	s_movk_i32 s8, 0x1f8
	s_waitcnt vmcnt(15)
	v_mul_f64 v[60:61], v[60:61], s[0:1]
	s_waitcnt lgkmcnt(14)
	v_mul_f64 v[60:61], v[72:73], v[60:61]
	v_mul_f64 v[72:73], v[60:61], v[74:75]
	v_mul_f64 v[68:69], v[60:61], v[68:69]
	v_fma_f64 v[62:63], v[62:63], s[0:1], -v[72:73]
	v_mul_f64 v[70:71], v[60:61], v[70:71]
	v_mul_f64 v[74:75], v[60:61], v[88:89]
	;; [unrolled: 1-line block ×4, first 2 shown]
	s_waitcnt vmcnt(14)
	v_fma_f64 v[56:57], v[56:57], s[0:1], -v[68:69]
	v_mul_f64 v[62:63], v[64:65], v[62:63]
	v_mul_f64 v[108:109], v[60:61], v[110:111]
	v_fma_f64 v[58:59], v[58:59], s[0:1], -v[70:71]
	s_waitcnt vmcnt(12)
	v_fma_f64 v[48:49], v[48:49], s[0:1], -v[90:91]
	v_fma_f64 v[56:57], -v[62:63], v[66:67], v[56:57]
	v_fma_f64 v[52:53], v[52:53], s[0:1], -v[74:75]
	v_fma_f64 v[50:51], v[50:51], s[0:1], -v[108:109]
	v_fma_f64 v[58:59], -v[62:63], v[80:81], v[58:59]
	v_fma_f64 v[64:65], -v[62:63], v[114:115], v[48:49]
	s_waitcnt lgkmcnt(3)
	v_mul_f64 v[48:49], v[160:161], v[56:57]
	v_fma_f64 v[54:55], v[54:55], s[0:1], -v[88:89]
	v_fma_f64 v[52:53], -v[62:63], v[82:83], v[52:53]
	v_fma_f64 v[50:51], -v[62:63], v[128:129], v[50:51]
	;; [unrolled: 1-line block ×7, first 2 shown]
	v_mul_f64 v[50:51], v[76:77], v[56:57]
	v_fma_f64 v[54:55], -v[48:49], v[94:95], v[54:55]
	v_fma_f64 v[52:53], -v[50:51], v[78:79], v[52:53]
	;; [unrolled: 1-line block ×3, first 2 shown]
	v_mul_f64 v[56:57], v[96:97], v[52:53]
	v_fma_f64 v[58:59], -v[50:51], v[86:87], v[58:59]
	v_fma_f64 v[52:53], -v[56:57], v[98:99], v[54:55]
	;; [unrolled: 1-line block ×4, first 2 shown]
	v_mul_f64 v[58:59], v[116:117], v[52:53]
	v_fma_f64 v[64:65], -v[56:57], v[106:107], v[64:65]
	v_fma_f64 v[52:53], -v[58:59], v[118:119], v[54:55]
	;; [unrolled: 1-line block ×3, first 2 shown]
	s_waitcnt lgkmcnt(1)
	v_mul_f64 v[52:53], v[178:179], v[52:53]
	v_fma_f64 v[54:55], -v[52:53], v[180:181], v[54:55]
	v_mul_f64 v[110:111], v[60:61], v[148:149]
	v_mul_f64 v[54:55], v[140:141], v[54:55]
	ds_read_b128 v[64:67], v176 offset:1088
	s_waitcnt vmcnt(11)
	v_fma_f64 v[44:45], v[44:45], s[0:1], -v[110:111]
	global_store_dwordx4 v[172:173], v[60:63], off
	global_store_dwordx4 v[172:173], v[48:51], off offset:16
	global_store_dwordx4 v[172:173], v[56:59], off offset:32
	;; [unrolled: 1-line block ×3, first 2 shown]
	v_fma_f64 v[44:45], -v[62:63], v[130:131], v[44:45]
	ds_read_b128 v[68:71], v176 offset:1104
	ds_read_b128 v[72:75], v176 offset:1600
	;; [unrolled: 1-line block ×5, first 2 shown]
	ds_read2_b64 v[88:91], v176 offset0:41 offset1:42
	v_fma_f64 v[44:45], -v[48:49], v[156:157], v[44:45]
	v_fma_f64 v[44:45], -v[50:51], v[126:127], v[44:45]
	s_waitcnt lgkmcnt(6)
	v_fma_f64 v[44:45], -v[56:57], v[64:65], v[44:45]
	v_mul_f64 v[64:65], v[60:61], v[150:151]
	v_fma_f64 v[46:47], v[46:47], s[0:1], -v[64:65]
	ds_read2_b64 v[92:95], v176 offset0:169 offset1:170
	ds_read2_b64 v[108:111], v176 offset0:171 offset1:172
	s_waitcnt lgkmcnt(2)
	v_fma_f64 v[46:47], -v[62:63], v[88:89], v[46:47]
	v_fma_f64 v[46:47], -v[48:49], v[158:159], v[46:47]
	;; [unrolled: 1-line block ×3, first 2 shown]
	v_mov_b32_e32 v64, 0x948
	v_fma_f64 v[44:45], -v[58:59], v[122:123], v[44:45]
	v_fma_f64 v[46:47], -v[56:57], v[66:67], v[46:47]
	ds_read2_b64 v[64:67], v64 offset1:1
	v_fma_f64 v[44:45], -v[52:53], v[72:73], v[44:45]
	s_waitcnt lgkmcnt(2)
	v_fma_f64 v[46:47], -v[58:59], v[92:93], v[46:47]
	v_fma_f64 v[44:45], -v[54:55], v[142:143], v[44:45]
	v_fma_f64 v[46:47], -v[52:53], v[74:75], v[46:47]
	v_mul_f64 v[44:45], v[80:81], v[44:45]
	ds_read2_b64 v[104:107], v176 offset0:43 offset1:44
	ds_read_b128 v[124:127], v176 offset:608
	v_fma_f64 v[46:47], -v[54:55], v[136:137], v[46:47]
	v_fma_f64 v[46:47], -v[44:45], v[82:83], v[46:47]
	v_mov_b32_e32 v72, 0x958
	ds_read2_b64 v[112:115], v72 offset1:1
	s_waitcnt lgkmcnt(3)
	v_mul_f64 v[46:47], v[64:65], v[46:47]
	v_mul_f64 v[64:65], v[60:61], v[144:145]
	ds_read2_b64 v[80:83], v176 offset0:107 offset1:108
	s_waitcnt vmcnt(14)
	v_fma_f64 v[40:41], v[40:41], s[0:1], -v[64:65]
	v_mul_f64 v[64:65], v[60:61], v[146:147]
	v_fma_f64 v[40:41], -v[62:63], v[90:91], v[40:41]
	ds_read2_b64 v[90:93], v176 offset0:109 offset1:110
	v_fma_f64 v[42:43], v[42:43], s[0:1], -v[64:65]
	v_fma_f64 v[40:41], -v[48:49], v[152:153], v[40:41]
	s_waitcnt lgkmcnt(4)
	v_fma_f64 v[42:43], -v[62:63], v[104:105], v[42:43]
	v_fma_f64 v[40:41], -v[50:51], v[134:135], v[40:41]
	;; [unrolled: 1-line block ×3, first 2 shown]
	ds_read2_b64 v[116:119], v176 offset0:235 offset1:236
	v_fma_f64 v[40:41], -v[56:57], v[68:69], v[40:41]
	s_waitcnt lgkmcnt(2)
	v_fma_f64 v[42:43], -v[50:51], v[80:81], v[42:43]
	v_fma_f64 v[40:41], -v[58:59], v[94:95], v[40:41]
	ds_read2_b64 v[94:97], v176 offset0:237 offset1:238
	ds_read_b128 v[72:75], v176 offset:2640
	v_fma_f64 v[42:43], -v[56:57], v[70:71], v[42:43]
	v_fma_f64 v[40:41], -v[52:53], v[76:77], v[40:41]
	;; [unrolled: 1-line block ×3, first 2 shown]
	v_mov_b32_e32 v64, 0xb58
	ds_read_b128 v[98:101], v176 offset:96
	ds_read2_b64 v[120:123], v64 offset1:1
	v_fma_f64 v[40:41], -v[54:55], v[138:139], v[40:41]
	v_fma_f64 v[42:43], -v[52:53], v[78:79], v[42:43]
	;; [unrolled: 1-line block ×3, first 2 shown]
	s_waitcnt lgkmcnt(4)
	v_fma_f64 v[42:43], -v[54:55], v[116:117], v[42:43]
	v_fma_f64 v[40:41], -v[46:47], v[66:67], v[40:41]
	;; [unrolled: 1-line block ×3, first 2 shown]
	ds_read_b128 v[66:69], v176 offset:2656
	s_waitcnt lgkmcnt(3)
	v_mul_f64 v[40:41], v[72:73], v[40:41]
	v_fma_f64 v[42:43], -v[46:47], v[112:113], v[42:43]
	v_fma_f64 v[42:43], -v[40:41], v[74:75], v[42:43]
	v_mov_b32_e32 v64, 0x968
	ds_read2_b64 v[102:105], v64 offset1:1
	ds_read_b128 v[70:73], v176 offset:112
	s_waitcnt lgkmcnt(3)
	v_mul_f64 v[42:43], v[120:121], v[42:43]
	v_mul_f64 v[64:65], v[60:61], v[98:99]
	global_store_dwordx4 v[172:173], v[44:47], off offset:64
	global_store_dwordx4 v[172:173], v[40:43], off offset:80
	s_waitcnt vmcnt(14)
	v_fma_f64 v[36:37], v[36:37], s[0:1], -v[64:65]
	v_fma_f64 v[36:37], -v[62:63], v[106:107], v[36:37]
	ds_read_b128 v[74:77], v176 offset:624
	ds_read_b128 v[106:109], v176 offset:1120
	v_fma_f64 v[36:37], -v[48:49], v[124:125], v[36:37]
	ds_read_b128 v[78:81], v176 offset:1136
	ds_read_b128 v[128:131], v176 offset:1632
	v_fma_f64 v[36:37], -v[50:51], v[82:83], v[36:37]
	v_mul_f64 v[98:99], v[60:61], v[100:101]
	s_waitcnt lgkmcnt(2)
	v_fma_f64 v[36:37], -v[56:57], v[106:107], v[36:37]
	v_fma_f64 v[36:37], -v[58:59], v[110:111], v[36:37]
	ds_read_b128 v[110:113], v176 offset:2144
	ds_read_b128 v[86:89], v176 offset:1648
	s_waitcnt lgkmcnt(2)
	v_fma_f64 v[36:37], -v[52:53], v[128:129], v[36:37]
	v_fma_f64 v[36:37], -v[54:55], v[118:119], v[36:37]
	ds_read_b128 v[82:85], v176 offset:2160
	s_waitcnt lgkmcnt(2)
	v_fma_f64 v[36:37], -v[44:45], v[110:111], v[36:37]
	v_fma_f64 v[36:37], -v[46:47], v[114:115], v[36:37]
	ds_read_b128 v[114:117], v176 offset:3168
	v_fma_f64 v[36:37], -v[40:41], v[66:67], v[36:37]
	ds_read_b128 v[64:67], v176 offset:2800
	ds_read2_b64 v[118:121], v176 offset0:45 offset1:46
	v_fma_f64 v[36:37], -v[42:43], v[122:123], v[36:37]
	v_fma_f64 v[38:39], v[38:39], s[0:1], -v[98:99]
	ds_read2_b64 v[122:125], v176 offset0:173 offset1:174
	ds_read2_b64 v[98:101], v176 offset0:47 offset1:48
	s_waitcnt lgkmcnt(2)
	v_fma_f64 v[38:39], -v[62:63], v[118:119], v[38:39]
	v_fma_f64 v[38:39], -v[48:49], v[126:127], v[38:39]
	;; [unrolled: 1-line block ×4, first 2 shown]
	s_waitcnt lgkmcnt(1)
	v_fma_f64 v[38:39], -v[58:59], v[122:123], v[38:39]
	v_fma_f64 v[38:39], -v[52:53], v[130:131], v[38:39]
	;; [unrolled: 1-line block ×6, first 2 shown]
	v_mul_f64 v[68:69], v[60:61], v[70:71]
	v_fma_f64 v[32:33], v[32:33], s[0:1], -v[68:69]
	v_mov_b32_e32 v90, 0xb68
	ds_read2_b64 v[110:113], v90 offset1:1
	v_fma_f64 v[32:33], -v[62:63], v[120:121], v[32:33]
	v_fma_f64 v[32:33], -v[48:49], v[74:75], v[32:33]
	v_mov_b32_e32 v90, 0xd68
	v_fma_f64 v[32:33], -v[50:51], v[92:93], v[32:33]
	ds_read2_b64 v[106:109], v176 offset0:175 offset1:176
	ds_read2_b64 v[126:129], v90 offset1:1
	v_fma_f64 v[32:33], -v[56:57], v[78:79], v[32:33]
	v_fma_f64 v[32:33], -v[58:59], v[124:125], v[32:33]
	ds_read_b128 v[90:93], v176 offset:2672
	v_fma_f64 v[32:33], -v[52:53], v[86:87], v[32:33]
	v_mul_f64 v[36:37], v[114:115], v[36:37]
	s_waitcnt lgkmcnt(3)
	v_fma_f64 v[38:39], -v[42:43], v[110:111], v[38:39]
	v_fma_f64 v[32:33], -v[54:55], v[96:97], v[32:33]
	;; [unrolled: 1-line block ×4, first 2 shown]
	s_waitcnt lgkmcnt(1)
	v_mul_f64 v[38:39], v[126:127], v[38:39]
	v_fma_f64 v[32:33], -v[46:47], v[104:105], v[32:33]
	global_store_dwordx4 v[172:173], v[36:39], off offset:96
	s_waitcnt lgkmcnt(0)
	v_fma_f64 v[32:33], -v[40:41], v[90:91], v[32:33]
	ds_read_b128 v[94:97], v176 offset:2688
	ds_read_b128 v[102:105], v176 offset:3184
	v_fma_f64 v[32:33], -v[42:43], v[112:113], v[32:33]
	ds_read_b128 v[110:113], v176 offset:3696
	ds_read_b128 v[114:117], v176 offset:3200
	v_mul_f64 v[78:79], v[60:61], v[72:73]
	ds_read2_b64 v[72:75], v176 offset0:111 offset1:112
	v_fma_f64 v[34:35], v[34:35], s[0:1], -v[78:79]
	v_fma_f64 v[34:35], -v[62:63], v[98:99], v[34:35]
	v_fma_f64 v[34:35], -v[48:49], v[76:77], v[34:35]
	ds_read2_b64 v[76:79], v176 offset0:113 offset1:114
	s_waitcnt lgkmcnt(1)
	v_fma_f64 v[34:35], -v[50:51], v[72:73], v[34:35]
	ds_read_b128 v[68:71], v176 offset:3312
	v_fma_f64 v[34:35], -v[56:57], v[80:81], v[34:35]
	ds_read2_b64 v[80:83], v176 offset0:239 offset1:240
	v_fma_f64 v[34:35], -v[58:59], v[106:107], v[34:35]
	v_fma_f64 v[34:35], -v[52:53], v[88:89], v[34:35]
	v_mov_b32_e32 v72, 0x978
	ds_read2_b64 v[86:89], v176 offset0:241 offset1:242
	ds_read2_b64 v[118:121], v72 offset1:1
	v_mov_b32_e32 v72, 0xb78
	ds_read2_b64 v[122:125], v72 offset1:1
	ds_read_b128 v[130:133], v176 offset:640
	s_waitcnt lgkmcnt(4)
	v_fma_f64 v[34:35], -v[54:55], v[80:81], v[34:35]
	v_fma_f64 v[34:35], -v[44:45], v[84:85], v[34:35]
	s_waitcnt lgkmcnt(2)
	v_fma_f64 v[34:35], -v[46:47], v[118:119], v[34:35]
	v_fma_f64 v[34:35], -v[40:41], v[92:93], v[34:35]
	v_mov_b32_e32 v72, 0xd78
	ds_read2_b64 v[90:93], v72 offset1:1
	s_waitcnt lgkmcnt(2)
	v_fma_f64 v[34:35], -v[42:43], v[122:123], v[34:35]
	v_fma_f64 v[32:33], -v[36:37], v[102:103], v[32:33]
	;; [unrolled: 1-line block ×3, first 2 shown]
	ds_read_b128 v[102:105], v176 offset:128
	v_mov_b32_e32 v72, 0xf78
	v_fma_f64 v[32:33], -v[38:39], v[128:129], v[32:33]
	ds_read2_b64 v[126:129], v72 offset1:1
	v_mul_f64 v[32:33], v[110:111], v[32:33]
	s_waitcnt lgkmcnt(2)
	v_fma_f64 v[34:35], -v[38:39], v[90:91], v[34:35]
	v_fma_f64 v[34:35], -v[32:33], v[112:113], v[34:35]
	ds_read_b128 v[110:113], v176 offset:144
	s_waitcnt lgkmcnt(1)
	v_mul_f64 v[34:35], v[126:127], v[34:35]
	v_mul_f64 v[72:73], v[60:61], v[102:103]
	global_store_dwordx4 v[172:173], v[32:35], off offset:112
	s_waitcnt vmcnt(12)
	v_fma_f64 v[28:29], v[28:29], s[0:1], -v[72:73]
	v_fma_f64 v[28:29], -v[62:63], v[100:101], v[28:29]
	ds_read_b128 v[98:101], v176 offset:656
	ds_read_b128 v[134:137], v176 offset:1152
	v_fma_f64 v[28:29], -v[48:49], v[130:131], v[28:29]
	v_fma_f64 v[28:29], -v[50:51], v[74:75], v[28:29]
	ds_read_b128 v[72:75], v176 offset:1168
	ds_read_b128 v[138:141], v176 offset:1664
	v_mul_f64 v[84:85], v[60:61], v[104:105]
	s_waitcnt lgkmcnt(2)
	v_fma_f64 v[28:29], -v[56:57], v[134:135], v[28:29]
	v_fma_f64 v[28:29], -v[58:59], v[108:109], v[28:29]
	ds_read_b128 v[106:109], v176 offset:2176
	ds_read_b128 v[142:145], v176 offset:1680
	s_waitcnt lgkmcnt(2)
	v_fma_f64 v[28:29], -v[52:53], v[138:139], v[28:29]
	v_fma_f64 v[28:29], -v[54:55], v[82:83], v[28:29]
	ds_read_b128 v[80:83], v176 offset:2192
	s_waitcnt lgkmcnt(2)
	v_fma_f64 v[28:29], -v[44:45], v[106:107], v[28:29]
	v_fma_f64 v[28:29], -v[46:47], v[120:121], v[28:29]
	ds_read_b128 v[118:121], v176 offset:3712
	v_fma_f64 v[28:29], -v[40:41], v[94:95], v[28:29]
	v_fma_f64 v[28:29], -v[42:43], v[124:125], v[28:29]
	;; [unrolled: 1-line block ×4, first 2 shown]
	s_waitcnt lgkmcnt(0)
	v_fma_f64 v[28:29], -v[32:33], v[118:119], v[28:29]
	ds_read_b128 v[90:93], v176 offset:3728
	ds_read_b128 v[122:125], v176 offset:4224
	v_fma_f64 v[28:29], -v[34:35], v[128:129], v[28:29]
	ds_read_b128 v[126:129], v176 offset:4240
	ds_read2_b64 v[146:149], v176 offset0:49 offset1:50
	v_fma_f64 v[30:31], v[30:31], s[0:1], -v[84:85]
	ds_read2_b64 v[150:153], v176 offset0:177 offset1:178
	ds_read2_b64 v[102:105], v176 offset0:51 offset1:52
	s_waitcnt lgkmcnt(4)
	v_mul_f64 v[28:29], v[122:123], v[28:29]
	s_waitcnt lgkmcnt(2)
	v_fma_f64 v[30:31], -v[62:63], v[146:147], v[30:31]
	v_fma_f64 v[30:31], -v[48:49], v[132:133], v[30:31]
	;; [unrolled: 1-line block ×3, first 2 shown]
	v_mov_b32_e32 v76, 0x988
	v_fma_f64 v[30:31], -v[56:57], v[136:137], v[30:31]
	ds_read2_b64 v[134:137], v76 offset1:1
	s_waitcnt lgkmcnt(2)
	v_fma_f64 v[30:31], -v[58:59], v[150:151], v[30:31]
	v_fma_f64 v[30:31], -v[52:53], v[140:141], v[30:31]
	;; [unrolled: 1-line block ×3, first 2 shown]
	v_mov_b32_e32 v76, 0xb88
	ds_read2_b64 v[130:133], v176 offset0:179 offset1:180
	ds_read2_b64 v[84:87], v76 offset1:1
	v_fma_f64 v[30:31], -v[44:45], v[108:109], v[30:31]
	s_waitcnt lgkmcnt(2)
	v_fma_f64 v[30:31], -v[46:47], v[134:135], v[30:31]
	v_mov_b32_e32 v76, 0xd88
	v_fma_f64 v[30:31], -v[40:41], v[96:97], v[30:31]
	ds_read2_b64 v[94:97], v76 offset1:1
	s_waitcnt lgkmcnt(1)
	v_fma_f64 v[30:31], -v[42:43], v[84:85], v[30:31]
	v_mov_b32_e32 v76, 0xf88
	v_fma_f64 v[30:31], -v[36:37], v[116:117], v[30:31]
	ds_read2_b64 v[106:109], v76 offset1:1
	v_mov_b32_e32 v76, 0x1188
	s_waitcnt lgkmcnt(1)
	v_fma_f64 v[30:31], -v[38:39], v[94:95], v[30:31]
	ds_read2_b64 v[114:117], v76 offset1:1
	v_mov_b32_e32 v76, 0x998
	v_fma_f64 v[30:31], -v[32:33], v[120:121], v[30:31]
	ds_read2_b64 v[118:121], v76 offset1:1
	v_mul_f64 v[76:77], v[60:61], v[110:111]
	v_fma_f64 v[24:25], v[24:25], s[0:1], -v[76:77]
	v_fma_f64 v[24:25], -v[62:63], v[148:149], v[24:25]
	v_fma_f64 v[24:25], -v[48:49], v[98:99], v[24:25]
	;; [unrolled: 1-line block ×4, first 2 shown]
	s_waitcnt lgkmcnt(2)
	v_fma_f64 v[30:31], -v[34:35], v[106:107], v[30:31]
	v_fma_f64 v[24:25], -v[58:59], v[152:153], v[24:25]
	v_fma_f64 v[30:31], -v[28:29], v[124:125], v[30:31]
	v_fma_f64 v[24:25], -v[52:53], v[142:143], v[24:25]
	ds_read_b128 v[76:79], v176 offset:2704
	s_waitcnt lgkmcnt(2)
	v_mul_f64 v[30:31], v[114:115], v[30:31]
	v_fma_f64 v[24:25], -v[54:55], v[88:89], v[24:25]
	global_store_dwordx4 v[172:173], v[28:31], off offset:128
	v_fma_f64 v[24:25], -v[44:45], v[80:81], v[24:25]
	v_fma_f64 v[24:25], -v[46:47], v[136:137], v[24:25]
	ds_read_b128 v[122:125], v176 offset:3216
	ds_read_b128 v[134:137], v176 offset:2720
	s_waitcnt lgkmcnt(2)
	v_fma_f64 v[24:25], -v[40:41], v[76:77], v[24:25]
	v_fma_f64 v[24:25], -v[42:43], v[86:87], v[24:25]
	v_mul_f64 v[72:73], v[60:61], v[112:113]
	s_waitcnt lgkmcnt(1)
	v_fma_f64 v[24:25], -v[36:37], v[122:123], v[24:25]
	v_fma_f64 v[24:25], -v[38:39], v[96:97], v[24:25]
	;; [unrolled: 1-line block ×4, first 2 shown]
	ds_read2_b64 v[106:109], v176 offset0:115 offset1:116
	ds_read2_b64 v[110:113], v176 offset0:243 offset1:244
	v_fma_f64 v[26:27], v[26:27], s[0:1], -v[72:73]
	v_fma_f64 v[26:27], -v[62:63], v[102:103], v[26:27]
	v_fma_f64 v[26:27], -v[48:49], v[100:101], v[26:27]
	s_waitcnt lgkmcnt(1)
	v_fma_f64 v[26:27], -v[50:51], v[106:107], v[26:27]
	v_fma_f64 v[26:27], -v[56:57], v[74:75], v[26:27]
	;; [unrolled: 1-line block ×3, first 2 shown]
	v_mov_b32_e32 v72, 0xb98
	v_fma_f64 v[26:27], -v[52:53], v[144:145], v[26:27]
	ds_read2_b64 v[72:75], v72 offset1:1
	s_waitcnt lgkmcnt(1)
	v_fma_f64 v[26:27], -v[54:55], v[110:111], v[26:27]
	v_fma_f64 v[26:27], -v[44:45], v[82:83], v[26:27]
	;; [unrolled: 1-line block ×3, first 2 shown]
	v_mov_b32_e32 v76, 0xd98
	v_fma_f64 v[26:27], -v[40:41], v[78:79], v[26:27]
	ds_read2_b64 v[76:79], v76 offset1:1
	s_waitcnt lgkmcnt(1)
	v_fma_f64 v[26:27], -v[42:43], v[72:73], v[26:27]
	v_mov_b32_e32 v72, 0xf98
	ds_read2_b64 v[80:83], v72 offset1:1
	ds_read_b128 v[142:145], v176 offset:176
	v_mov_b32_e32 v72, 0x1198
	ds_read_b128 v[88:91], v176 offset:4752
	ds_read_b128 v[94:97], v176 offset:4768
	v_fma_f64 v[26:27], -v[36:37], v[124:125], v[26:27]
	ds_read2_b64 v[122:125], v72 offset1:1
	ds_read_b128 v[146:149], v176 offset:672
	s_waitcnt lgkmcnt(6)
	v_fma_f64 v[26:27], -v[38:39], v[76:77], v[26:27]
	v_fma_f64 v[26:27], -v[32:33], v[92:93], v[26:27]
	;; [unrolled: 1-line block ×3, first 2 shown]
	s_waitcnt lgkmcnt(5)
	v_fma_f64 v[26:27], -v[34:35], v[80:81], v[26:27]
	v_fma_f64 v[24:25], -v[30:31], v[116:117], v[24:25]
	;; [unrolled: 1-line block ×3, first 2 shown]
	s_waitcnt lgkmcnt(3)
	v_mul_f64 v[24:25], v[88:89], v[24:25]
	s_waitcnt lgkmcnt(1)
	v_fma_f64 v[26:27], -v[30:31], v[122:123], v[26:27]
	v_mov_b32_e32 v72, 0x1398
	ds_read2_b64 v[126:129], v72 offset1:1
	v_fma_f64 v[26:27], -v[24:25], v[90:91], v[26:27]
	ds_read_b128 v[88:91], v176 offset:160
	v_mov_b32_e32 v72, 0x9a8
	ds_read2_b64 v[98:101], v176 offset0:117 offset1:118
	ds_read2_b64 v[138:141], v72 offset1:1
	s_waitcnt lgkmcnt(3)
	v_mul_f64 v[26:27], v[126:127], v[26:27]
	s_waitcnt lgkmcnt(2)
	v_mul_f64 v[72:73], v[60:61], v[88:89]
	global_store_dwordx4 v[172:173], v[24:27], off offset:144
	v_fma_f64 v[20:21], v[20:21], s[0:1], -v[72:73]
	ds_read_b128 v[84:87], v176 offset:3232
	ds_read2_b64 v[114:117], v176 offset0:245 offset1:246
	v_fma_f64 v[20:21], -v[62:63], v[104:105], v[20:21]
	ds_read_b128 v[102:105], v176 offset:688
	ds_read_b128 v[150:153], v176 offset:1184
	v_fma_f64 v[20:21], -v[48:49], v[146:147], v[20:21]
	v_fma_f64 v[20:21], -v[50:51], v[108:109], v[20:21]
	ds_read_b128 v[106:109], v176 offset:1200
	ds_read_b128 v[154:157], v176 offset:1696
	s_waitcnt lgkmcnt(2)
	v_fma_f64 v[20:21], -v[56:57], v[150:151], v[20:21]
	v_fma_f64 v[20:21], -v[58:59], v[132:133], v[20:21]
	ds_read_b128 v[130:133], v176 offset:2208
	ds_read_b128 v[158:161], v176 offset:1712
	s_waitcnt lgkmcnt(2)
	v_fma_f64 v[20:21], -v[52:53], v[154:155], v[20:21]
	v_fma_f64 v[20:21], -v[54:55], v[112:113], v[20:21]
	ds_read_b128 v[110:113], v176 offset:2224
	s_waitcnt lgkmcnt(2)
	v_fma_f64 v[20:21], -v[44:45], v[130:131], v[20:21]
	v_fma_f64 v[20:21], -v[46:47], v[120:121], v[20:21]
	;; [unrolled: 1-line block ×4, first 2 shown]
	ds_read_b128 v[74:77], v176 offset:3744
	v_fma_f64 v[20:21], -v[36:37], v[84:85], v[20:21]
	v_fma_f64 v[20:21], -v[38:39], v[78:79], v[20:21]
	ds_read_b128 v[78:81], v176 offset:4256
	ds_read_b128 v[118:121], v176 offset:3760
	s_waitcnt lgkmcnt(2)
	v_fma_f64 v[20:21], -v[32:33], v[74:75], v[20:21]
	v_fma_f64 v[20:21], -v[34:35], v[82:83], v[20:21]
	s_waitcnt lgkmcnt(1)
	v_fma_f64 v[20:21], -v[28:29], v[78:79], v[20:21]
	v_fma_f64 v[20:21], -v[30:31], v[124:125], v[20:21]
	ds_read_b128 v[82:85], v176 offset:4272
	ds_read_b128 v[122:125], v176 offset:5280
	v_fma_f64 v[20:21], -v[24:25], v[94:95], v[20:21]
	ds_read_b128 v[72:75], v176 offset:4848
	ds_read2_b64 v[92:95], v176 offset0:53 offset1:54
	v_mul_f64 v[78:79], v[60:61], v[90:91]
	v_fma_f64 v[20:21], -v[26:27], v[128:129], v[20:21]
	v_fma_f64 v[22:23], v[22:23], s[0:1], -v[78:79]
	ds_read2_b64 v[126:129], v176 offset0:181 offset1:182
	s_waitcnt lgkmcnt(1)
	v_fma_f64 v[22:23], -v[62:63], v[92:93], v[22:23]
	v_fma_f64 v[22:23], -v[48:49], v[148:149], v[22:23]
	;; [unrolled: 1-line block ×4, first 2 shown]
	s_waitcnt lgkmcnt(0)
	v_fma_f64 v[22:23], -v[58:59], v[126:127], v[22:23]
	v_fma_f64 v[22:23], -v[52:53], v[156:157], v[22:23]
	;; [unrolled: 1-line block ×3, first 2 shown]
	v_mov_b32_e32 v78, 0xba8
	ds_read2_b64 v[88:91], v176 offset0:55 offset1:56
	v_fma_f64 v[22:23], -v[44:45], v[132:133], v[22:23]
	ds_read2_b64 v[130:133], v78 offset1:1
	v_fma_f64 v[22:23], -v[46:47], v[138:139], v[22:23]
	v_mov_b32_e32 v78, 0xda8
	ds_read2_b64 v[146:149], v176 offset0:183 offset1:184
	v_fma_f64 v[22:23], -v[40:41], v[136:137], v[22:23]
	ds_read2_b64 v[134:137], v78 offset1:1
	s_waitcnt lgkmcnt(2)
	v_fma_f64 v[22:23], -v[42:43], v[130:131], v[22:23]
	v_fma_f64 v[22:23], -v[36:37], v[86:87], v[22:23]
	v_mov_b32_e32 v78, 0xfa8
	ds_read2_b64 v[150:153], v78 offset1:1
	s_waitcnt lgkmcnt(1)
	v_fma_f64 v[22:23], -v[38:39], v[134:135], v[22:23]
	v_fma_f64 v[22:23], -v[32:33], v[76:77], v[22:23]
	v_mov_b32_e32 v76, 0x11a8
	;; [unrolled: 5-line block ×3, first 2 shown]
	ds_read2_b64 v[154:157], v80 offset1:1
	s_waitcnt lgkmcnt(1)
	v_fma_f64 v[22:23], -v[30:31], v[76:77], v[22:23]
	v_mul_f64 v[76:77], v[60:61], v[142:143]
	v_mov_b32_e32 v80, 0x15a8
	v_fma_f64 v[16:17], v[16:17], s[0:1], -v[76:77]
	ds_read2_b64 v[178:181], v80 offset1:1
	v_fma_f64 v[16:17], -v[62:63], v[94:95], v[16:17]
	ds_read_b128 v[92:95], v176 offset:2736
	v_fma_f64 v[16:17], -v[48:49], v[102:103], v[16:17]
	v_fma_f64 v[22:23], -v[24:25], v[96:97], v[22:23]
	;; [unrolled: 1-line block ×3, first 2 shown]
	v_mul_f64 v[20:21], v[122:123], v[20:21]
	s_waitcnt lgkmcnt(2)
	v_fma_f64 v[22:23], -v[26:27], v[154:155], v[22:23]
	v_fma_f64 v[16:17], -v[56:57], v[106:107], v[16:17]
	;; [unrolled: 1-line block ×4, first 2 shown]
	s_waitcnt lgkmcnt(1)
	v_mul_f64 v[22:23], v[178:179], v[22:23]
	v_fma_f64 v[16:17], -v[52:53], v[158:159], v[16:17]
	global_store_dwordx4 v[172:173], v[20:23], off offset:160
	v_fma_f64 v[16:17], -v[54:55], v[116:117], v[16:17]
	v_fma_f64 v[16:17], -v[44:45], v[110:111], v[16:17]
	ds_read_b128 v[96:99], v176 offset:3248
	ds_read_b128 v[100:103], v176 offset:2752
	v_fma_f64 v[16:17], -v[46:47], v[140:141], v[16:17]
	s_waitcnt lgkmcnt(2)
	v_fma_f64 v[16:17], -v[40:41], v[92:93], v[16:17]
	v_fma_f64 v[16:17], -v[42:43], v[132:133], v[16:17]
	s_waitcnt lgkmcnt(1)
	v_fma_f64 v[16:17], -v[36:37], v[96:97], v[16:17]
	v_fma_f64 v[16:17], -v[38:39], v[136:137], v[16:17]
	;; [unrolled: 1-line block ×4, first 2 shown]
	ds_read_b128 v[114:117], v176 offset:3264
	ds_read_b128 v[122:125], v176 offset:4784
	v_fma_f64 v[16:17], -v[28:29], v[82:83], v[16:17]
	ds_read_b128 v[80:83], v176 offset:4800
	ds_read_b128 v[126:129], v176 offset:5296
	;; [unrolled: 1-line block ×4, first 2 shown]
	ds_read2_b64 v[138:141], v176 offset0:119 offset1:120
	v_mul_f64 v[86:87], v[60:61], v[144:145]
	v_fma_f64 v[18:19], v[18:19], s[0:1], -v[86:87]
	v_fma_f64 v[18:19], -v[62:63], v[88:89], v[18:19]
	ds_read2_b64 v[86:89], v176 offset0:121 offset1:122
	v_fma_f64 v[16:17], -v[30:31], v[78:79], v[16:17]
	ds_read_b128 v[76:79], v176 offset:5360
	v_fma_f64 v[18:19], -v[48:49], v[104:105], v[18:19]
	ds_read2_b64 v[104:107], v176 offset0:247 offset1:248
	s_waitcnt lgkmcnt(3)
	v_fma_f64 v[18:19], -v[50:51], v[138:139], v[18:19]
	v_fma_f64 v[18:19], -v[56:57], v[108:109], v[18:19]
	v_mov_b32_e32 v92, 0x9b8
	ds_read2_b64 v[108:111], v176 offset0:249 offset1:250
	ds_read2_b64 v[142:145], v92 offset1:1
	v_fma_f64 v[18:19], -v[58:59], v[146:147], v[18:19]
	v_mov_b32_e32 v92, 0xbb8
	v_fma_f64 v[16:17], -v[24:25], v[122:123], v[16:17]
	v_fma_f64 v[18:19], -v[52:53], v[160:161], v[18:19]
	ds_read2_b64 v[150:153], v92 offset1:1
	v_fma_f64 v[16:17], -v[26:27], v[156:157], v[16:17]
	s_waitcnt lgkmcnt(3)
	v_fma_f64 v[18:19], -v[54:55], v[104:105], v[18:19]
	v_fma_f64 v[16:17], -v[20:21], v[126:127], v[16:17]
	;; [unrolled: 1-line block ×4, first 2 shown]
	ds_read_b128 v[178:181], v176 offset:704
	s_waitcnt lgkmcnt(2)
	v_fma_f64 v[18:19], -v[46:47], v[142:143], v[18:19]
	v_mov_b32_e32 v92, 0xdb8
	v_fma_f64 v[18:19], -v[40:41], v[94:95], v[18:19]
	ds_read2_b64 v[92:95], v92 offset1:1
	s_waitcnt lgkmcnt(2)
	v_fma_f64 v[18:19], -v[42:43], v[150:151], v[18:19]
	v_mov_b32_e32 v96, 0xfb8
	v_fma_f64 v[18:19], -v[36:37], v[98:99], v[18:19]
	ds_read2_b64 v[96:99], v96 offset1:1
	s_waitcnt lgkmcnt(1)
	v_fma_f64 v[18:19], -v[38:39], v[92:93], v[18:19]
	v_fma_f64 v[18:19], -v[32:33], v[120:121], v[18:19]
	v_mov_b32_e32 v92, 0x11b8
	ds_read2_b64 v[118:121], v92 offset1:1
	s_waitcnt lgkmcnt(1)
	v_fma_f64 v[18:19], -v[34:35], v[96:97], v[18:19]
	v_fma_f64 v[18:19], -v[28:29], v[84:85], v[18:19]
	v_mov_b32_e32 v84, 0x13b8
	;; [unrolled: 5-line block ×3, first 2 shown]
	ds_read2_b64 v[122:125], v84 offset1:1
	s_waitcnt lgkmcnt(1)
	v_fma_f64 v[18:19], -v[26:27], v[154:155], v[18:19]
	v_fma_f64 v[18:19], -v[20:21], v[128:129], v[18:19]
	ds_read_b128 v[126:129], v176 offset:192
	v_mov_b32_e32 v84, 0x17b8
	ds_read2_b64 v[158:161], v84 offset1:1
	v_mul_f64 v[16:17], v[130:131], v[16:17]
	s_waitcnt lgkmcnt(2)
	v_fma_f64 v[18:19], -v[22:23], v[122:123], v[18:19]
	v_fma_f64 v[18:19], -v[16:17], v[132:133], v[18:19]
	ds_read_b128 v[130:133], v176 offset:208
	s_waitcnt lgkmcnt(1)
	v_mul_f64 v[18:19], v[158:159], v[18:19]
	v_mul_f64 v[84:85], v[60:61], v[126:127]
	global_store_dwordx4 v[172:173], v[16:19], off offset:176
	s_waitcnt vmcnt(12)
	v_fma_f64 v[12:13], v[12:13], s[0:1], -v[84:85]
	v_fma_f64 v[12:13], -v[62:63], v[90:91], v[12:13]
	ds_read_b128 v[90:93], v176 offset:720
	ds_read_b128 v[182:185], v176 offset:1216
	v_fma_f64 v[12:13], -v[48:49], v[178:179], v[12:13]
	v_fma_f64 v[12:13], -v[50:51], v[140:141], v[12:13]
	ds_read_b128 v[138:141], v176 offset:1232
	ds_read_b128 v[186:189], v176 offset:1728
	s_waitcnt lgkmcnt(2)
	v_fma_f64 v[12:13], -v[56:57], v[182:183], v[12:13]
	v_fma_f64 v[12:13], -v[58:59], v[148:149], v[12:13]
	ds_read_b128 v[146:149], v176 offset:2240
	ds_read_b128 v[190:193], v176 offset:1744
	s_waitcnt lgkmcnt(2)
	v_fma_f64 v[12:13], -v[52:53], v[186:187], v[12:13]
	v_fma_f64 v[12:13], -v[54:55], v[106:107], v[12:13]
	ds_read_b128 v[104:107], v176 offset:2256
	s_waitcnt lgkmcnt(2)
	v_fma_f64 v[12:13], -v[44:45], v[146:147], v[12:13]
	v_fma_f64 v[12:13], -v[46:47], v[144:145], v[12:13]
	ds_read_b128 v[142:145], v176 offset:3776
	v_fma_f64 v[12:13], -v[40:41], v[100:101], v[12:13]
	v_fma_f64 v[12:13], -v[42:43], v[152:153], v[12:13]
	;; [unrolled: 1-line block ×4, first 2 shown]
	ds_read_b128 v[94:97], v176 offset:4288
	ds_read_b128 v[112:115], v176 offset:3792
	s_waitcnt lgkmcnt(2)
	v_fma_f64 v[12:13], -v[32:33], v[142:143], v[12:13]
	v_fma_f64 v[12:13], -v[34:35], v[98:99], v[12:13]
	ds_read_b128 v[98:101], v176 offset:4304
	s_waitcnt lgkmcnt(2)
	v_fma_f64 v[12:13], -v[28:29], v[94:95], v[12:13]
	v_fma_f64 v[12:13], -v[30:31], v[120:121], v[12:13]
	ds_read_b128 v[118:121], v176 offset:5824
	v_fma_f64 v[12:13], -v[24:25], v[80:81], v[12:13]
	v_fma_f64 v[12:13], -v[26:27], v[156:157], v[12:13]
	;; [unrolled: 1-line block ×4, first 2 shown]
	s_waitcnt lgkmcnt(0)
	v_fma_f64 v[12:13], -v[16:17], v[118:119], v[12:13]
	ds_read_b128 v[122:125], v176 offset:5840
	ds_read_b128 v[150:153], v176 offset:6336
	v_fma_f64 v[12:13], -v[18:19], v[160:161], v[12:13]
	ds_read_b128 v[154:157], v176 offset:6352
	ds_read2_b64 v[158:161], v176 offset0:57 offset1:58
	v_mul_f64 v[80:81], v[60:61], v[128:129]
	v_fma_f64 v[14:15], v[14:15], s[0:1], -v[80:81]
	ds_read2_b64 v[194:197], v176 offset0:185 offset1:186
	v_mov_b32_e32 v80, 0x9c8
	s_waitcnt lgkmcnt(1)
	v_fma_f64 v[14:15], -v[62:63], v[158:159], v[14:15]
	v_fma_f64 v[14:15], -v[48:49], v[180:181], v[14:15]
	;; [unrolled: 1-line block ×4, first 2 shown]
	s_waitcnt lgkmcnt(0)
	v_fma_f64 v[14:15], -v[58:59], v[194:195], v[14:15]
	ds_read2_b64 v[126:129], v176 offset0:59 offset1:60
	ds_read2_b64 v[178:181], v80 offset1:1
	v_fma_f64 v[14:15], -v[52:53], v[188:189], v[14:15]
	v_fma_f64 v[14:15], -v[54:55], v[108:109], v[14:15]
	v_mov_b32_e32 v80, 0xbc8
	ds_read2_b64 v[84:87], v176 offset0:187 offset1:188
	v_fma_f64 v[14:15], -v[44:45], v[148:149], v[14:15]
	ds_read2_b64 v[146:149], v80 offset1:1
	s_waitcnt lgkmcnt(2)
	v_fma_f64 v[14:15], -v[46:47], v[178:179], v[14:15]
	v_mov_b32_e32 v80, 0xdc8
	v_fma_f64 v[14:15], -v[40:41], v[102:103], v[14:15]
	ds_read2_b64 v[182:185], v80 offset1:1
	s_waitcnt lgkmcnt(1)
	v_fma_f64 v[14:15], -v[42:43], v[146:147], v[14:15]
	v_mov_b32_e32 v80, 0xfc8
	;; [unrolled: 5-line block ×6, first 2 shown]
	v_fma_f64 v[14:15], -v[20:21], v[136:137], v[14:15]
	ds_read2_b64 v[134:137], v94 offset1:1
	s_waitcnt lgkmcnt(1)
	v_fma_f64 v[14:15], -v[22:23], v[80:81], v[14:15]
	v_fma_f64 v[14:15], -v[16:17], v[120:121], v[14:15]
	v_mov_b32_e32 v80, 0x19c8
	v_mul_f64 v[12:13], v[150:151], v[12:13]
	ds_read2_b64 v[186:189], v80 offset1:1
	s_waitcnt lgkmcnt(1)
	v_fma_f64 v[14:15], -v[18:19], v[134:135], v[14:15]
	v_mov_b32_e32 v80, 0x9d8
	v_fma_f64 v[14:15], -v[12:13], v[152:153], v[14:15]
	ds_read2_b64 v[150:153], v80 offset1:1
	v_mul_f64 v[80:81], v[60:61], v[130:131]
	v_fma_f64 v[8:9], v[8:9], s[0:1], -v[80:81]
	v_fma_f64 v[8:9], -v[62:63], v[160:161], v[8:9]
	v_fma_f64 v[8:9], -v[48:49], v[90:91], v[8:9]
	;; [unrolled: 1-line block ×5, first 2 shown]
	ds_read_b128 v[88:91], v176 offset:2768
	s_waitcnt lgkmcnt(2)
	v_mul_f64 v[14:15], v[186:187], v[14:15]
	v_fma_f64 v[8:9], -v[52:53], v[190:191], v[8:9]
	global_store_dwordx4 v[172:173], v[12:15], off offset:192
	v_fma_f64 v[8:9], -v[54:55], v[110:111], v[8:9]
	v_fma_f64 v[8:9], -v[44:45], v[104:105], v[8:9]
	ds_read_b128 v[102:105], v176 offset:3280
	ds_read_b128 v[108:111], v176 offset:2784
	v_fma_f64 v[8:9], -v[46:47], v[180:181], v[8:9]
	s_waitcnt lgkmcnt(2)
	v_fma_f64 v[8:9], -v[40:41], v[88:89], v[8:9]
	v_fma_f64 v[8:9], -v[42:43], v[148:149], v[8:9]
	s_waitcnt lgkmcnt(1)
	v_fma_f64 v[8:9], -v[36:37], v[102:103], v[8:9]
	v_fma_f64 v[8:9], -v[38:39], v[184:185], v[8:9]
	v_fma_f64 v[8:9], -v[32:33], v[112:113], v[8:9]
	ds_read_b128 v[146:149], v176 offset:3296
	v_fma_f64 v[8:9], -v[34:35], v[118:119], v[8:9]
	ds_read_b128 v[116:119], v176 offset:4816
	v_fma_f64 v[8:9], -v[28:29], v[98:99], v[8:9]
	v_fma_f64 v[8:9], -v[30:31], v[144:145], v[8:9]
	ds_read_b128 v[142:145], v176 offset:5328
	ds_read_b128 v[158:161], v176 offset:4832
	ds_read2_b64 v[178:181], v176 offset0:251 offset1:252
	s_waitcnt lgkmcnt(3)
	v_fma_f64 v[8:9], -v[24:25], v[116:117], v[8:9]
	v_fma_f64 v[8:9], -v[26:27], v[96:97], v[8:9]
	s_waitcnt lgkmcnt(2)
	v_fma_f64 v[8:9], -v[20:21], v[142:143], v[8:9]
	v_fma_f64 v[8:9], -v[22:23], v[82:83], v[8:9]
	ds_read_b128 v[80:83], v176 offset:6864
	v_fma_f64 v[8:9], -v[16:17], v[122:123], v[8:9]
	v_fma_f64 v[8:9], -v[18:19], v[136:137], v[8:9]
	;; [unrolled: 1-line block ×4, first 2 shown]
	s_waitcnt lgkmcnt(0)
	v_mul_f64 v[8:9], v[80:81], v[8:9]
	v_mul_f64 v[80:81], v[60:61], v[132:133]
	ds_read2_b64 v[130:133], v176 offset0:123 offset1:124
	v_fma_f64 v[10:11], v[10:11], s[0:1], -v[80:81]
	v_fma_f64 v[10:11], -v[62:63], v[126:127], v[10:11]
	v_fma_f64 v[10:11], -v[48:49], v[92:93], v[10:11]
	v_mov_b32_e32 v80, 0xbd8
	s_waitcnt lgkmcnt(0)
	v_fma_f64 v[10:11], -v[50:51], v[130:131], v[10:11]
	v_fma_f64 v[10:11], -v[56:57], v[140:141], v[10:11]
	;; [unrolled: 1-line block ×4, first 2 shown]
	ds_read2_b64 v[182:185], v80 offset1:1
	ds_read_b128 v[190:193], v176 offset:240
	v_fma_f64 v[10:11], -v[54:55], v[178:179], v[10:11]
	v_fma_f64 v[10:11], -v[44:45], v[106:107], v[10:11]
	;; [unrolled: 1-line block ×3, first 2 shown]
	v_mov_b32_e32 v80, 0xdd8
	v_fma_f64 v[10:11], -v[40:41], v[90:91], v[10:11]
	ds_read2_b64 v[88:91], v80 offset1:1
	ds_read_b128 v[194:197], v176 offset:736
	s_waitcnt lgkmcnt(3)
	v_fma_f64 v[10:11], -v[42:43], v[182:183], v[10:11]
	v_mov_b32_e32 v80, 0xfd8
	ds_read2_b64 v[134:137], v176 offset0:125 offset1:126
	v_fma_f64 v[10:11], -v[36:37], v[104:105], v[10:11]
	ds_read2_b64 v[102:105], v80 offset1:1
	s_waitcnt lgkmcnt(3)
	v_fma_f64 v[10:11], -v[38:39], v[88:89], v[10:11]
	v_mov_b32_e32 v80, 0x11d8
	ds_read2_b64 v[138:141], v176 offset0:253 offset1:254
	v_fma_f64 v[10:11], -v[32:33], v[114:115], v[10:11]
	ds_read2_b64 v[112:115], v80 offset1:1
	s_waitcnt lgkmcnt(2)
	v_fma_f64 v[10:11], -v[34:35], v[102:103], v[10:11]
	v_mov_b32_e32 v80, 0x13d8
	ds_read_b128 v[94:97], v176 offset:5344
	v_fma_f64 v[10:11], -v[28:29], v[100:101], v[10:11]
	ds_read2_b64 v[98:101], v80 offset1:1
	s_waitcnt lgkmcnt(2)
	v_fma_f64 v[10:11], -v[30:31], v[112:113], v[10:11]
	v_mov_b32_e32 v80, 0x15d8
	ds_read_b128 v[120:123], v176 offset:6880
	v_fma_f64 v[10:11], -v[24:25], v[118:119], v[10:11]
	ds_read2_b64 v[116:119], v80 offset1:1
	s_waitcnt lgkmcnt(2)
	v_fma_f64 v[10:11], -v[26:27], v[98:99], v[10:11]
	v_mov_b32_e32 v80, 0x17d8
	v_fma_f64 v[10:11], -v[20:21], v[144:145], v[10:11]
	ds_read2_b64 v[142:145], v80 offset1:1
	v_mov_b32_e32 v80, 0x19d8
	ds_read2_b64 v[186:189], v80 offset1:1
	s_waitcnt lgkmcnt(2)
	v_fma_f64 v[10:11], -v[22:23], v[116:117], v[10:11]
	v_fma_f64 v[10:11], -v[16:17], v[124:125], v[10:11]
	s_waitcnt lgkmcnt(1)
	v_fma_f64 v[10:11], -v[18:19], v[142:143], v[10:11]
	v_fma_f64 v[10:11], -v[12:13], v[156:157], v[10:11]
	v_mov_b32_e32 v84, 0x9e8
	ds_read2_b64 v[154:157], v84 offset1:1
	s_waitcnt lgkmcnt(1)
	v_fma_f64 v[10:11], -v[14:15], v[186:187], v[10:11]
	v_mov_b32_e32 v80, 0x1bd8
	ds_read2_b64 v[124:127], v80 offset1:1
	v_fma_f64 v[10:11], -v[8:9], v[82:83], v[10:11]
	ds_read_b128 v[80:83], v176 offset:224
	s_waitcnt lgkmcnt(1)
	v_mul_f64 v[10:11], v[124:125], v[10:11]
	global_store_dwordx4 v[172:173], v[8:11], off offset:208
	s_waitcnt lgkmcnt(0)
	v_mul_f64 v[80:81], v[60:61], v[80:81]
	v_fma_f64 v[4:5], v[4:5], s[0:1], -v[80:81]
	v_fma_f64 v[4:5], -v[62:63], v[128:129], v[4:5]
	ds_read_b128 v[128:131], v176 offset:752
	ds_read_b128 v[198:201], v176 offset:1248
	v_fma_f64 v[4:5], -v[48:49], v[194:195], v[4:5]
	ds_read_b128 v[202:205], v176 offset:1264
	ds_read_b128 v[206:209], v176 offset:1760
	v_fma_f64 v[4:5], -v[50:51], v[132:133], v[4:5]
	v_mul_f64 v[80:81], v[60:61], v[82:83]
	s_waitcnt lgkmcnt(2)
	v_fma_f64 v[4:5], -v[56:57], v[198:199], v[4:5]
	v_fma_f64 v[4:5], -v[58:59], v[86:87], v[4:5]
	ds_read_b128 v[84:87], v176 offset:2272
	ds_read_b128 v[210:213], v176 offset:1776
	s_waitcnt lgkmcnt(2)
	v_fma_f64 v[4:5], -v[52:53], v[206:207], v[4:5]
	v_fma_f64 v[4:5], -v[54:55], v[180:181], v[4:5]
	ds_read_b128 v[178:181], v176 offset:2288
	s_waitcnt lgkmcnt(2)
	v_fma_f64 v[4:5], -v[44:45], v[84:85], v[4:5]
	v_fma_f64 v[4:5], -v[46:47], v[152:153], v[4:5]
	;; [unrolled: 1-line block ×3, first 2 shown]
	ds_read_b128 v[106:109], v176 offset:3808
	v_fma_f64 v[4:5], -v[42:43], v[184:185], v[4:5]
	v_fma_f64 v[4:5], -v[36:37], v[146:147], v[4:5]
	;; [unrolled: 1-line block ×3, first 2 shown]
	ds_read_b128 v[88:91], v176 offset:4320
	ds_read_b128 v[150:153], v176 offset:3824
	s_waitcnt lgkmcnt(2)
	v_fma_f64 v[4:5], -v[32:33], v[106:107], v[4:5]
	v_fma_f64 v[6:7], v[6:7], s[0:1], -v[80:81]
	v_fma_f64 v[4:5], -v[34:35], v[104:105], v[4:5]
	v_fma_f64 v[6:7], -v[62:63], v[164:165], v[6:7]
	s_waitcnt lgkmcnt(1)
	v_fma_f64 v[4:5], -v[28:29], v[88:89], v[4:5]
	v_fma_f64 v[6:7], -v[48:49], v[196:197], v[6:7]
	v_fma_f64 v[4:5], -v[30:31], v[114:115], v[4:5]
	v_fma_f64 v[6:7], -v[50:51], v[134:135], v[6:7]
	v_fma_f64 v[4:5], -v[24:25], v[158:159], v[4:5]
	v_fma_f64 v[6:7], -v[56:57], v[200:201], v[6:7]
	v_fma_f64 v[4:5], -v[26:27], v[100:101], v[4:5]
	v_fma_f64 v[6:7], -v[58:59], v[168:169], v[6:7]
	v_mov_b32_e32 v80, 0xbe8
	ds_read_b128 v[102:105], v176 offset:4336
	ds_read_b128 v[98:101], v176 offset:5856
	v_fma_f64 v[4:5], -v[20:21], v[94:95], v[4:5]
	ds_read_b128 v[92:95], v176 offset:6368
	ds_read_b128 v[112:115], v176 offset:5872
	v_fma_f64 v[6:7], -v[52:53], v[208:209], v[6:7]
	ds_read2_b64 v[80:83], v80 offset1:1
	v_fma_f64 v[6:7], -v[54:55], v[138:139], v[6:7]
	v_fma_f64 v[6:7], -v[44:45], v[86:87], v[6:7]
	;; [unrolled: 1-line block ×3, first 2 shown]
	v_mov_b32_e32 v84, 0xde8
	ds_read2_b64 v[84:87], v84 offset1:1
	v_fma_f64 v[4:5], -v[22:23], v[118:119], v[4:5]
	v_fma_f64 v[6:7], -v[40:41], v[110:111], v[6:7]
	s_waitcnt lgkmcnt(4)
	v_fma_f64 v[4:5], -v[16:17], v[98:99], v[4:5]
	s_waitcnt lgkmcnt(1)
	v_fma_f64 v[6:7], -v[42:43], v[80:81], v[6:7]
	v_mov_b32_e32 v80, 0xfe8
	v_fma_f64 v[4:5], -v[18:19], v[144:145], v[4:5]
	ds_read_b128 v[116:119], v176 offset:6384
	ds_read2_b64 v[132:135], v80 offset1:1
	v_fma_f64 v[4:5], -v[12:13], v[92:93], v[4:5]
	v_fma_f64 v[4:5], -v[14:15], v[188:189], v[4:5]
	;; [unrolled: 1-line block ×4, first 2 shown]
	s_waitcnt lgkmcnt(2)
	v_fma_f64 v[6:7], -v[38:39], v[84:85], v[6:7]
	v_mov_b32_e32 v80, 0x11e8
	v_fma_f64 v[4:5], -v[10:11], v[126:127], v[4:5]
	ds_read_b128 v[124:127], v176 offset:6896
	v_fma_f64 v[6:7], -v[32:33], v[108:109], v[6:7]
	ds_read2_b64 v[106:109], v80 offset1:1
	s_waitcnt lgkmcnt(2)
	v_fma_f64 v[6:7], -v[34:35], v[132:133], v[6:7]
	v_mov_b32_e32 v80, 0x13e8
	ds_read_b128 v[142:145], v176 offset:7392
	v_fma_f64 v[6:7], -v[28:29], v[90:91], v[6:7]
	ds_read2_b64 v[88:91], v80 offset1:1
	s_waitcnt lgkmcnt(2)
	v_fma_f64 v[6:7], -v[30:31], v[106:107], v[6:7]
	v_mov_b32_e32 v80, 0x15e8
	v_fma_f64 v[6:7], -v[24:25], v[160:161], v[6:7]
	ds_read2_b64 v[146:149], v80 offset1:1
	s_waitcnt lgkmcnt(1)
	v_fma_f64 v[6:7], -v[26:27], v[88:89], v[6:7]
	v_mov_b32_e32 v80, 0x17e8
	v_fma_f64 v[6:7], -v[20:21], v[96:97], v[6:7]
	ds_read2_b64 v[96:99], v80 offset1:1
	s_waitcnt lgkmcnt(1)
	v_fma_f64 v[6:7], -v[22:23], v[146:147], v[6:7]
	v_fma_f64 v[6:7], -v[16:17], v[100:101], v[6:7]
	v_mov_b32_e32 v80, 0x19e8
	ds_read2_b64 v[158:161], v80 offset1:1
	s_waitcnt lgkmcnt(1)
	v_fma_f64 v[6:7], -v[18:19], v[96:97], v[6:7]
	v_mov_b32_e32 v80, 0x1be8
	v_fma_f64 v[6:7], -v[12:13], v[94:95], v[6:7]
	ds_read2_b64 v[92:95], v80 offset1:1
	v_mov_b32_e32 v80, 0x1de8
	ds_read2_b64 v[162:165], v80 offset1:1
	v_mul_f64 v[80:81], v[60:61], v[190:191]
	v_fma_f64 v[0:1], v[0:1], s[0:1], -v[80:81]
	v_fma_f64 v[0:1], -v[62:63], v[166:167], v[0:1]
	v_fma_f64 v[0:1], -v[48:49], v[128:129], v[0:1]
	;; [unrolled: 1-line block ×22, first 2 shown]
	ds_read2_b64 v[88:91], v176 offset0:63 offset1:127
	v_fma_f64 v[0:1], -v[18:19], v[98:99], v[0:1]
	v_fma_f64 v[0:1], -v[12:13], v[116:117], v[0:1]
	s_waitcnt lgkmcnt(3)
	v_fma_f64 v[6:7], -v[14:15], v[158:159], v[6:7]
	v_fma_f64 v[0:1], -v[14:15], v[160:161], v[0:1]
	v_mul_f64 v[60:61], v[60:61], v[192:193]
	v_fma_f64 v[6:7], -v[8:9], v[122:123], v[6:7]
	v_fma_f64 v[0:1], -v[8:9], v[124:125], v[0:1]
	v_fma_f64 v[2:3], v[2:3], s[0:1], -v[60:61]
	s_waitcnt lgkmcnt(2)
	v_fma_f64 v[6:7], -v[10:11], v[92:93], v[6:7]
	v_fma_f64 v[0:1], -v[10:11], v[94:95], v[0:1]
	ds_read2_b64 v[92:95], v176 offset0:191 offset1:255
	s_waitcnt lgkmcnt(1)
	v_fma_f64 v[2:3], -v[62:63], v[88:89], v[2:3]
	v_fma_f64 v[2:3], -v[48:49], v[130:131], v[2:3]
	;; [unrolled: 1-line block ×4, first 2 shown]
	v_add_u32_e64 v56, s8, 0
	ds_read2st64_b64 v[48:51], v56 offset0:4 offset1:5
	s_waitcnt lgkmcnt(1)
	v_fma_f64 v[2:3], -v[58:59], v[92:93], v[2:3]
	v_fma_f64 v[2:3], -v[52:53], v[212:213], v[2:3]
	;; [unrolled: 1-line block ×3, first 2 shown]
	ds_read2st64_b64 v[52:55], v56 offset0:6 offset1:7
	v_fma_f64 v[2:3], -v[44:45], v[180:181], v[2:3]
	s_waitcnt lgkmcnt(1)
	v_fma_f64 v[2:3], -v[46:47], v[48:49], v[2:3]
	v_fma_f64 v[2:3], -v[40:41], v[66:67], v[2:3]
	;; [unrolled: 1-line block ×4, first 2 shown]
	s_waitcnt lgkmcnt(0)
	v_fma_f64 v[2:3], -v[38:39], v[52:53], v[2:3]
	ds_read2st64_b64 v[36:39], v56 offset0:8 offset1:9
	v_fma_f64 v[2:3], -v[32:33], v[152:153], v[2:3]
	v_fma_f64 v[2:3], -v[34:35], v[54:55], v[2:3]
	ds_read2st64_b64 v[32:35], v56 offset0:10 offset1:11
	v_fma_f64 v[2:3], -v[28:29], v[104:105], v[2:3]
	s_waitcnt lgkmcnt(1)
	v_fma_f64 v[2:3], -v[30:31], v[36:37], v[2:3]
	v_fma_f64 v[2:3], -v[24:25], v[74:75], v[2:3]
	;; [unrolled: 1-line block ×4, first 2 shown]
	s_waitcnt lgkmcnt(0)
	v_fma_f64 v[2:3], -v[22:23], v[32:33], v[2:3]
	ds_read2st64_b64 v[20:23], v56 offset0:12 offset1:13
	ds_read_b128 v[80:83], v176 offset:7408
	ds_read_b128 v[84:87], v176 offset:7920
	v_fma_f64 v[2:3], -v[16:17], v[114:115], v[2:3]
	v_fma_f64 v[2:3], -v[18:19], v[34:35], v[2:3]
	;; [unrolled: 1-line block ×3, first 2 shown]
	ds_read2st64_b64 v[16:19], v56 offset0:14 offset1:15
	v_mul_f64 v[4:5], v[142:143], v[4:5]
	s_waitcnt lgkmcnt(3)
	v_fma_f64 v[2:3], -v[14:15], v[20:21], v[2:3]
	v_fma_f64 v[6:7], -v[4:5], v[144:145], v[6:7]
	;; [unrolled: 1-line block ×3, first 2 shown]
	v_mul_f64 v[6:7], v[162:163], v[6:7]
	s_waitcnt lgkmcnt(2)
	v_fma_f64 v[0:1], -v[4:5], v[80:81], v[0:1]
	v_fma_f64 v[2:3], -v[10:11], v[22:23], v[2:3]
	;; [unrolled: 1-line block ×4, first 2 shown]
	s_waitcnt lgkmcnt(1)
	v_mul_f64 v[0:1], v[84:85], v[0:1]
	s_waitcnt lgkmcnt(0)
	v_fma_f64 v[2:3], -v[6:7], v[16:17], v[2:3]
	v_fma_f64 v[2:3], -v[0:1], v[86:87], v[2:3]
	v_mul_f64 v[2:3], v[18:19], v[2:3]
	s_mov_b32 s8, 32
	global_store_dwordx4 v[172:173], v[4:7], off offset:224
	global_store_dwordx4 v[172:173], v[0:3], off offset:240
.LBB105_41:
	s_cmp_lt_i32 s8, s16
	s_cbranch_scc0 .LBB105_58
; %bb.42:
	s_or_b32 s9, s8, 27
	s_cmp_ge_u32 s9, s16
	s_cbranch_scc1 .LBB105_47
; %bb.43:
	s_lshl_b32 s12, s8, 3
	v_add_co_u32_e32 v68, vcc, s12, v172
	v_addc_co_u32_e32 v69, vcc, 0, v173, vcc
	global_load_dwordx4 v[0:3], v[68:69], off
	global_load_dwordx4 v[4:7], v[68:69], off offset:16
	global_load_dwordx4 v[8:11], v[68:69], off offset:32
	;; [unrolled: 1-line block ×13, first 2 shown]
	s_mov_b32 s13, 0
	s_andn2_b64 vcc, exec, s[6:7]
	s_waitcnt vmcnt(13)
	v_mul_f64 v[0:1], v[0:1], s[0:1]
	v_mul_f64 v[2:3], v[2:3], s[0:1]
	s_waitcnt vmcnt(12)
	v_mul_f64 v[4:5], v[4:5], s[0:1]
	v_mul_f64 v[30:31], v[6:7], s[0:1]
	;; [unrolled: 3-line block ×14, first 2 shown]
	s_cbranch_vccnz .LBB105_46
; %bb.44:
	v_pk_mov_b32 v[6:7], v[172:173], v[172:173] op_sel:[0,1]
.LBB105_45:                             ; =>This Inner Loop Header: Depth=1
	global_load_dwordx2 v[28:29], v[6:7], off
	v_mov_b32_e32 v42, s12
	ds_read_b128 v[8:11], v42
	ds_read_b128 v[12:15], v42 offset:16
	ds_read_b128 v[16:19], v42 offset:32
	;; [unrolled: 1-line block ×13, first 2 shown]
	s_add_i32 s13, s13, 1
	s_addk_i32 s12, 0x100
	v_add_co_u32_e32 v6, vcc, 8, v6
	v_addc_co_u32_e32 v7, vcc, 0, v7, vcc
	s_cmp_lt_u32 s13, s8
	s_waitcnt vmcnt(0) lgkmcnt(13)
	v_fma_f64 v[0:1], -v[28:29], v[8:9], v[0:1]
	v_fma_f64 v[2:3], -v[28:29], v[10:11], v[2:3]
	s_waitcnt lgkmcnt(12)
	v_fma_f64 v[4:5], -v[28:29], v[12:13], v[4:5]
	v_fma_f64 v[30:31], -v[28:29], v[14:15], v[30:31]
	s_waitcnt lgkmcnt(11)
	;; [unrolled: 3-line block ×13, first 2 shown]
	v_fma_f64 v[72:73], -v[28:29], v[116:117], v[72:73]
	v_fma_f64 v[70:71], -v[28:29], v[118:119], v[70:71]
	s_cbranch_scc1 .LBB105_45
.LBB105_46:
	s_mul_i32 s7, s8, 0x108
	v_mov_b32_e32 v84, s7
	ds_read_b128 v[16:19], v84
	ds_read_b128 v[26:29], v84 offset:16
	ds_read2_b64 v[20:23], v84 offset0:33 offset1:34
	ds_read_b128 v[12:15], v84 offset:32
	ds_read_b128 v[8:11], v84 offset:48
	s_waitcnt lgkmcnt(4)
	v_mul_f64 v[0:1], v[16:17], v[0:1]
	v_fma_f64 v[2:3], -v[0:1], v[18:19], v[2:3]
	s_lshl_b32 s7, s8, 5
	s_waitcnt lgkmcnt(2)
	v_mul_f64 v[2:3], v[20:21], v[2:3]
	v_fma_f64 v[4:5], -v[0:1], v[26:27], v[4:5]
	s_add_i32 s7, s8, s7
	ds_read_b128 v[16:19], v84 offset:64
	v_fma_f64 v[42:43], -v[2:3], v[22:23], v[4:5]
	ds_read_b128 v[4:7], v84 offset:528
	s_lshl_b32 s7, s7, 3
	global_store_dwordx4 v[68:69], v[0:3], off
	v_mov_b32_e32 v88, s7
	ds_read2_b64 v[24:27], v88 offset0:35 offset1:36
	ds_read2_b64 v[20:23], v84 offset0:99 offset1:100
	s_waitcnt lgkmcnt(2)
	v_mul_f64 v[4:5], v[4:5], v[42:43]
	v_fma_f64 v[42:43], -v[0:1], v[28:29], v[30:31]
	v_fma_f64 v[12:13], -v[0:1], v[12:13], v[38:39]
	s_waitcnt lgkmcnt(1)
	v_fma_f64 v[24:25], -v[2:3], v[24:25], v[42:43]
	v_fma_f64 v[6:7], -v[4:5], v[6:7], v[24:25]
	s_waitcnt lgkmcnt(0)
	v_mul_f64 v[6:7], v[20:21], v[6:7]
	global_store_dwordx4 v[68:69], v[4:7], off offset:16
	ds_read_b128 v[28:31], v88 offset:208
	ds_read_b128 v[90:93], v88 offset:544
	v_fma_f64 v[12:13], -v[2:3], v[26:27], v[12:13]
	ds_read2_b64 v[24:27], v88 offset0:57 offset1:58
	ds_read_b128 v[94:97], v84 offset:1056
	ds_read2_b64 v[98:101], v84 offset0:165 offset1:166
	ds_read2_b64 v[102:105], v88 offset0:37 offset1:38
	v_fma_f64 v[14:15], -v[0:1], v[14:15], v[36:37]
	ds_read2_b64 v[36:39], v88 offset0:101 offset1:102
	ds_read2_b64 v[106:109], v88 offset0:39 offset1:40
	s_waitcnt lgkmcnt(6)
	v_fma_f64 v[12:13], -v[4:5], v[90:91], v[12:13]
	v_fma_f64 v[12:13], -v[6:7], v[22:23], v[12:13]
	s_waitcnt lgkmcnt(2)
	v_fma_f64 v[14:15], -v[2:3], v[102:103], v[14:15]
	v_fma_f64 v[14:15], -v[4:5], v[92:93], v[14:15]
	v_mul_f64 v[12:13], v[94:95], v[12:13]
	s_waitcnt lgkmcnt(1)
	v_fma_f64 v[14:15], -v[6:7], v[36:37], v[14:15]
	v_fma_f64 v[14:15], -v[12:13], v[96:97], v[14:15]
	ds_read_b128 v[20:23], v88 offset:720
	ds_read_b128 v[90:93], v88 offset:560
	v_mul_f64 v[14:15], v[98:99], v[14:15]
	global_store_dwordx4 v[68:69], v[12:15], off offset:32
	v_fma_f64 v[8:9], -v[0:1], v[8:9], v[34:35]
	ds_read_b128 v[94:97], v88 offset:576
	ds_read_b128 v[34:37], v88 offset:1072
	v_fma_f64 v[8:9], -v[2:3], v[104:105], v[8:9]
	s_waitcnt lgkmcnt(2)
	v_fma_f64 v[8:9], -v[4:5], v[90:91], v[8:9]
	v_fma_f64 v[8:9], -v[6:7], v[38:39], v[8:9]
	ds_read_b128 v[110:113], v88 offset:1088
	s_waitcnt lgkmcnt(1)
	v_fma_f64 v[8:9], -v[12:13], v[34:35], v[8:9]
	v_fma_f64 v[8:9], -v[14:15], v[100:101], v[8:9]
	ds_read2_b64 v[98:101], v88 offset0:103 offset1:104
	v_fma_f64 v[10:11], -v[0:1], v[10:11], v[32:33]
	v_fma_f64 v[10:11], -v[2:3], v[106:107], v[10:11]
	ds_read2_b64 v[102:105], v84 offset0:198 offset1:231
	v_fma_f64 v[10:11], -v[4:5], v[92:93], v[10:11]
	ds_read2_b64 v[90:93], v88 offset0:105 offset1:106
	ds_read2_b64 v[114:117], v88 offset0:167 offset1:168
	v_fma_f64 v[16:17], -v[0:1], v[16:17], v[40:41]
	ds_read2_b64 v[118:121], v88 offset0:199 offset1:200
	v_fma_f64 v[16:17], -v[2:3], v[108:109], v[16:17]
	;; [unrolled: 2-line block ×3, first 2 shown]
	ds_read_b64 v[94:95], v84 offset:2112
	ds_read2_b64 v[84:87], v88 offset0:41 offset1:42
	s_waitcnt lgkmcnt(7)
	v_fma_f64 v[10:11], -v[6:7], v[98:99], v[10:11]
	v_fma_f64 v[10:11], -v[12:13], v[36:37], v[10:11]
	s_waitcnt lgkmcnt(6)
	v_mul_f64 v[8:9], v[102:103], v[8:9]
	s_waitcnt lgkmcnt(4)
	v_fma_f64 v[10:11], -v[14:15], v[114:115], v[10:11]
	s_waitcnt lgkmcnt(3)
	v_fma_f64 v[10:11], -v[8:9], v[118:119], v[10:11]
	v_fma_f64 v[18:19], -v[0:1], v[18:19], v[82:83]
	ds_read_b128 v[32:35], v88 offset:1232
	v_mul_f64 v[10:11], v[104:105], v[10:11]
	v_fma_f64 v[16:17], -v[6:7], v[100:101], v[16:17]
	ds_read_b128 v[98:101], v88 offset:1856
	ds_read2_b64 v[40:43], v88 offset0:217 offset1:218
	ds_read2_b64 v[102:105], v88 offset0:43 offset1:44
	s_waitcnt lgkmcnt(4)
	v_fma_f64 v[18:19], -v[2:3], v[84:85], v[18:19]
	ds_read2_b64 v[82:85], v88 offset0:169 offset1:170
	v_fma_f64 v[16:17], -v[12:13], v[110:111], v[16:17]
	v_fma_f64 v[18:19], -v[4:5], v[96:97], v[18:19]
	;; [unrolled: 1-line block ×5, first 2 shown]
	s_or_b32 s12, s8, 9
	v_fma_f64 v[18:19], -v[12:13], v[112:113], v[18:19]
	s_add_i32 s13, s7, 0x848
	global_store_dwordx4 v[68:69], v[8:11], off offset:48
	s_waitcnt lgkmcnt(3)
	v_fma_f64 v[16:17], -v[10:11], v[98:99], v[16:17]
	s_waitcnt lgkmcnt(0)
	v_fma_f64 v[18:19], -v[14:15], v[82:83], v[18:19]
	v_mov_b32_e32 v82, s13
	s_mul_i32 s13, s12, 0x108
	ds_read2_b64 v[36:39], v88 offset0:185 offset1:186
	v_mul_f64 v[16:17], v[94:95], v[16:17]
	ds_read2_b64 v[94:97], v88 offset0:171 offset1:172
	v_mov_b32_e32 v83, s13
	ds_read2_b64 v[110:113], v82 offset1:1
	ds_read2_b64 v[114:117], v83 offset1:1
	ds_read2_b64 v[118:121], v88 offset0:203 offset1:204
	v_fma_f64 v[18:19], -v[8:9], v[106:107], v[18:19]
	v_fma_f64 v[18:19], -v[10:11], v[100:101], v[18:19]
	s_waitcnt lgkmcnt(2)
	v_fma_f64 v[18:19], -v[16:17], v[110:111], v[18:19]
	s_waitcnt lgkmcnt(1)
	v_mul_f64 v[18:19], v[114:115], v[18:19]
	ds_read_b128 v[98:101], v88 offset:80
	global_store_dwordx4 v[68:69], v[16:19], off offset:64
	ds_read_b128 v[122:125], v88 offset:96
	ds_read_b128 v[126:129], v88 offset:592
	ds_read_b128 v[130:133], v88 offset:608
	ds_read_b128 v[134:137], v88 offset:1104
	s_or_b32 s13, s8, 10
	s_waitcnt lgkmcnt(4)
	v_fma_f64 v[44:45], -v[0:1], v[98:99], v[44:45]
	v_fma_f64 v[44:45], -v[2:3], v[86:87], v[44:45]
	s_waitcnt lgkmcnt(2)
	v_fma_f64 v[44:45], -v[4:5], v[126:127], v[44:45]
	v_fma_f64 v[44:45], -v[6:7], v[92:93], v[44:45]
	ds_read_b128 v[90:93], v88 offset:1120
	ds_read_b128 v[138:141], v88 offset:1872
	s_waitcnt lgkmcnt(2)
	v_fma_f64 v[44:45], -v[12:13], v[134:135], v[44:45]
	v_fma_f64 v[44:45], -v[14:15], v[84:85], v[44:45]
	;; [unrolled: 1-line block ×3, first 2 shown]
	s_mul_i32 s14, s13, 0x108
	s_waitcnt lgkmcnt(0)
	v_fma_f64 v[44:45], -v[10:11], v[138:139], v[44:45]
	v_fma_f64 v[44:45], -v[16:17], v[112:113], v[44:45]
	v_mov_b32_e32 v82, s14
	ds_read_b128 v[106:109], v82
	v_fma_f64 v[44:45], -v[18:19], v[116:117], v[44:45]
	ds_read2_b64 v[114:117], v88 offset0:107 offset1:108
	v_fma_f64 v[46:47], -v[0:1], v[100:101], v[46:47]
	s_lshl_b32 s12, s12, 5
	v_fma_f64 v[46:47], -v[2:3], v[102:103], v[46:47]
	s_add_i32 s12, s8, s12
	s_add_i32 s14, s7, 0x858
	v_fma_f64 v[46:47], -v[4:5], v[128:129], v[46:47]
	s_lshl_b32 s12, s12, 3
	v_mov_b32_e32 v82, s14
	s_waitcnt lgkmcnt(0)
	v_fma_f64 v[46:47], -v[6:7], v[114:115], v[46:47]
	ds_read2_b64 v[110:113], v82 offset1:1
	ds_read2_b64 v[98:101], v88 offset0:109 offset1:110
	s_or_b32 s14, s8, 11
	v_fma_f64 v[46:47], -v[12:13], v[136:137], v[46:47]
	v_mov_b32_e32 v89, s12
	v_fma_f64 v[48:49], -v[0:1], v[122:123], v[48:49]
	ds_read_b128 v[84:87], v88 offset:1888
	ds_read2_b64 v[126:129], v89 offset0:11 offset1:12
	v_fma_f64 v[46:47], -v[14:15], v[94:95], v[46:47]
	s_lshl_b32 s12, s13, 5
	s_mul_i32 s13, s14, 0x108
	v_fma_f64 v[48:49], -v[2:3], v[104:105], v[48:49]
	v_fma_f64 v[46:47], -v[8:9], v[118:119], v[46:47]
	v_mov_b32_e32 v82, s13
	v_fma_f64 v[48:49], -v[4:5], v[130:131], v[48:49]
	v_fma_f64 v[46:47], -v[10:11], v[140:141], v[46:47]
	ds_read2_b64 v[138:141], v82 offset1:1
	v_fma_f64 v[48:49], -v[6:7], v[116:117], v[48:49]
	s_add_i32 s12, s8, s12
	v_fma_f64 v[48:49], -v[12:13], v[90:91], v[48:49]
	s_waitcnt lgkmcnt(4)
	v_fma_f64 v[46:47], -v[16:17], v[110:111], v[46:47]
	s_lshl_b32 s12, s12, 3
	s_or_b32 s13, s8, 12
	v_fma_f64 v[48:49], -v[14:15], v[96:97], v[48:49]
	v_mul_f64 v[44:45], v[106:107], v[44:45]
	s_waitcnt lgkmcnt(1)
	v_fma_f64 v[46:47], -v[18:19], v[126:127], v[46:47]
	v_fma_f64 v[48:49], -v[8:9], v[120:121], v[48:49]
	v_mov_b32_e32 v212, s12
	s_lshl_b32 s12, s14, 5
	s_mul_i32 s14, s13, 0x108
	v_fma_f64 v[46:47], -v[44:45], v[108:109], v[46:47]
	v_fma_f64 v[48:49], -v[10:11], v[84:85], v[48:49]
	v_mov_b32_e32 v84, s14
	ds_read_b128 v[106:109], v84
	s_waitcnt lgkmcnt(1)
	v_mul_f64 v[46:47], v[138:139], v[46:47]
	s_add_i32 s14, s7, 0x868
	global_store_dwordx4 v[68:69], v[44:47], off offset:80
	v_mov_b32_e32 v84, s14
	ds_read2_b64 v[134:137], v89 offset0:13 offset1:14
	ds_read_b64 v[82:83], v89 offset:216
	ds_read_b128 v[94:97], v212 offset:96
	ds_read_b128 v[102:105], v212 offset:112
	v_fma_f64 v[48:49], -v[16:17], v[112:113], v[48:49]
	ds_read2_b64 v[110:113], v84 offset1:1
	ds_read2_b64 v[114:117], v88 offset0:45 offset1:46
	v_fma_f64 v[50:51], -v[0:1], v[124:125], v[50:51]
	ds_read2_b64 v[118:121], v88 offset0:47 offset1:48
	ds_read2_b64 v[122:125], v88 offset0:173 offset1:174
	v_fma_f64 v[48:49], -v[18:19], v[128:129], v[48:49]
	s_waitcnt lgkmcnt(2)
	v_fma_f64 v[50:51], -v[2:3], v[114:115], v[50:51]
	ds_read2_b64 v[126:129], v88 offset0:205 offset1:206
	v_fma_f64 v[50:51], -v[4:5], v[132:133], v[50:51]
	v_fma_f64 v[50:51], -v[6:7], v[98:99], v[50:51]
	s_add_i32 s12, s8, s12
	v_fma_f64 v[50:51], -v[12:13], v[92:93], v[50:51]
	ds_read2_b64 v[90:93], v88 offset0:175 offset1:176
	s_lshl_b32 s12, s12, 3
	s_waitcnt lgkmcnt(2)
	v_fma_f64 v[50:51], -v[14:15], v[122:123], v[50:51]
	s_waitcnt lgkmcnt(1)
	v_fma_f64 v[50:51], -v[8:9], v[126:127], v[50:51]
	v_mov_b32_e32 v213, s12
	ds_read2_b64 v[130:133], v88 offset0:207 offset1:208
	v_fma_f64 v[50:51], -v[10:11], v[86:87], v[50:51]
	ds_read2_b64 v[84:87], v213 offset0:13 offset1:14
	v_fma_f64 v[50:51], -v[16:17], v[110:111], v[50:51]
	s_or_b32 s14, s8, 13
	v_fma_f64 v[50:51], -v[18:19], v[134:135], v[50:51]
	v_fma_f64 v[50:51], -v[44:45], v[96:97], v[50:51]
	s_lshl_b32 s12, s13, 5
	s_mul_i32 s13, s14, 0x108
	v_fma_f64 v[48:49], -v[44:45], v[94:95], v[48:49]
	s_waitcnt lgkmcnt(0)
	v_fma_f64 v[50:51], -v[46:47], v[84:85], v[50:51]
	v_mov_b32_e32 v84, s13
	v_fma_f64 v[48:49], -v[46:47], v[140:141], v[48:49]
	ds_read2_b64 v[138:141], v84 offset1:1
	ds_read_b128 v[142:145], v88 offset:112
	v_mul_f64 v[48:49], v[106:107], v[48:49]
	s_add_i32 s12, s8, s12
	v_fma_f64 v[50:51], -v[48:49], v[108:109], v[50:51]
	s_lshl_b32 s12, s12, 3
	s_waitcnt lgkmcnt(1)
	v_mul_f64 v[50:51], v[138:139], v[50:51]
	v_mov_b32_e32 v214, s12
	global_store_dwordx4 v[68:69], v[48:51], off offset:96
	ds_read2_b64 v[94:97], v213 offset0:15 offset1:16
	ds_read_b128 v[106:109], v214 offset:112
	ds_read_b128 v[146:149], v88 offset:128
	;; [unrolled: 1-line block ×3, first 2 shown]
	s_waitcnt lgkmcnt(4)
	v_fma_f64 v[52:53], -v[0:1], v[142:143], v[52:53]
	v_fma_f64 v[52:53], -v[2:3], v[116:117], v[52:53]
	ds_read_b128 v[114:117], v88 offset:640
	ds_read_b128 v[154:157], v88 offset:1136
	s_or_b32 s12, s8, 14
	s_waitcnt lgkmcnt(2)
	v_fma_f64 v[52:53], -v[4:5], v[150:151], v[52:53]
	v_fma_f64 v[52:53], -v[6:7], v[100:101], v[52:53]
	ds_read_b128 v[98:101], v88 offset:1152
	ds_read_b128 v[158:161], v88 offset:1904
	s_waitcnt lgkmcnt(2)
	v_fma_f64 v[52:53], -v[12:13], v[154:155], v[52:53]
	v_fma_f64 v[52:53], -v[14:15], v[124:125], v[52:53]
	;; [unrolled: 1-line block ×3, first 2 shown]
	s_lshl_b32 s13, s14, 5
	s_waitcnt lgkmcnt(0)
	v_fma_f64 v[52:53], -v[10:11], v[158:159], v[52:53]
	v_fma_f64 v[52:53], -v[16:17], v[112:113], v[52:53]
	v_fma_f64 v[52:53], -v[18:19], v[136:137], v[52:53]
	s_mul_i32 s14, s12, 0x108
	v_fma_f64 v[52:53], -v[44:45], v[102:103], v[52:53]
	v_mov_b32_e32 v84, s14
	v_fma_f64 v[52:53], -v[46:47], v[86:87], v[52:53]
	ds_read_b128 v[84:87], v84
	ds_read2_b64 v[126:129], v88 offset0:111 offset1:112
	v_fma_f64 v[54:55], -v[0:1], v[144:145], v[54:55]
	s_add_i32 s14, s7, 0x878
	v_fma_f64 v[54:55], -v[2:3], v[118:119], v[54:55]
	v_mov_b32_e32 v102, s14
	v_fma_f64 v[54:55], -v[4:5], v[152:153], v[54:55]
	v_fma_f64 v[52:53], -v[48:49], v[106:107], v[52:53]
	ds_read2_b64 v[110:113], v102 offset1:1
	ds_read2_b64 v[142:145], v89 offset0:17 offset1:18
	s_waitcnt lgkmcnt(2)
	v_fma_f64 v[54:55], -v[6:7], v[126:127], v[54:55]
	ds_read_b128 v[122:125], v88 offset:1920
	v_fma_f64 v[52:53], -v[50:51], v[140:141], v[52:53]
	ds_read2_b64 v[138:141], v89 offset0:15 offset1:16
	v_fma_f64 v[54:55], -v[12:13], v[156:157], v[54:55]
	v_fma_f64 v[54:55], -v[14:15], v[90:91], v[54:55]
	;; [unrolled: 1-line block ×3, first 2 shown]
	s_add_i32 s13, s8, s13
	v_fma_f64 v[54:55], -v[10:11], v[160:161], v[54:55]
	s_lshl_b32 s13, s13, 3
	s_waitcnt lgkmcnt(3)
	v_fma_f64 v[54:55], -v[16:17], v[110:111], v[54:55]
	v_fma_f64 v[56:57], -v[0:1], v[146:147], v[56:57]
	s_or_b32 s14, s8, 15
	s_waitcnt lgkmcnt(0)
	v_fma_f64 v[54:55], -v[18:19], v[138:139], v[54:55]
	v_mov_b32_e32 v170, s13
	v_fma_f64 v[56:57], -v[2:3], v[120:121], v[56:57]
	ds_read2_b64 v[150:153], v170 offset0:15 offset1:16
	v_fma_f64 v[54:55], -v[44:45], v[104:105], v[54:55]
	ds_read2_b64 v[102:105], v170 offset0:17 offset1:18
	s_mul_i32 s13, s14, 0x108
	v_fma_f64 v[56:57], -v[4:5], v[114:115], v[56:57]
	v_mul_f64 v[52:53], v[84:85], v[52:53]
	v_fma_f64 v[54:55], -v[46:47], v[94:95], v[54:55]
	v_mov_b32_e32 v84, s13
	v_fma_f64 v[56:57], -v[6:7], v[128:129], v[56:57]
	ds_read2_b64 v[134:137], v88 offset0:113 offset1:114
	v_fma_f64 v[54:55], -v[48:49], v[108:109], v[54:55]
	ds_read2_b64 v[106:109], v84 offset1:1
	v_fma_f64 v[56:57], -v[12:13], v[98:99], v[56:57]
	ds_read_b64 v[84:85], v170 offset:216
	v_fma_f64 v[56:57], -v[14:15], v[92:93], v[56:57]
	ds_read_b128 v[90:93], v212 offset:128
	v_fma_f64 v[56:57], -v[8:9], v[132:133], v[56:57]
	s_waitcnt lgkmcnt(5)
	v_fma_f64 v[54:55], -v[50:51], v[150:151], v[54:55]
	s_lshl_b32 s12, s12, 5
	v_fma_f64 v[56:57], -v[10:11], v[122:123], v[56:57]
	s_add_i32 s12, s8, s12
	v_fma_f64 v[54:55], -v[52:53], v[86:87], v[54:55]
	v_fma_f64 v[56:57], -v[16:17], v[112:113], v[56:57]
	ds_read_b128 v[110:113], v212 offset:144
	ds_read_b128 v[118:121], v214 offset:128
	s_lshl_b32 s12, s12, 3
	s_waitcnt lgkmcnt(4)
	v_mul_f64 v[54:55], v[106:107], v[54:55]
	v_fma_f64 v[56:57], -v[18:19], v[140:141], v[56:57]
	global_store_dwordx4 v[68:69], v[52:55], off offset:112
	s_waitcnt lgkmcnt(2)
	v_fma_f64 v[56:57], -v[44:45], v[90:91], v[56:57]
	v_mov_b32_e32 v215, s12
	v_fma_f64 v[56:57], -v[46:47], v[96:97], v[56:57]
	ds_read_b128 v[94:97], v215 offset:128
	ds_read_b128 v[126:129], v214 offset:144
	s_or_b32 s13, s8, 16
	s_waitcnt lgkmcnt(2)
	v_fma_f64 v[56:57], -v[48:49], v[118:119], v[56:57]
	v_fma_f64 v[56:57], -v[50:51], v[152:153], v[56:57]
	s_lshl_b32 s12, s14, 5
	s_mul_i32 s14, s13, 0x108
	s_waitcnt lgkmcnt(1)
	v_fma_f64 v[56:57], -v[52:53], v[94:95], v[56:57]
	v_mov_b32_e32 v86, s14
	s_add_i32 s14, s7, 0x888
	ds_read_b128 v[130:133], v215 offset:144
	v_fma_f64 v[56:57], -v[54:55], v[108:109], v[56:57]
	ds_read_b128 v[106:109], v86
	v_mov_b32_e32 v86, s14
	ds_read2_b64 v[138:141], v86 offset1:1
	ds_read2_b64 v[150:153], v88 offset0:49 offset1:50
	v_fma_f64 v[58:59], -v[0:1], v[148:149], v[58:59]
	ds_read2_b64 v[146:149], v88 offset0:51 offset1:52
	ds_read2_b64 v[154:157], v88 offset0:209 offset1:210
	;; [unrolled: 1-line block ×3, first 2 shown]
	s_waitcnt lgkmcnt(3)
	v_fma_f64 v[58:59], -v[2:3], v[150:151], v[58:59]
	v_fma_f64 v[58:59], -v[4:5], v[116:117], v[58:59]
	ds_read2_b64 v[114:117], v88 offset0:177 offset1:178
	v_fma_f64 v[58:59], -v[6:7], v[134:135], v[58:59]
	v_fma_f64 v[58:59], -v[12:13], v[100:101], v[58:59]
	ds_read2_b64 v[98:101], v88 offset0:179 offset1:180
	s_add_i32 s12, s8, s12
	s_waitcnt lgkmcnt(1)
	v_fma_f64 v[58:59], -v[14:15], v[114:115], v[58:59]
	v_fma_f64 v[58:59], -v[8:9], v[154:155], v[58:59]
	;; [unrolled: 1-line block ×3, first 2 shown]
	ds_read2_b64 v[122:125], v213 offset0:17 offset1:18
	s_lshl_b32 s12, s12, 3
	v_fma_f64 v[58:59], -v[16:17], v[138:139], v[58:59]
	s_or_b32 s14, s8, 17
	v_fma_f64 v[58:59], -v[18:19], v[142:143], v[58:59]
	v_mov_b32_e32 v216, s12
	v_fma_f64 v[58:59], -v[44:45], v[92:93], v[58:59]
	ds_read2_b64 v[90:93], v213 offset0:19 offset1:20
	ds_read2_b64 v[162:165], v216 offset0:17 offset1:18
	s_lshl_b32 s12, s13, 5
	s_mul_i32 s13, s14, 0x108
	s_waitcnt lgkmcnt(2)
	v_fma_f64 v[58:59], -v[46:47], v[122:123], v[58:59]
	v_mov_b32_e32 v86, s13
	v_fma_f64 v[58:59], -v[48:49], v[120:121], v[58:59]
	ds_read2_b64 v[118:121], v86 offset1:1
	ds_read_b128 v[166:169], v88 offset:144
	v_fma_f64 v[58:59], -v[50:51], v[102:103], v[58:59]
	v_fma_f64 v[58:59], -v[52:53], v[96:97], v[58:59]
	v_mul_f64 v[56:57], v[106:107], v[56:57]
	s_waitcnt lgkmcnt(2)
	v_fma_f64 v[58:59], -v[54:55], v[162:163], v[58:59]
	s_add_i32 s12, s8, s12
	v_fma_f64 v[58:59], -v[56:57], v[108:109], v[58:59]
	s_lshl_b32 s12, s12, 3
	s_waitcnt lgkmcnt(1)
	v_mul_f64 v[58:59], v[118:119], v[58:59]
	v_mov_b32_e32 v217, s12
	global_store_dwordx4 v[68:69], v[56:59], off offset:128
	ds_read2_b64 v[94:97], v216 offset0:19 offset1:20
	ds_read_b128 v[106:109], v217 offset:144
	ds_read_b128 v[176:179], v88 offset:160
	;; [unrolled: 1-line block ×3, first 2 shown]
	s_waitcnt lgkmcnt(4)
	v_fma_f64 v[60:61], -v[0:1], v[166:167], v[60:61]
	v_fma_f64 v[60:61], -v[2:3], v[152:153], v[60:61]
	ds_read_b128 v[150:153], v88 offset:672
	ds_read_b128 v[184:187], v88 offset:1168
	s_or_b32 s12, s8, 18
	s_waitcnt lgkmcnt(2)
	v_fma_f64 v[60:61], -v[4:5], v[180:181], v[60:61]
	v_fma_f64 v[60:61], -v[6:7], v[136:137], v[60:61]
	ds_read_b128 v[134:137], v88 offset:1184
	ds_read_b128 v[188:191], v88 offset:1936
	s_waitcnt lgkmcnt(2)
	v_fma_f64 v[60:61], -v[12:13], v[184:185], v[60:61]
	v_fma_f64 v[60:61], -v[14:15], v[116:117], v[60:61]
	;; [unrolled: 1-line block ×3, first 2 shown]
	s_lshl_b32 s13, s14, 5
	s_waitcnt lgkmcnt(0)
	v_fma_f64 v[60:61], -v[10:11], v[188:189], v[60:61]
	v_fma_f64 v[60:61], -v[16:17], v[140:141], v[60:61]
	;; [unrolled: 1-line block ×5, first 2 shown]
	s_mul_i32 s14, s12, 0x108
	v_fma_f64 v[60:61], -v[48:49], v[126:127], v[60:61]
	v_mov_b32_e32 v86, s14
	v_fma_f64 v[60:61], -v[50:51], v[104:105], v[60:61]
	ds_read_b128 v[102:105], v86
	ds_read2_b64 v[122:125], v88 offset0:115 offset1:116
	v_fma_f64 v[60:61], -v[52:53], v[130:131], v[60:61]
	v_fma_f64 v[62:63], -v[0:1], v[168:169], v[62:63]
	;; [unrolled: 1-line block ×3, first 2 shown]
	s_add_i32 s14, s7, 0x898
	v_fma_f64 v[62:63], -v[2:3], v[146:147], v[62:63]
	v_fma_f64 v[60:61], -v[56:57], v[106:107], v[60:61]
	v_mov_b32_e32 v86, s14
	v_fma_f64 v[62:63], -v[4:5], v[182:183], v[62:63]
	v_fma_f64 v[60:61], -v[58:59], v[120:121], v[60:61]
	ds_read2_b64 v[118:121], v86 offset1:1
	ds_read2_b64 v[138:141], v88 offset0:117 offset1:118
	s_waitcnt lgkmcnt(2)
	v_fma_f64 v[62:63], -v[6:7], v[122:123], v[62:63]
	v_fma_f64 v[62:63], -v[12:13], v[186:187], v[62:63]
	ds_read2_b64 v[142:145], v89 offset0:19 offset1:20
	ds_read2_b64 v[154:157], v89 offset0:21 offset1:22
	v_fma_f64 v[62:63], -v[14:15], v[98:99], v[62:63]
	v_fma_f64 v[62:63], -v[8:9], v[158:159], v[62:63]
	;; [unrolled: 1-line block ×3, first 2 shown]
	s_waitcnt lgkmcnt(3)
	v_fma_f64 v[62:63], -v[16:17], v[118:119], v[62:63]
	ds_read2_b64 v[162:165], v170 offset0:19 offset1:20
	s_add_i32 s13, s8, s13
	s_waitcnt lgkmcnt(2)
	v_fma_f64 v[62:63], -v[18:19], v[142:143], v[62:63]
	s_lshl_b32 s13, s13, 3
	v_fma_f64 v[62:63], -v[44:45], v[112:113], v[62:63]
	ds_read2_b64 v[110:113], v170 offset0:21 offset1:22
	s_or_b32 s14, s8, 19
	v_fma_f64 v[62:63], -v[46:47], v[90:91], v[62:63]
	v_mov_b32_e32 v171, s13
	v_fma_f64 v[62:63], -v[48:49], v[128:129], v[62:63]
	ds_read2_b64 v[126:129], v171 offset0:19 offset1:20
	s_mul_i32 s13, s14, 0x108
	s_waitcnt lgkmcnt(2)
	v_fma_f64 v[62:63], -v[50:51], v[162:163], v[62:63]
	v_mov_b32_e32 v86, s13
	v_fma_f64 v[64:65], -v[0:1], v[176:177], v[64:65]
	ds_read_b128 v[114:117], v88 offset:1952
	v_fma_f64 v[62:63], -v[52:53], v[132:133], v[62:63]
	ds_read2_b64 v[130:133], v86 offset1:1
	v_fma_f64 v[64:65], -v[2:3], v[148:149], v[64:65]
	v_fma_f64 v[62:63], -v[54:55], v[94:95], v[62:63]
	v_fma_f64 v[64:65], -v[4:5], v[150:151], v[64:65]
	v_fma_f64 v[62:63], -v[56:57], v[108:109], v[62:63]
	v_fma_f64 v[64:65], -v[6:7], v[124:125], v[64:65]
	v_mul_f64 v[60:61], v[102:103], v[60:61]
	ds_read2_b64 v[106:109], v171 offset0:21 offset1:22
	s_waitcnt lgkmcnt(3)
	v_fma_f64 v[62:63], -v[58:59], v[126:127], v[62:63]
	v_fma_f64 v[64:65], -v[12:13], v[134:135], v[64:65]
	;; [unrolled: 1-line block ×3, first 2 shown]
	ds_read_b64 v[86:87], v171 offset:216
	v_fma_f64 v[64:65], -v[14:15], v[100:101], v[64:65]
	ds_read_b128 v[98:101], v212 offset:160
	s_waitcnt lgkmcnt(3)
	v_mul_f64 v[62:63], v[130:131], v[62:63]
	v_fma_f64 v[64:65], -v[8:9], v[160:161], v[64:65]
	global_store_dwordx4 v[68:69], v[60:63], off offset:144
	v_fma_f64 v[64:65], -v[10:11], v[114:115], v[64:65]
	v_fma_f64 v[64:65], -v[16:17], v[120:121], v[64:65]
	ds_read_b128 v[102:105], v212 offset:176
	ds_read_b128 v[118:121], v214 offset:160
	v_fma_f64 v[64:65], -v[18:19], v[144:145], v[64:65]
	s_waitcnt lgkmcnt(2)
	v_fma_f64 v[64:65], -v[44:45], v[98:99], v[64:65]
	v_fma_f64 v[64:65], -v[46:47], v[92:93], v[64:65]
	ds_read_b128 v[90:93], v215 offset:160
	ds_read_b128 v[122:125], v214 offset:176
	s_lshl_b32 s12, s12, 5
	s_add_i32 s12, s8, s12
	s_waitcnt lgkmcnt(2)
	v_fma_f64 v[64:65], -v[48:49], v[118:119], v[64:65]
	ds_read_b128 v[142:145], v215 offset:176
	ds_read_b128 v[146:149], v217 offset:160
	s_lshl_b32 s12, s12, 3
	v_fma_f64 v[64:65], -v[50:51], v[164:165], v[64:65]
	s_waitcnt lgkmcnt(3)
	v_fma_f64 v[64:65], -v[52:53], v[90:91], v[64:65]
	v_mov_b32_e32 v218, s12
	v_fma_f64 v[64:65], -v[54:55], v[96:97], v[64:65]
	ds_read_b128 v[94:97], v218 offset:160
	ds_read_b128 v[158:161], v217 offset:176
	s_or_b32 s13, s8, 20
	s_waitcnt lgkmcnt(2)
	v_fma_f64 v[64:65], -v[56:57], v[146:147], v[64:65]
	v_fma_f64 v[64:65], -v[58:59], v[128:129], v[64:65]
	s_lshl_b32 s12, s14, 5
	s_mul_i32 s14, s13, 0x108
	s_waitcnt lgkmcnt(1)
	v_fma_f64 v[64:65], -v[60:61], v[94:95], v[64:65]
	v_mov_b32_e32 v90, s14
	s_add_i32 s14, s7, 0x8a8
	ds_read_b128 v[126:129], v218 offset:176
	v_fma_f64 v[64:65], -v[62:63], v[132:133], v[64:65]
	ds_read_b128 v[130:133], v90
	v_mov_b32_e32 v90, s14
	ds_read2_b64 v[162:165], v90 offset1:1
	ds_read2_b64 v[166:169], v88 offset0:53 offset1:54
	v_fma_f64 v[66:67], -v[0:1], v[178:179], v[66:67]
	ds_read2_b64 v[180:183], v88 offset0:213 offset1:214
	ds_read2_b64 v[184:187], v88 offset0:215 offset1:216
	;; [unrolled: 1-line block ×3, first 2 shown]
	s_waitcnt lgkmcnt(3)
	v_fma_f64 v[66:67], -v[2:3], v[166:167], v[66:67]
	v_fma_f64 v[66:67], -v[4:5], v[152:153], v[66:67]
	ds_read2_b64 v[150:153], v88 offset0:181 offset1:182
	v_fma_f64 v[66:67], -v[6:7], v[138:139], v[66:67]
	v_fma_f64 v[66:67], -v[12:13], v[136:137], v[66:67]
	ds_read2_b64 v[134:137], v88 offset0:183 offset1:184
	s_add_i32 s12, s8, s12
	s_waitcnt lgkmcnt(1)
	v_fma_f64 v[66:67], -v[14:15], v[150:151], v[66:67]
	v_fma_f64 v[66:67], -v[8:9], v[180:181], v[66:67]
	;; [unrolled: 1-line block ×3, first 2 shown]
	ds_read2_b64 v[114:117], v213 offset0:21 offset1:22
	v_fma_f64 v[66:67], -v[16:17], v[162:163], v[66:67]
	v_fma_f64 v[66:67], -v[18:19], v[154:155], v[66:67]
	;; [unrolled: 1-line block ×3, first 2 shown]
	ds_read2_b64 v[98:101], v213 offset0:23 offset1:24
	s_waitcnt lgkmcnt(1)
	v_fma_f64 v[66:67], -v[46:47], v[114:115], v[66:67]
	v_fma_f64 v[66:67], -v[48:49], v[120:121], v[66:67]
	;; [unrolled: 1-line block ×3, first 2 shown]
	s_lshl_b32 s12, s12, 3
	v_fma_f64 v[66:67], -v[52:53], v[92:93], v[66:67]
	s_or_b32 s14, s8, 21
	ds_read2_b64 v[90:93], v216 offset0:23 offset1:24
	v_fma_f64 v[66:67], -v[54:55], v[188:189], v[66:67]
	v_mov_b32_e32 v219, s12
	ds_read2_b64 v[118:121], v219 offset0:21 offset1:22
	v_fma_f64 v[66:67], -v[56:57], v[148:149], v[66:67]
	s_lshl_b32 s12, s13, 5
	s_mul_i32 s13, s14, 0x108
	v_fma_f64 v[66:67], -v[58:59], v[106:107], v[66:67]
	v_mov_b32_e32 v106, s13
	ds_read2_b64 v[146:149], v106 offset1:1
	v_fma_f64 v[66:67], -v[60:61], v[96:97], v[66:67]
	s_add_i32 s12, s8, s12
	v_mul_f64 v[64:65], v[130:131], v[64:65]
	ds_read2_b64 v[94:97], v219 offset0:23 offset1:24
	s_waitcnt lgkmcnt(2)
	v_fma_f64 v[66:67], -v[62:63], v[118:119], v[66:67]
	s_lshl_b32 s12, s12, 3
	ds_read2_b64 v[176:179], v88 offset0:55 offset1:56
	ds_read_b128 v[192:195], v88 offset:176
	v_fma_f64 v[66:67], -v[64:65], v[132:133], v[66:67]
	v_mov_b32_e32 v188, s12
	ds_read_b128 v[130:133], v188 offset:176
	s_waitcnt lgkmcnt(4)
	v_mul_f64 v[66:67], v[146:147], v[66:67]
	global_store_dwordx4 v[68:69], v[64:67], off offset:160
	ds_read_b128 v[196:199], v88 offset:192
	ds_read_b128 v[200:203], v88 offset:688
	s_waitcnt lgkmcnt(3)
	v_fma_f64 v[80:81], -v[0:1], v[192:193], v[80:81]
	v_fma_f64 v[80:81], -v[2:3], v[168:169], v[80:81]
	ds_read_b128 v[166:169], v88 offset:704
	ds_read_b128 v[204:207], v88 offset:1200
	s_or_b32 s12, s8, 22
	s_waitcnt lgkmcnt(2)
	v_fma_f64 v[80:81], -v[4:5], v[200:201], v[80:81]
	v_fma_f64 v[80:81], -v[6:7], v[140:141], v[80:81]
	ds_read_b128 v[138:141], v88 offset:1216
	ds_read_b128 v[208:211], v88 offset:1968
	s_waitcnt lgkmcnt(2)
	v_fma_f64 v[80:81], -v[12:13], v[204:205], v[80:81]
	v_fma_f64 v[80:81], -v[14:15], v[152:153], v[80:81]
	;; [unrolled: 1-line block ×3, first 2 shown]
	s_lshl_b32 s13, s14, 5
	s_waitcnt lgkmcnt(0)
	v_fma_f64 v[80:81], -v[10:11], v[208:209], v[80:81]
	v_fma_f64 v[80:81], -v[16:17], v[164:165], v[80:81]
	;; [unrolled: 1-line block ×9, first 2 shown]
	s_mul_i32 s14, s12, 0x108
	v_fma_f64 v[80:81], -v[56:57], v[158:159], v[80:81]
	v_mov_b32_e32 v102, s14
	v_fma_f64 v[80:81], -v[58:59], v[108:109], v[80:81]
	ds_read_b128 v[106:109], v102
	v_fma_f64 v[80:81], -v[60:61], v[126:127], v[80:81]
	ds_read2_b64 v[114:117], v88 offset0:119 offset1:120
	v_fma_f64 v[80:81], -v[62:63], v[120:121], v[80:81]
	v_fma_f64 v[80:81], -v[64:65], v[130:131], v[80:81]
	s_add_i32 s14, s7, 0x8b8
	v_fma_f64 v[78:79], -v[0:1], v[194:195], v[78:79]
	v_fma_f64 v[80:81], -v[66:67], v[148:149], v[80:81]
	;; [unrolled: 1-line block ×3, first 2 shown]
	ds_read2_b64 v[146:149], v89 offset0:25 offset1:26
	v_mov_b32_e32 v102, s14
	ds_read2_b64 v[110:113], v102 offset1:1
	ds_read2_b64 v[154:157], v170 offset0:23 offset1:24
	s_waitcnt lgkmcnt(4)
	v_mul_f64 v[102:103], v[106:107], v[80:81]
	v_fma_f64 v[106:107], -v[4:5], v[202:203], v[78:79]
	ds_read2_b64 v[78:81], v88 offset0:121 offset1:122
	s_waitcnt lgkmcnt(4)
	v_fma_f64 v[106:107], -v[6:7], v[114:115], v[106:107]
	ds_read_b128 v[150:153], v88 offset:1984
	ds_read2_b64 v[118:121], v89 offset0:23 offset1:24
	v_fma_f64 v[106:107], -v[12:13], v[206:207], v[106:107]
	v_fma_f64 v[106:107], -v[14:15], v[134:135], v[106:107]
	;; [unrolled: 1-line block ×4, first 2 shown]
	s_waitcnt lgkmcnt(4)
	v_fma_f64 v[106:107], -v[16:17], v[110:111], v[106:107]
	s_waitcnt lgkmcnt(0)
	v_fma_f64 v[106:107], -v[18:19], v[118:119], v[106:107]
	v_fma_f64 v[104:105], -v[44:45], v[104:105], v[106:107]
	v_fma_f64 v[98:99], -v[46:47], v[98:99], v[104:105]
	v_fma_f64 v[98:99], -v[48:49], v[124:125], v[98:99]
	ds_read2_b64 v[122:125], v170 offset0:25 offset1:26
	ds_read2_b64 v[104:107], v171 offset0:23 offset1:24
	v_fma_f64 v[98:99], -v[50:51], v[154:155], v[98:99]
	v_fma_f64 v[98:99], -v[52:53], v[144:145], v[98:99]
	s_add_i32 s13, s8, s13
	v_fma_f64 v[90:91], -v[54:55], v[90:91], v[98:99]
	s_lshl_b32 s13, s13, 3
	v_fma_f64 v[90:91], -v[56:57], v[160:161], v[90:91]
	s_or_b32 s14, s8, 23
	s_waitcnt lgkmcnt(0)
	v_fma_f64 v[90:91], -v[58:59], v[104:105], v[90:91]
	v_mov_b32_e32 v89, s13
	ds_read2_b64 v[158:161], v89 offset0:23 offset1:24
	v_fma_f64 v[90:91], -v[60:61], v[128:129], v[90:91]
	ds_read2_b64 v[126:129], v89 offset0:25 offset1:26
	s_mul_i32 s13, s14, 0x108
	v_fma_f64 v[90:91], -v[62:63], v[94:95], v[90:91]
	v_mov_b32_e32 v94, s13
	v_fma_f64 v[76:77], -v[0:1], v[196:197], v[76:77]
	v_fma_f64 v[90:91], -v[64:65], v[132:133], v[90:91]
	ds_read2_b64 v[130:133], v94 offset1:1
	v_fma_f64 v[76:77], -v[2:3], v[178:179], v[76:77]
	v_fma_f64 v[76:77], -v[4:5], v[166:167], v[76:77]
	;; [unrolled: 1-line block ×3, first 2 shown]
	s_waitcnt lgkmcnt(2)
	v_fma_f64 v[90:91], -v[66:67], v[158:159], v[90:91]
	v_fma_f64 v[76:77], -v[12:13], v[138:139], v[76:77]
	v_fma_f64 v[90:91], -v[102:103], v[108:109], v[90:91]
	v_fma_f64 v[76:77], -v[14:15], v[136:137], v[76:77]
	ds_read2_b64 v[142:145], v171 offset0:25 offset1:26
	ds_read_b128 v[108:111], v212 offset:192
	ds_read_b64 v[170:171], v89 offset:216
	s_waitcnt lgkmcnt(3)
	v_mul_f64 v[104:105], v[130:131], v[90:91]
	v_fma_f64 v[76:77], -v[8:9], v[186:187], v[76:77]
	global_store_dwordx4 v[68:69], v[102:105], off offset:176
	v_fma_f64 v[76:77], -v[10:11], v[150:151], v[76:77]
	v_fma_f64 v[76:77], -v[16:17], v[112:113], v[76:77]
	ds_read_b128 v[112:115], v212 offset:208
	ds_read_b128 v[116:119], v214 offset:192
	v_fma_f64 v[76:77], -v[18:19], v[120:121], v[76:77]
	s_waitcnt lgkmcnt(3)
	v_fma_f64 v[76:77], -v[44:45], v[108:109], v[76:77]
	v_fma_f64 v[76:77], -v[46:47], v[100:101], v[76:77]
	ds_read_b128 v[98:101], v214 offset:208
	ds_read_b128 v[134:137], v215 offset:192
	s_waitcnt lgkmcnt(2)
	v_fma_f64 v[76:77], -v[48:49], v[116:117], v[76:77]
	v_fma_f64 v[76:77], -v[50:51], v[156:157], v[76:77]
	ds_read_b128 v[154:157], v215 offset:208
	ds_read_b128 v[162:165], v217 offset:192
	s_lshl_b32 s12, s12, 5
	s_waitcnt lgkmcnt(2)
	v_fma_f64 v[76:77], -v[52:53], v[134:135], v[76:77]
	v_fma_f64 v[76:77], -v[54:55], v[92:93], v[76:77]
	ds_read_b128 v[90:93], v218 offset:192
	ds_read_b128 v[176:179], v217 offset:208
	s_waitcnt lgkmcnt(2)
	v_fma_f64 v[76:77], -v[56:57], v[162:163], v[76:77]
	s_add_i32 s12, s8, s12
	v_fma_f64 v[76:77], -v[58:59], v[106:107], v[76:77]
	ds_read_b128 v[106:109], v218 offset:208
	ds_read_b128 v[180:183], v188 offset:192
	s_lshl_b32 s12, s12, 3
	s_waitcnt lgkmcnt(3)
	v_fma_f64 v[76:77], -v[60:61], v[90:91], v[76:77]
	v_mov_b32_e32 v89, s12
	v_fma_f64 v[76:77], -v[62:63], v[96:97], v[76:77]
	ds_read_b128 v[94:97], v89 offset:192
	ds_read_b128 v[184:187], v188 offset:208
	v_fma_f64 v[74:75], -v[0:1], v[198:199], v[74:75]
	s_or_b32 s13, s8, 24
	v_fma_f64 v[24:25], -v[2:3], v[24:25], v[74:75]
	s_waitcnt lgkmcnt(2)
	v_fma_f64 v[76:77], -v[64:65], v[180:181], v[76:77]
	s_lshl_b32 s12, s14, 5
	s_mul_i32 s14, s13, 0x108
	v_fma_f64 v[24:25], -v[4:5], v[168:169], v[24:25]
	v_fma_f64 v[76:77], -v[66:67], v[160:161], v[76:77]
	ds_read_b128 v[158:161], v89 offset:208
	v_mov_b32_e32 v89, s14
	s_addk_i32 s7, 0x8c8
	v_fma_f64 v[24:25], -v[6:7], v[78:79], v[24:25]
	s_waitcnt lgkmcnt(2)
	v_fma_f64 v[76:77], -v[102:103], v[94:95], v[76:77]
	ds_read_b128 v[188:191], v89
	v_fma_f64 v[24:25], -v[12:13], v[140:141], v[24:25]
	ds_read2_b64 v[138:141], v213 offset0:25 offset1:26
	v_mov_b32_e32 v89, s7
	v_fma_f64 v[76:77], -v[104:105], v[132:133], v[76:77]
	ds_read2_b64 v[130:133], v89 offset1:1
	v_fma_f64 v[24:25], -v[14:15], v[36:37], v[24:25]
	v_fma_f64 v[24:25], -v[8:9], v[40:41], v[24:25]
	;; [unrolled: 1-line block ×3, first 2 shown]
	ds_read2_b64 v[150:153], v216 offset0:25 offset1:26
	s_waitcnt lgkmcnt(1)
	v_fma_f64 v[24:25], -v[16:17], v[130:131], v[24:25]
	v_fma_f64 v[24:25], -v[18:19], v[146:147], v[24:25]
	;; [unrolled: 1-line block ×7, first 2 shown]
	ds_read2_b64 v[116:119], v219 offset0:25 offset1:26
	ds_read_b64 v[130:131], v219 offset:216
	s_waitcnt lgkmcnt(2)
	v_fma_f64 v[24:25], -v[54:55], v[150:151], v[24:25]
	v_fma_f64 v[24:25], -v[56:57], v[164:165], v[24:25]
	s_add_i32 s12, s8, s12
	v_fma_f64 v[24:25], -v[58:59], v[142:143], v[24:25]
	s_lshl_b32 s12, s12, 3
	v_fma_f64 v[24:25], -v[60:61], v[92:93], v[24:25]
	s_or_b32 s7, s8, 25
	s_waitcnt lgkmcnt(1)
	v_fma_f64 v[24:25], -v[62:63], v[116:117], v[24:25]
	v_mov_b32_e32 v36, s12
	ds_read2_b64 v[90:93], v36 offset0:25 offset1:26
	ds_read_b64 v[116:117], v36 offset:216
	v_fma_f64 v[24:25], -v[64:65], v[182:183], v[24:25]
	s_lshl_b32 s12, s13, 5
	s_mul_i32 s13, s7, 0x108
	v_fma_f64 v[24:25], -v[66:67], v[126:127], v[24:25]
	v_mov_b32_e32 v36, s13
	ds_read_b64 v[110:111], v216 offset:216
	v_fma_f64 v[24:25], -v[102:103], v[96:97], v[24:25]
	ds_read2_b64 v[94:97], v36 offset1:1
	v_mul_f64 v[76:77], v[188:189], v[76:77]
	s_waitcnt lgkmcnt(3)
	v_fma_f64 v[24:25], -v[104:105], v[90:91], v[24:25]
	v_fma_f64 v[24:25], -v[76:77], v[190:191], v[24:25]
	s_add_i32 s12, s8, s12
	s_waitcnt lgkmcnt(0)
	v_mul_f64 v[78:79], v[94:95], v[24:25]
	v_fma_f64 v[24:25], -v[0:1], v[28:29], v[72:73]
	v_fma_f64 v[24:25], -v[2:3], v[26:27], v[24:25]
	;; [unrolled: 1-line block ×7, first 2 shown]
	ds_read2_b64 v[40:43], v88 offset0:59 offset1:123
	s_lshl_b32 s12, s12, 3
	v_mov_b32_e32 v36, s12
	v_fma_f64 v[0:1], -v[0:1], v[30:31], v[70:71]
	ds_read2_b64 v[28:31], v88 offset0:187 offset1:219
	ds_read_b128 v[120:123], v36 offset:208
	ds_read_b128 v[24:27], v88 offset:2000
	s_waitcnt lgkmcnt(3)
	v_fma_f64 v[0:1], -v[2:3], v[40:41], v[0:1]
	v_fma_f64 v[0:1], -v[4:5], v[22:23], v[0:1]
	ds_read_b64 v[32:33], v88 offset:2264
	v_fma_f64 v[0:1], -v[6:7], v[42:43], v[0:1]
	v_fma_f64 v[0:1], -v[12:13], v[34:35], v[0:1]
	s_or_b32 s12, s8, 26
	s_lshl_b32 s7, s7, 5
	s_waitcnt lgkmcnt(3)
	v_fma_f64 v[0:1], -v[14:15], v[28:29], v[0:1]
	s_or_b32 s6, s8, 28
	ds_read_b64 v[74:75], v213 offset:216
	s_waitcnt lgkmcnt(2)
	v_fma_f64 v[20:21], -v[10:11], v[24:25], v[20:21]
	s_add_i32 s7, s8, s7
	s_mul_i32 s8, s12, 0x108
	v_fma_f64 v[0:1], -v[8:9], v[30:31], v[0:1]
	v_fma_f64 v[20:21], -v[16:17], v[132:133], v[20:21]
	v_mov_b32_e32 v24, s8
	v_fma_f64 v[0:1], -v[10:11], v[26:27], v[0:1]
	v_fma_f64 v[20:21], -v[18:19], v[148:149], v[20:21]
	ds_read_b128 v[36:39], v24
	s_waitcnt lgkmcnt(2)
	v_fma_f64 v[0:1], -v[16:17], v[32:33], v[0:1]
	v_fma_f64 v[20:21], -v[44:45], v[112:113], v[20:21]
	s_lshl_b32 s7, s7, 3
	v_fma_f64 v[0:1], -v[18:19], v[82:83], v[0:1]
	v_fma_f64 v[20:21], -v[46:47], v[140:141], v[20:21]
	v_mov_b32_e32 v24, s7
	ds_read_b64 v[24:25], v24 offset:216
	v_fma_f64 v[0:1], -v[44:45], v[114:115], v[0:1]
	v_fma_f64 v[20:21], -v[48:49], v[98:99], v[20:21]
	s_waitcnt lgkmcnt(2)
	v_fma_f64 v[0:1], -v[46:47], v[74:75], v[0:1]
	v_fma_f64 v[20:21], -v[50:51], v[124:125], v[20:21]
	;; [unrolled: 1-line block ×19, first 2 shown]
	s_mul_i32 s7, s9, 0x108
	v_fma_f64 v[20:21], -v[102:103], v[158:159], v[20:21]
	v_fma_f64 v[0:1], -v[66:67], v[170:171], v[0:1]
	v_mov_b32_e32 v2, s7
	ds_read_b64 v[2:3], v2
	v_fma_f64 v[20:21], -v[104:105], v[92:93], v[20:21]
	v_fma_f64 v[0:1], -v[102:103], v[160:161], v[0:1]
	;; [unrolled: 1-line block ×6, first 2 shown]
	s_waitcnt lgkmcnt(2)
	v_mul_f64 v[20:21], v[36:37], v[20:21]
	s_waitcnt lgkmcnt(1)
	v_fma_f64 v[0:1], -v[78:79], v[24:25], v[0:1]
	v_fma_f64 v[0:1], -v[20:21], v[38:39], v[0:1]
	s_waitcnt lgkmcnt(0)
	v_mul_f64 v[22:23], v[2:3], v[0:1]
	s_mov_b32 s8, s6
	global_store_dwordx4 v[68:69], v[76:79], off offset:192
	global_store_dwordx4 v[68:69], v[20:23], off offset:208
.LBB105_47:
	s_cmp_ge_i32 s8, s16
	s_cbranch_scc1 .LBB105_58
; %bb.48:
	s_add_i32 s6, s8, -1
	s_lshl_b32 s7, s8, 3
	s_add_u32 s4, s10, s4
	s_addc_u32 s5, s11, s5
	s_add_u32 s2, s4, s2
	s_addc_u32 s3, s5, s3
	v_mov_b32_e32 v0, s3
	v_add_co_u32_e32 v8, vcc, s2, v174
	v_addc_co_u32_e32 v9, vcc, v0, v175, vcc
	v_add_co_u32_e32 v0, vcc, 56, v8
	v_addc_co_u32_e32 v1, vcc, 0, v9, vcc
	s_mov_b32 s3, 0
	s_mov_b32 s5, s8
	;; [unrolled: 1-line block ×3, first 2 shown]
	s_branch .LBB105_50
.LBB105_49:                             ;   in Loop: Header=BB105_50 Depth=1
	s_mul_i32 s2, s8, 0x108
	v_mov_b32_e32 v6, s2
	ds_read_b64 v[6:7], v6
	s_add_i32 s8, s8, 1
	s_add_i32 s4, s4, 1
	;; [unrolled: 1-line block ×3, first 2 shown]
	v_add_u16_e64 v10, s5, 1
	s_waitcnt lgkmcnt(0)
	v_mul_f64 v[4:5], v[6:7], v[4:5]
	s_cmp_ge_i32 s8, s16
	v_readfirstlane_b32 s5, v10
	global_store_dwordx2 v[2:3], v[4:5], off
	s_cbranch_scc1 .LBB105_58
.LBB105_50:                             ; =>This Loop Header: Depth=1
                                        ;     Child Loop BB105_53 Depth 2
                                        ;     Child Loop BB105_57 Depth 2
	s_ashr_i32 s9, s8, 31
	s_lshl_b64 s[10:11], s[8:9], 3
	v_mov_b32_e32 v3, s11
	v_add_co_u32_e32 v2, vcc, s10, v172
	v_addc_co_u32_e32 v3, vcc, v173, v3, vcc
	global_load_dwordx2 v[4:5], v[2:3], off
	s_cmp_eq_u32 s8, 0
	s_waitcnt vmcnt(0)
	v_mul_f64 v[4:5], v[4:5], s[0:1]
	s_cbranch_scc1 .LBB105_49
; %bb.51:                               ;   in Loop: Header=BB105_50 Depth=1
	s_add_i32 s2, s6, s4
	s_cmp_lt_u32 s2, 7
	s_cbranch_scc1 .LBB105_55
; %bb.52:                               ;   in Loop: Header=BB105_50 Depth=1
	s_and_b32 s2, s8, -8
	s_mov_b32 s9, 0
	v_pk_mov_b32 v[6:7], v[0:1], v[0:1] op_sel:[0,1]
	s_mov_b32 s10, s7
.LBB105_53:                             ;   Parent Loop BB105_50 Depth=1
                                        ; =>  This Inner Loop Header: Depth=2
	global_load_dwordx4 v[10:13], v[6:7], off offset:-56
	global_load_dwordx4 v[14:17], v[6:7], off offset:-40
	;; [unrolled: 1-line block ×4, first 2 shown]
	v_mov_b32_e32 v38, s10
	ds_read2_b64 v[26:29], v38 offset1:32
	ds_read2_b64 v[30:33], v38 offset0:64 offset1:96
	ds_read2_b64 v[34:37], v38 offset0:128 offset1:160
	;; [unrolled: 1-line block ×3, first 2 shown]
	s_add_i32 s9, s9, 8
	s_addk_i32 s10, 0x800
	v_add_co_u32_e32 v6, vcc, 64, v6
	v_addc_co_u32_e32 v7, vcc, 0, v7, vcc
	s_cmp_lg_u32 s2, s9
	s_waitcnt vmcnt(3) lgkmcnt(3)
	v_fma_f64 v[4:5], -v[10:11], v[26:27], v[4:5]
	v_fma_f64 v[4:5], -v[12:13], v[28:29], v[4:5]
	s_waitcnt vmcnt(2) lgkmcnt(2)
	v_fma_f64 v[4:5], -v[14:15], v[30:31], v[4:5]
	v_fma_f64 v[4:5], -v[16:17], v[32:33], v[4:5]
	;; [unrolled: 3-line block ×4, first 2 shown]
	s_cbranch_scc1 .LBB105_53
; %bb.54:                               ;   in Loop: Header=BB105_50 Depth=1
	s_and_b32 s9, s8, 7
	s_cmp_eq_u32 s9, 0
	s_cbranch_scc0 .LBB105_56
	s_branch .LBB105_49
.LBB105_55:                             ;   in Loop: Header=BB105_50 Depth=1
	s_mov_b32 s2, 0
	s_and_b32 s9, s8, 7
	s_cmp_eq_u32 s9, 0
	s_cbranch_scc1 .LBB105_49
.LBB105_56:                             ;   in Loop: Header=BB105_50 Depth=1
	s_lshl_b64 s[12:13], s[2:3], 3
	v_mov_b32_e32 v7, s13
	v_add_co_u32_e32 v6, vcc, s12, v8
	s_and_b32 s9, s5, 7
	s_lshl_b32 s10, s2, 8
	v_addc_co_u32_e32 v7, vcc, v9, v7, vcc
.LBB105_57:                             ;   Parent Loop BB105_50 Depth=1
                                        ; =>  This Inner Loop Header: Depth=2
	global_load_dwordx2 v[10:11], v[6:7], off
	s_add_i32 s2, s7, s10
	v_mov_b32_e32 v12, s2
	ds_read_b64 v[12:13], v12
	s_addk_i32 s10, 0x100
	v_add_co_u32_e32 v6, vcc, 8, v6
	s_add_i32 s9, s9, -1
	v_addc_co_u32_e32 v7, vcc, 0, v7, vcc
	s_cmp_lg_u32 s9, 0
	s_waitcnt vmcnt(0) lgkmcnt(0)
	v_fma_f64 v[4:5], -v[10:11], v[12:13], v[4:5]
	s_cbranch_scc1 .LBB105_57
	s_branch .LBB105_49
.LBB105_58:
	s_endpgm
	.section	.rodata,"a",@progbits
	.p2align	6, 0x0
	.amdhsa_kernel _ZL30rocblas_trsm_small_left_deviceILi32ELi32ELb1EddPKdPdEv13rocblas_fill_18rocblas_operation_17rocblas_diagonal_iiT3_T4_lilT5_lili
		.amdhsa_group_segment_fixed_size 8192
		.amdhsa_private_segment_fixed_size 0
		.amdhsa_kernarg_size 360
		.amdhsa_user_sgpr_count 6
		.amdhsa_user_sgpr_private_segment_buffer 1
		.amdhsa_user_sgpr_dispatch_ptr 0
		.amdhsa_user_sgpr_queue_ptr 0
		.amdhsa_user_sgpr_kernarg_segment_ptr 1
		.amdhsa_user_sgpr_dispatch_id 0
		.amdhsa_user_sgpr_flat_scratch_init 0
		.amdhsa_user_sgpr_kernarg_preload_length 0
		.amdhsa_user_sgpr_kernarg_preload_offset 0
		.amdhsa_user_sgpr_private_segment_size 0
		.amdhsa_uses_dynamic_stack 0
		.amdhsa_system_sgpr_private_segment_wavefront_offset 0
		.amdhsa_system_sgpr_workgroup_id_x 1
		.amdhsa_system_sgpr_workgroup_id_y 0
		.amdhsa_system_sgpr_workgroup_id_z 1
		.amdhsa_system_sgpr_workgroup_info 0
		.amdhsa_system_vgpr_workitem_id 0
		.amdhsa_next_free_vgpr 220
		.amdhsa_next_free_sgpr 37
		.amdhsa_accum_offset 220
		.amdhsa_reserve_vcc 1
		.amdhsa_reserve_flat_scratch 0
		.amdhsa_float_round_mode_32 0
		.amdhsa_float_round_mode_16_64 0
		.amdhsa_float_denorm_mode_32 3
		.amdhsa_float_denorm_mode_16_64 3
		.amdhsa_dx10_clamp 1
		.amdhsa_ieee_mode 1
		.amdhsa_fp16_overflow 0
		.amdhsa_tg_split 0
		.amdhsa_exception_fp_ieee_invalid_op 0
		.amdhsa_exception_fp_denorm_src 0
		.amdhsa_exception_fp_ieee_div_zero 0
		.amdhsa_exception_fp_ieee_overflow 0
		.amdhsa_exception_fp_ieee_underflow 0
		.amdhsa_exception_fp_ieee_inexact 0
		.amdhsa_exception_int_div_zero 0
	.end_amdhsa_kernel
	.section	.text._ZL30rocblas_trsm_small_left_deviceILi32ELi32ELb1EddPKdPdEv13rocblas_fill_18rocblas_operation_17rocblas_diagonal_iiT3_T4_lilT5_lili,"axG",@progbits,_ZL30rocblas_trsm_small_left_deviceILi32ELi32ELb1EddPKdPdEv13rocblas_fill_18rocblas_operation_17rocblas_diagonal_iiT3_T4_lilT5_lili,comdat
.Lfunc_end105:
	.size	_ZL30rocblas_trsm_small_left_deviceILi32ELi32ELb1EddPKdPdEv13rocblas_fill_18rocblas_operation_17rocblas_diagonal_iiT3_T4_lilT5_lili, .Lfunc_end105-_ZL30rocblas_trsm_small_left_deviceILi32ELi32ELb1EddPKdPdEv13rocblas_fill_18rocblas_operation_17rocblas_diagonal_iiT3_T4_lilT5_lili
                                        ; -- End function
	.section	.AMDGPU.csdata,"",@progbits
; Kernel info:
; codeLenInByte = 38152
; NumSgprs: 41
; NumVgprs: 220
; NumAgprs: 0
; TotalNumVgprs: 220
; ScratchSize: 0
; MemoryBound: 1
; FloatMode: 240
; IeeeMode: 1
; LDSByteSize: 8192 bytes/workgroup (compile time only)
; SGPRBlocks: 5
; VGPRBlocks: 27
; NumSGPRsForWavesPerEU: 41
; NumVGPRsForWavesPerEU: 220
; AccumOffset: 220
; Occupancy: 2
; WaveLimiterHint : 1
; COMPUTE_PGM_RSRC2:SCRATCH_EN: 0
; COMPUTE_PGM_RSRC2:USER_SGPR: 6
; COMPUTE_PGM_RSRC2:TRAP_HANDLER: 0
; COMPUTE_PGM_RSRC2:TGID_X_EN: 1
; COMPUTE_PGM_RSRC2:TGID_Y_EN: 0
; COMPUTE_PGM_RSRC2:TGID_Z_EN: 1
; COMPUTE_PGM_RSRC2:TIDIG_COMP_CNT: 0
; COMPUTE_PGM_RSRC3_GFX90A:ACCUM_OFFSET: 54
; COMPUTE_PGM_RSRC3_GFX90A:TG_SPLIT: 0
	.section	.text._ZL31rocblas_trsm_small_right_deviceIddPKdPdLi32EEv13rocblas_fill_18rocblas_operation_17rocblas_diagonal_iiT0_T1_lilT2_lili,"axG",@progbits,_ZL31rocblas_trsm_small_right_deviceIddPKdPdLi32EEv13rocblas_fill_18rocblas_operation_17rocblas_diagonal_iiT0_T1_lilT2_lili,comdat
	.globl	_ZL31rocblas_trsm_small_right_deviceIddPKdPdLi32EEv13rocblas_fill_18rocblas_operation_17rocblas_diagonal_iiT0_T1_lilT2_lili ; -- Begin function _ZL31rocblas_trsm_small_right_deviceIddPKdPdLi32EEv13rocblas_fill_18rocblas_operation_17rocblas_diagonal_iiT0_T1_lilT2_lili
	.p2align	8
	.type	_ZL31rocblas_trsm_small_right_deviceIddPKdPdLi32EEv13rocblas_fill_18rocblas_operation_17rocblas_diagonal_iiT0_T1_lilT2_lili,@function
_ZL31rocblas_trsm_small_right_deviceIddPKdPdLi32EEv13rocblas_fill_18rocblas_operation_17rocblas_diagonal_iiT0_T1_lilT2_lili: ; @_ZL31rocblas_trsm_small_right_deviceIddPKdPdLi32EEv13rocblas_fill_18rocblas_operation_17rocblas_diagonal_iiT0_T1_lilT2_lili
; %bb.0:
	s_load_dwordx4 s[8:11], s[4:5], 0x0
	s_load_dword s30, s[4:5], 0x10
	s_load_dwordx4 s[12:15], s[4:5], 0x18
	s_load_dwordx2 s[20:21], s[4:5], 0x28
	s_load_dwordx4 s[0:3], s[4:5], 0x38
	s_load_dwordx2 s[16:17], s[4:5], 0x48
	s_waitcnt lgkmcnt(0)
	s_min_i32 s31, s30, 32
	s_mov_b32 s34, 0
	s_add_i32 s33, s31, -1
	v_cmp_gt_i32_e32 vcc, s31, v0
	s_and_saveexec_b64 s[18:19], vcc
	s_cbranch_execz .LBB106_9
; %bb.1:
	s_load_dword s22, s[4:5], 0x30
	s_mul_i32 s1, s7, s1
	s_mul_hi_u32 s24, s7, s0
	s_add_i32 s1, s24, s1
	s_mul_i32 s0, s7, s0
	s_waitcnt lgkmcnt(0)
	s_ashr_i32 s23, s22, 31
	s_cmp_lt_u32 s33, 3
	s_cbranch_scc1 .LBB106_4
; %bb.2:
	s_lshl_b64 s[24:25], s[0:1], 3
	s_add_u32 s26, s14, s24
	s_addc_u32 s27, s15, s25
	s_lshl_b64 s[24:25], s[20:21], 3
	s_add_u32 s24, s26, s24
	s_addc_u32 s25, s27, s25
	v_lshlrev_b32_e32 v1, 3, v0
	v_mov_b32_e32 v3, s25
	v_add_co_u32_e32 v2, vcc, s24, v1
	s_mul_hi_i32 s37, s22, 24
	s_lshl_b64 s[24:25], s[22:23], 5
	s_lshl_b64 s[26:27], s[22:23], 4
	;; [unrolled: 1-line block ×3, first 2 shown]
	v_addc_co_u32_e32 v3, vcc, 0, v3, vcc
	s_and_b32 s34, s31, -4
	s_mul_i32 s35, s22, 24
	s_mov_b32 s36, 0
	v_mov_b32_e32 v4, s29
	v_mov_b32_e32 v5, s27
	;; [unrolled: 1-line block ×4, first 2 shown]
.LBB106_3:                              ; =>This Inner Loop Header: Depth=1
	v_add_co_u32_e32 v10, vcc, s28, v2
	v_addc_co_u32_e32 v11, vcc, v3, v4, vcc
	v_add_co_u32_e32 v12, vcc, s26, v2
	v_addc_co_u32_e32 v13, vcc, v3, v5, vcc
	v_add_co_u32_e32 v14, vcc, s35, v2
	global_load_dwordx2 v[8:9], v[2:3], off
	v_addc_co_u32_e32 v15, vcc, v3, v6, vcc
	global_load_dwordx2 v[16:17], v[10:11], off
	global_load_dwordx2 v[18:19], v[12:13], off
	;; [unrolled: 1-line block ×3, first 2 shown]
	s_add_i32 s36, s36, 4
	v_add_co_u32_e32 v2, vcc, s24, v2
	v_addc_co_u32_e32 v3, vcc, v3, v7, vcc
	s_cmp_eq_u32 s34, s36
	s_waitcnt vmcnt(2)
	ds_write2_b64 v1, v[8:9], v[16:17] offset1:32
	s_waitcnt vmcnt(0)
	ds_write2_b64 v1, v[18:19], v[20:21] offset0:64 offset1:96
	v_add_u32_e32 v1, 0x400, v1
	s_cbranch_scc0 .LBB106_3
.LBB106_4:
	s_and_b32 s24, s31, 3
	s_cmp_eq_u32 s24, 0
	s_cbranch_scc1 .LBB106_7
; %bb.5:
	s_mul_i32 s25, s23, s34
	s_mul_hi_u32 s26, s22, s34
	s_add_i32 s27, s26, s25
	s_mul_i32 s26, s22, s34
	s_lshl_b64 s[0:1], s[0:1], 3
	s_lshl_b64 s[26:27], s[26:27], 3
	s_add_u32 s25, s0, s26
	s_addc_u32 s26, s1, s27
	s_lshl_b64 s[0:1], s[20:21], 3
	s_add_u32 s0, s25, s0
	s_addc_u32 s1, s26, s1
	s_add_u32 s0, s14, s0
	v_lshlrev_b32_e32 v2, 3, v0
	s_addc_u32 s1, s15, s1
	v_lshl_or_b32 v1, s34, 8, v2
	v_mov_b32_e32 v3, s1
	v_add_co_u32_e32 v2, vcc, s0, v2
	s_lshl_b64 s[0:1], s[22:23], 3
	v_addc_co_u32_e32 v3, vcc, 0, v3, vcc
	v_mov_b32_e32 v4, s1
.LBB106_6:                              ; =>This Inner Loop Header: Depth=1
	global_load_dwordx2 v[6:7], v[2:3], off
	v_add_co_u32_e32 v2, vcc, s0, v2
	s_add_i32 s24, s24, -1
	v_addc_co_u32_e32 v3, vcc, v3, v4, vcc
	s_cmp_lg_u32 s24, 0
	s_waitcnt vmcnt(0)
	ds_write_b64 v1, v[6:7]
	v_add_u32_e32 v1, 0x100, v1
	s_cbranch_scc1 .LBB106_6
.LBB106_7:
	s_cmpk_eq_i32 s10, 0x84
	s_cbranch_scc0 .LBB106_9
; %bb.8:
	v_mul_u32_u24_e32 v1, 33, v0
	v_lshlrev_b32_e32 v1, 3, v1
	v_mov_b32_e32 v2, 0
	v_mov_b32_e32 v3, 0x3ff00000
	ds_write_b64 v1, v[2:3]
.LBB106_9:
	s_or_b64 exec, exec, s[18:19]
	s_load_dword s1, s[4:5], 0x68
	s_load_dwordx2 s[14:15], s[4:5], 0x58
	s_load_dword s0, s[4:5], 0x50
	s_mov_b32 s26, 0
	s_waitcnt lgkmcnt(0)
	s_mul_i32 s5, s7, s15
	s_mul_hi_u32 s10, s7, s14
	s_mul_i32 s4, s7, s14
	s_add_i32 s5, s10, s5
	s_lshl_b64 s[14:15], s[4:5], 3
	s_add_u32 s7, s2, s14
	s_addc_u32 s10, s3, s15
	s_lshl_b64 s[4:5], s[16:17], 3
	s_add_u32 s16, s7, s4
	s_addc_u32 s10, s10, s5
	s_lshl_b32 s7, s6, 5
	s_add_i32 s1, s1, -1
	s_sub_i32 s7, s11, s7
	s_cmp_ge_u32 s6, s1
	s_cselect_b32 s1, s7, 32
	s_ashr_i32 s7, s6, 31
	s_lshl_b64 s[6:7], s[6:7], 8
	s_add_u32 s24, s16, s6
	s_addc_u32 s25, s10, s7
	s_cmp_gt_i32 s30, 0
	v_cmp_gt_i32_e32 vcc, s1, v0
	s_cselect_b64 s[10:11], -1, 0
	s_and_b64 s[10:11], vcc, s[10:11]
	s_and_saveexec_b64 s[16:17], s[10:11]
	s_cbranch_execz .LBB106_16
; %bb.10:
	s_ashr_i32 s1, s0, 31
	s_cmp_lt_u32 s30, 4
	s_cbranch_scc1 .LBB106_13
; %bb.11:
	v_lshlrev_b32_e32 v1, 3, v0
	v_mov_b32_e32 v3, s25
	v_add_co_u32_e32 v2, vcc, s24, v1
	s_mul_hi_i32 s29, s0, 24
	s_lshl_b64 s[18:19], s[0:1], 5
	v_mov_b32_e32 v1, 0x2000
	s_lshl_b64 s[20:21], s[0:1], 4
	s_lshl_b64 s[22:23], s[0:1], 3
	v_addc_co_u32_e32 v3, vcc, 0, v3, vcc
	s_and_b32 s26, s30, 0x7ffffffc
	s_mul_i32 s27, s0, 24
	v_lshl_or_b32 v1, v0, 3, v1
	s_mov_b32 s28, 0
	v_mov_b32_e32 v4, s23
	v_mov_b32_e32 v5, s21
	;; [unrolled: 1-line block ×4, first 2 shown]
.LBB106_12:                             ; =>This Inner Loop Header: Depth=1
	v_add_co_u32_e32 v10, vcc, s22, v2
	v_addc_co_u32_e32 v11, vcc, v3, v4, vcc
	v_add_co_u32_e32 v12, vcc, s20, v2
	v_addc_co_u32_e32 v13, vcc, v3, v5, vcc
	global_load_dwordx2 v[8:9], v[2:3], off
	v_add_co_u32_e32 v14, vcc, s27, v2
	v_addc_co_u32_e32 v15, vcc, v3, v6, vcc
	global_load_dwordx2 v[16:17], v[10:11], off
	global_load_dwordx2 v[18:19], v[12:13], off
	;; [unrolled: 1-line block ×3, first 2 shown]
	s_add_i32 s28, s28, 4
	v_add_co_u32_e32 v2, vcc, s18, v2
	v_addc_co_u32_e32 v3, vcc, v3, v7, vcc
	s_cmp_lg_u32 s26, s28
	s_waitcnt vmcnt(3)
	v_mul_f64 v[8:9], v[8:9], s[12:13]
	s_waitcnt vmcnt(2)
	v_mul_f64 v[10:11], v[16:17], s[12:13]
	;; [unrolled: 2-line block ×4, first 2 shown]
	ds_write2_b64 v1, v[8:9], v[10:11] offset1:32
	ds_write2_b64 v1, v[12:13], v[14:15] offset0:64 offset1:96
	v_add_u32_e32 v1, 0x400, v1
	s_cbranch_scc1 .LBB106_12
.LBB106_13:
	s_and_b32 s20, s30, 3
	s_cmp_eq_u32 s20, 0
	s_cbranch_scc1 .LBB106_16
; %bb.14:
	s_mul_hi_i32 s19, s0, s26
	s_mul_i32 s18, s0, s26
	s_lshl_b64 s[18:19], s[18:19], 3
	s_add_u32 s18, s14, s18
	s_addc_u32 s19, s15, s19
	s_add_u32 s18, s18, s6
	s_addc_u32 s19, s19, s7
	;; [unrolled: 2-line block ×3, first 2 shown]
	s_add_u32 s18, s2, s18
	v_lshlrev_b32_e32 v2, 3, v0
	s_addc_u32 s19, s3, s19
	v_lshl_or_b32 v1, s26, 8, v2
	v_mov_b32_e32 v3, s19
	v_add_co_u32_e32 v2, vcc, s18, v2
	s_lshl_b64 s[18:19], s[0:1], 3
	v_add_u32_e32 v1, 0x2000, v1
	v_addc_co_u32_e32 v3, vcc, 0, v3, vcc
	v_mov_b32_e32 v4, s19
.LBB106_15:                             ; =>This Inner Loop Header: Depth=1
	global_load_dwordx2 v[6:7], v[2:3], off
	v_add_co_u32_e32 v2, vcc, s18, v2
	s_add_i32 s20, s20, -1
	v_addc_co_u32_e32 v3, vcc, v3, v4, vcc
	s_cmp_lg_u32 s20, 0
	s_waitcnt vmcnt(0)
	v_mul_f64 v[6:7], v[6:7], s[12:13]
	ds_write_b64 v1, v[6:7]
	v_add_u32_e32 v1, 0x100, v1
	s_cbranch_scc1 .LBB106_15
.LBB106_16:
	s_or_b64 exec, exec, s[16:17]
	s_cmpk_eq_i32 s9, 0x6f
	s_cselect_b64 s[16:17], -1, 0
	s_cmpk_eq_i32 s8, 0x79
	s_cselect_b64 s[18:19], -1, 0
	s_cmpk_lg_i32 s8, 0x79
	s_cselect_b64 s[12:13], -1, 0
	s_and_b64 s[18:19], s[18:19], s[16:17]
	s_andn2_b64 vcc, exec, s[18:19]
	s_mov_b64 s[18:19], -1
	s_waitcnt lgkmcnt(0)
	; wave barrier
	s_waitcnt lgkmcnt(0)
	s_cbranch_vccz .LBB106_80
; %bb.17:
	s_cmpk_lg_i32 s8, 0x7a
	s_cselect_b64 s[8:9], -1, 0
	s_xor_b64 s[16:17], s[16:17], -1
	s_or_b64 s[16:17], s[8:9], s[16:17]
	s_cmp_gt_i32 s30, 3
	s_cselect_b64 s[8:9], -1, 0
	s_and_b64 vcc, exec, s[16:17]
	s_cbranch_vccz .LBB106_59
; %bb.18:
	s_andn2_b64 vcc, exec, s[12:13]
	s_mov_b64 s[12:13], -1
	s_cbranch_vccnz .LBB106_38
; %bb.19:
	s_andn2_b64 vcc, exec, s[8:9]
	s_mov_b32 s13, 0
	s_cbranch_vccnz .LBB106_26
; %bb.20:
	v_mov_b32_e32 v1, 0x2000
	v_lshl_or_b32 v1, v0, 3, v1
	s_mov_b32 s1, 0
	s_mov_b32 s12, 0
.LBB106_21:                             ; =>This Loop Header: Depth=1
                                        ;     Child Loop BB106_23 Depth 2
	s_lshl_b32 s13, s12, 5
	s_lshl_b32 s16, s12, 8
	v_or_b32_e32 v2, s13, v0
	s_or_b32 s13, s13, 32
	v_lshlrev_b32_e32 v10, 3, v2
	v_or_b32_e32 v2, s13, v0
	v_lshl_or_b32 v12, v0, 3, s16
	v_lshlrev_b32_e32 v11, 3, v2
	v_add_u32_e32 v2, 0x2000, v12
	ds_read_b64 v[8:9], v10 offset:8192
	ds_read_b64 v[6:7], v11 offset:8192
	ds_read2_b64 v[2:5], v2 offset0:64 offset1:96
	s_cmp_eq_u32 s12, 0
	s_cbranch_scc1 .LBB106_24
; %bb.22:                               ;   in Loop: Header=BB106_21 Depth=1
	s_mov_b32 s16, 0
	v_mov_b32_e32 v13, v1
	s_mov_b32 s17, s1
.LBB106_23:                             ;   Parent Loop BB106_21 Depth=1
                                        ; =>  This Inner Loop Header: Depth=2
	ds_read2_b64 v[14:17], v13 offset1:32
	v_mov_b32_e32 v50, s17
	ds_read2_b64 v[18:21], v13 offset0:64 offset1:96
	ds_read_b128 v[22:25], v50
	ds_read_b128 v[26:29], v50 offset:16
	ds_read_b128 v[30:33], v50 offset:256
	;; [unrolled: 1-line block ×7, first 2 shown]
	s_add_i32 s16, s16, 4
	s_waitcnt lgkmcnt(7)
	v_fma_f64 v[8:9], -v[14:15], v[22:23], v[8:9]
	v_fma_f64 v[6:7], -v[14:15], v[24:25], v[6:7]
	s_waitcnt lgkmcnt(6)
	v_fma_f64 v[2:3], -v[14:15], v[26:27], v[2:3]
	v_fma_f64 v[4:5], -v[14:15], v[28:29], v[4:5]
	;; [unrolled: 3-line block ×4, first 2 shown]
	s_addk_i32 s17, 0x400
	s_waitcnt lgkmcnt(3)
	v_fma_f64 v[8:9], -v[18:19], v[38:39], v[8:9]
	v_fma_f64 v[6:7], -v[18:19], v[40:41], v[6:7]
	s_waitcnt lgkmcnt(2)
	v_fma_f64 v[2:3], -v[18:19], v[42:43], v[2:3]
	v_fma_f64 v[4:5], -v[18:19], v[44:45], v[4:5]
	v_add_u32_e32 v13, 0x400, v13
	s_cmp_ge_u32 s16, s12
	s_waitcnt lgkmcnt(1)
	v_fma_f64 v[8:9], -v[20:21], v[46:47], v[8:9]
	v_fma_f64 v[6:7], -v[20:21], v[48:49], v[6:7]
	s_waitcnt lgkmcnt(0)
	v_fma_f64 v[2:3], -v[20:21], v[50:51], v[2:3]
	v_fma_f64 v[4:5], -v[20:21], v[52:53], v[4:5]
	s_cbranch_scc0 .LBB106_23
.LBB106_24:                             ;   in Loop: Header=BB106_21 Depth=1
	s_mul_i32 s16, s12, 0x108
	v_add_u32_e32 v13, 0x2000, v10
	v_add_u32_e32 v14, 0x2200, v12
	;; [unrolled: 1-line block ×3, first 2 shown]
	v_mov_b32_e32 v12, s16
	ds_read_b128 v[16:19], v12
	ds_read_b128 v[20:23], v12 offset:16
	ds_read2_b64 v[24:27], v12 offset0:33 offset1:34
	ds_read_b128 v[28:31], v12 offset:528
	s_add_i32 s13, s13, s12
	s_lshl_b32 s13, s13, 3
	s_waitcnt lgkmcnt(3)
	v_div_scale_f64 v[32:33], s[16:17], v[16:17], v[16:17], v[8:9]
	v_rcp_f64_e32 v[34:35], v[32:33]
	v_div_scale_f64 v[36:37], vcc, v[8:9], v[16:17], v[8:9]
	v_mov_b32_e32 v15, s13
	v_fma_f64 v[38:39], -v[32:33], v[34:35], 1.0
	v_fmac_f64_e32 v[34:35], v[34:35], v[38:39]
	v_fma_f64 v[38:39], -v[32:33], v[34:35], 1.0
	v_fmac_f64_e32 v[34:35], v[34:35], v[38:39]
	v_mul_f64 v[38:39], v[36:37], v[34:35]
	v_fma_f64 v[32:33], -v[32:33], v[38:39], v[36:37]
	v_div_fmas_f64 v[32:33], v[32:33], v[34:35], v[38:39]
	v_div_fixup_f64 v[8:9], v[32:33], v[16:17], v[8:9]
	v_fma_f64 v[6:7], -v[8:9], v[18:19], v[6:7]
	s_waitcnt lgkmcnt(1)
	v_div_scale_f64 v[16:17], s[16:17], v[24:25], v[24:25], v[6:7]
	v_rcp_f64_e32 v[18:19], v[16:17]
	v_div_scale_f64 v[32:33], vcc, v[6:7], v[24:25], v[6:7]
	v_fma_f64 v[2:3], -v[8:9], v[20:21], v[2:3]
	v_fma_f64 v[34:35], -v[16:17], v[18:19], 1.0
	v_fmac_f64_e32 v[18:19], v[18:19], v[34:35]
	v_fma_f64 v[34:35], -v[16:17], v[18:19], 1.0
	v_fmac_f64_e32 v[18:19], v[18:19], v[34:35]
	v_mul_f64 v[34:35], v[32:33], v[18:19]
	v_fma_f64 v[16:17], -v[16:17], v[34:35], v[32:33]
	v_div_fmas_f64 v[16:17], v[16:17], v[18:19], v[34:35]
	v_div_fixup_f64 v[6:7], v[16:17], v[24:25], v[6:7]
	v_fma_f64 v[2:3], -v[6:7], v[26:27], v[2:3]
	s_waitcnt lgkmcnt(0)
	v_div_scale_f64 v[16:17], s[16:17], v[28:29], v[28:29], v[2:3]
	v_rcp_f64_e32 v[18:19], v[16:17]
	v_fma_f64 v[4:5], -v[8:9], v[22:23], v[4:5]
	v_add_u32_e32 v11, 0x2000, v11
	s_add_i32 s13, s12, 4
	v_fma_f64 v[20:21], -v[16:17], v[18:19], 1.0
	v_fmac_f64_e32 v[18:19], v[18:19], v[20:21]
	v_fma_f64 v[20:21], -v[16:17], v[18:19], 1.0
	v_fmac_f64_e32 v[18:19], v[18:19], v[20:21]
	v_div_scale_f64 v[20:21], vcc, v[2:3], v[28:29], v[2:3]
	v_mul_f64 v[24:25], v[20:21], v[18:19]
	v_fma_f64 v[16:17], -v[16:17], v[24:25], v[20:21]
	ds_read_b64 v[20:21], v15 offset:24
	s_nop 0
	v_div_fmas_f64 v[16:17], v[16:17], v[18:19], v[24:25]
	v_div_fixup_f64 v[2:3], v[16:17], v[28:29], v[2:3]
	ds_read_b64 v[16:17], v12 offset:792
	ds_write_b64 v13, v[8:9]
	ds_write_b64 v11, v[6:7]
	ds_write_b64 v14, v[2:3]
	s_waitcnt lgkmcnt(4)
	v_fma_f64 v[4:5], -v[6:7], v[20:21], v[4:5]
	v_fma_f64 v[4:5], -v[2:3], v[30:31], v[4:5]
	s_add_i32 s12, s12, 7
	s_waitcnt lgkmcnt(3)
	v_div_scale_f64 v[18:19], s[16:17], v[16:17], v[16:17], v[4:5]
	v_rcp_f64_e32 v[20:21], v[18:19]
	s_add_i32 s1, s1, 32
	s_cmp_ge_i32 s12, s31
	v_fma_f64 v[2:3], -v[18:19], v[20:21], 1.0
	v_fmac_f64_e32 v[20:21], v[20:21], v[2:3]
	v_fma_f64 v[2:3], -v[18:19], v[20:21], 1.0
	v_fmac_f64_e32 v[20:21], v[20:21], v[2:3]
	v_div_scale_f64 v[2:3], vcc, v[4:5], v[16:17], v[4:5]
	v_mul_f64 v[6:7], v[2:3], v[20:21]
	v_fma_f64 v[2:3], -v[18:19], v[6:7], v[2:3]
	s_nop 1
	v_div_fmas_f64 v[2:3], v[2:3], v[20:21], v[6:7]
	v_div_fixup_f64 v[2:3], v[2:3], v[16:17], v[4:5]
	ds_write_b64 v10, v[2:3]
	s_cbranch_scc1 .LBB106_26
; %bb.25:                               ;   in Loop: Header=BB106_21 Depth=1
	s_mov_b32 s12, s13
	s_branch .LBB106_21
.LBB106_26:
	s_cmp_ge_i32 s13, s31
	s_cbranch_scc1 .LBB106_37
; %bb.27:
	v_mov_b32_e32 v1, 0x2000
	s_add_i32 s1, s13, -1
	v_lshl_or_b32 v1, v0, 3, v1
	s_lshl_b32 s12, s13, 3
	s_mov_b32 s16, 0
	v_lshlrev_b32_e32 v4, 3, v0
	s_mov_b32 s17, s13
	s_branch .LBB106_29
.LBB106_28:                             ;   in Loop: Header=BB106_29 Depth=1
	s_mul_i32 s18, s13, 0x108
	v_mov_b32_e32 v6, s18
	ds_read_b64 v[6:7], v6
	v_add_u32_e32 v5, 0x2000, v5
	s_add_i32 s13, s13, 1
	s_add_i32 s16, s16, 1
	;; [unrolled: 1-line block ×3, first 2 shown]
	s_waitcnt lgkmcnt(0)
	v_div_scale_f64 v[8:9], s[18:19], v[6:7], v[6:7], v[2:3]
	v_rcp_f64_e32 v[10:11], v[8:9]
	v_div_scale_f64 v[12:13], vcc, v[2:3], v[6:7], v[2:3]
	s_cmp_ge_i32 s13, s31
	v_fma_f64 v[14:15], -v[8:9], v[10:11], 1.0
	v_fmac_f64_e32 v[10:11], v[10:11], v[14:15]
	v_fma_f64 v[14:15], -v[8:9], v[10:11], 1.0
	v_fmac_f64_e32 v[10:11], v[10:11], v[14:15]
	v_mul_f64 v[14:15], v[12:13], v[10:11]
	v_fma_f64 v[8:9], -v[8:9], v[14:15], v[12:13]
	v_div_fmas_f64 v[8:9], v[8:9], v[10:11], v[14:15]
	v_div_fixup_f64 v[2:3], v[8:9], v[6:7], v[2:3]
	ds_write_b64 v5, v[2:3]
	v_add_u16_e64 v2, s17, 1
	v_readfirstlane_b32 s17, v2
	s_cbranch_scc1 .LBB106_37
.LBB106_29:                             ; =>This Loop Header: Depth=1
                                        ;     Child Loop BB106_32 Depth 2
                                        ;     Child Loop BB106_36 Depth 2
	v_lshl_or_b32 v5, s13, 8, v4
	ds_read_b64 v[2:3], v5 offset:8192
	s_cmp_eq_u32 s13, 0
	s_cbranch_scc1 .LBB106_28
; %bb.30:                               ;   in Loop: Header=BB106_29 Depth=1
	s_add_i32 s18, s1, s16
	s_cmp_lt_u32 s18, 7
	s_cbranch_scc1 .LBB106_34
; %bb.31:                               ;   in Loop: Header=BB106_29 Depth=1
	s_and_b32 s18, s13, -8
	s_mov_b32 s19, 0
	s_mov_b32 s20, s12
	v_mov_b32_e32 v6, v1
.LBB106_32:                             ;   Parent Loop BB106_29 Depth=1
                                        ; =>  This Inner Loop Header: Depth=2
	ds_read2_b64 v[8:11], v6 offset1:32
	v_mov_b32_e32 v7, s20
	ds_read2_b64 v[12:15], v6 offset0:64 offset1:96
	ds_read2_b64 v[16:19], v6 offset0:128 offset1:160
	;; [unrolled: 1-line block ×3, first 2 shown]
	ds_read2_b64 v[24:27], v7 offset1:32
	ds_read2_b64 v[28:31], v7 offset0:64 offset1:96
	ds_read2_b64 v[32:35], v7 offset0:128 offset1:160
	;; [unrolled: 1-line block ×3, first 2 shown]
	s_add_i32 s19, s19, 8
	s_waitcnt lgkmcnt(3)
	v_fma_f64 v[2:3], -v[8:9], v[24:25], v[2:3]
	v_fma_f64 v[2:3], -v[10:11], v[26:27], v[2:3]
	s_waitcnt lgkmcnt(2)
	v_fma_f64 v[2:3], -v[12:13], v[28:29], v[2:3]
	v_fma_f64 v[2:3], -v[14:15], v[30:31], v[2:3]
	;; [unrolled: 3-line block ×3, first 2 shown]
	s_addk_i32 s20, 0x800
	s_waitcnt lgkmcnt(0)
	v_fma_f64 v[2:3], -v[20:21], v[36:37], v[2:3]
	v_add_u32_e32 v6, 0x800, v6
	s_cmp_eq_u32 s18, s19
	v_fma_f64 v[2:3], -v[22:23], v[38:39], v[2:3]
	s_cbranch_scc0 .LBB106_32
; %bb.33:                               ;   in Loop: Header=BB106_29 Depth=1
	s_and_b32 s19, s13, 7
	s_cmp_eq_u32 s19, 0
	s_cbranch_scc0 .LBB106_35
	s_branch .LBB106_28
.LBB106_34:                             ;   in Loop: Header=BB106_29 Depth=1
	s_mov_b32 s18, 0
	s_and_b32 s19, s13, 7
	s_cmp_eq_u32 s19, 0
	s_cbranch_scc1 .LBB106_28
.LBB106_35:                             ;   in Loop: Header=BB106_29 Depth=1
	s_and_b32 s19, s17, 7
	s_lshl_b32 s18, s18, 8
.LBB106_36:                             ;   Parent Loop BB106_29 Depth=1
                                        ; =>  This Inner Loop Header: Depth=2
	s_add_i32 s20, s12, s18
	v_add_u32_e32 v6, s18, v1
	v_mov_b32_e32 v8, s20
	ds_read_b64 v[6:7], v6
	ds_read_b64 v[8:9], v8
	s_addk_i32 s18, 0x100
	s_add_i32 s19, s19, -1
	s_cmp_lg_u32 s19, 0
	s_waitcnt lgkmcnt(0)
	v_fma_f64 v[2:3], -v[6:7], v[8:9], v[2:3]
	s_cbranch_scc1 .LBB106_36
	s_branch .LBB106_28
.LBB106_37:
	s_mov_b64 s[12:13], 0
.LBB106_38:
	s_and_b64 vcc, exec, s[12:13]
	s_cbranch_vccz .LBB106_58
; %bb.39:
	s_andn2_b64 vcc, exec, s[8:9]
	s_mov_b32 s13, s33
	s_cbranch_vccnz .LBB106_45
; %bb.40:
	v_lshlrev_b32_e32 v1, 3, v0
	v_lshl_or_b32 v2, s31, 8, v1
	s_mul_i32 s1, s31, 0x108
	v_add_u32_e32 v10, 0x1c00, v2
	s_addk_i32 s1, 0xfbe0
	s_mov_b32 s12, s33
.LBB106_41:                             ; =>This Loop Header: Depth=1
                                        ;     Child Loop BB106_42 Depth 2
	s_lshl_b32 s18, s12, 5
	s_add_i32 s19, s12, -1
	v_or_b32_e32 v2, s18, v0
	s_lshl_b32 s17, s19, 5
	v_lshlrev_b32_e32 v11, 3, v2
	v_or_b32_e32 v2, s17, v0
	s_sub_i32 s13, s18, 64
	v_lshlrev_b32_e32 v12, 3, v2
	v_or_b32_e32 v2, s13, v0
	s_add_i32 s16, s12, -3
	v_lshlrev_b32_e32 v13, 3, v2
	v_lshl_or_b32 v14, s16, 8, v1
	ds_read_b64 v[8:9], v11 offset:8192
	ds_read_b64 v[6:7], v12 offset:8192
	;; [unrolled: 1-line block ×4, first 2 shown]
	s_cmp_le_i32 s33, s12
	s_mov_b32 s20, s1
	v_mov_b32_e32 v15, v10
	s_mov_b32 s21, s33
	s_cbranch_scc1 .LBB106_43
.LBB106_42:                             ;   Parent Loop BB106_41 Depth=1
                                        ; =>  This Inner Loop Header: Depth=2
	ds_read2_b64 v[16:19], v15 offset0:64 offset1:96
	v_mov_b32_e32 v52, s20
	ds_read2_b64 v[20:23], v15 offset1:32
	ds_read2_b64 v[24:27], v52 offset0:98 offset1:99
	ds_read2_b64 v[28:31], v52 offset0:96 offset1:97
	;; [unrolled: 1-line block ×7, first 2 shown]
	ds_read2_b64 v[52:55], v52 offset1:1
	s_add_i32 s21, s21, -4
	s_waitcnt lgkmcnt(7)
	v_fma_f64 v[8:9], -v[18:19], v[26:27], v[8:9]
	v_fma_f64 v[6:7], -v[18:19], v[24:25], v[6:7]
	s_waitcnt lgkmcnt(6)
	v_fma_f64 v[4:5], -v[18:19], v[30:31], v[4:5]
	v_fma_f64 v[2:3], -v[18:19], v[28:29], v[2:3]
	;; [unrolled: 3-line block ×4, first 2 shown]
	s_addk_i32 s20, 0xfc00
	s_waitcnt lgkmcnt(3)
	v_fma_f64 v[8:9], -v[22:23], v[42:43], v[8:9]
	v_fma_f64 v[6:7], -v[22:23], v[40:41], v[6:7]
	s_waitcnt lgkmcnt(2)
	v_fma_f64 v[4:5], -v[22:23], v[46:47], v[4:5]
	v_fma_f64 v[2:3], -v[22:23], v[44:45], v[2:3]
	v_add_u32_e32 v15, 0xfffffc00, v15
	s_cmp_le_i32 s21, s12
	s_waitcnt lgkmcnt(1)
	v_fma_f64 v[8:9], -v[20:21], v[50:51], v[8:9]
	v_fma_f64 v[6:7], -v[20:21], v[48:49], v[6:7]
	s_waitcnt lgkmcnt(0)
	v_fma_f64 v[4:5], -v[20:21], v[54:55], v[4:5]
	v_fma_f64 v[2:3], -v[20:21], v[52:53], v[2:3]
	s_cbranch_scc0 .LBB106_42
.LBB106_43:                             ;   in Loop: Header=BB106_41 Depth=1
	s_add_i32 s19, s18, s19
	s_lshl_b32 s19, s19, 3
	v_add_u32_e32 v15, 0x2000, v11
	v_add_u32_e32 v11, 0x2000, v14
	v_mov_b32_e32 v14, s19
	ds_read2_b64 v[16:19], v14 offset1:1
	s_mul_i32 s22, s12, 0x108
	s_add_i32 s19, s22, 0xfffffef8
	v_mov_b32_e32 v14, s19
	ds_read_b64 v[20:21], v14
	s_waitcnt lgkmcnt(1)
	v_div_scale_f64 v[22:23], s[20:21], v[18:19], v[18:19], v[8:9]
	v_rcp_f64_e32 v[24:25], v[22:23]
	v_div_scale_f64 v[26:27], vcc, v[8:9], v[18:19], v[8:9]
	s_add_i32 s18, s18, s16
	v_fma_f64 v[28:29], -v[22:23], v[24:25], 1.0
	v_fmac_f64_e32 v[24:25], v[24:25], v[28:29]
	v_fma_f64 v[28:29], -v[22:23], v[24:25], 1.0
	v_fmac_f64_e32 v[24:25], v[24:25], v[28:29]
	v_mul_f64 v[28:29], v[26:27], v[24:25]
	v_fma_f64 v[22:23], -v[22:23], v[28:29], v[26:27]
	v_div_fmas_f64 v[22:23], v[22:23], v[24:25], v[28:29]
	v_div_fixup_f64 v[22:23], v[22:23], v[18:19], v[8:9]
	v_fma_f64 v[24:25], -v[22:23], v[16:17], v[6:7]
	s_waitcnt lgkmcnt(0)
	v_div_scale_f64 v[6:7], s[20:21], v[20:21], v[20:21], v[24:25]
	v_rcp_f64_e32 v[26:27], v[6:7]
	s_lshl_b32 s18, s18, 3
	s_add_i32 s17, s17, s16
	s_lshl_b32 s17, s17, 3
	v_fma_f64 v[8:9], -v[6:7], v[26:27], 1.0
	v_fmac_f64_e32 v[26:27], v[26:27], v[8:9]
	v_fma_f64 v[8:9], -v[6:7], v[26:27], 1.0
	v_fmac_f64_e32 v[26:27], v[26:27], v[8:9]
	v_div_scale_f64 v[8:9], vcc, v[24:25], v[20:21], v[24:25]
	v_mul_f64 v[28:29], v[8:9], v[26:27]
	v_fma_f64 v[30:31], -v[6:7], v[28:29], v[8:9]
	v_mov_b32_e32 v6, s18
	v_mov_b32_e32 v14, s17
	ds_read2_b64 v[6:9], v6 offset1:1
	ds_read2_b64 v[16:19], v14 offset1:1
	s_add_i32 s13, s13, s16
	v_div_fmas_f64 v[26:27], v[30:31], v[26:27], v[28:29]
	s_lshl_b32 s13, s13, 3
	v_div_fixup_f64 v[24:25], v[26:27], v[20:21], v[24:25]
	s_waitcnt lgkmcnt(1)
	v_fma_f64 v[4:5], -v[22:23], v[8:9], v[4:5]
	v_mov_b32_e32 v8, s13
	s_waitcnt lgkmcnt(0)
	v_fma_f64 v[4:5], -v[24:25], v[18:19], v[4:5]
	ds_read2_b64 v[18:21], v8 offset1:1
	s_add_i32 s13, s22, 0xfffffce8
	v_mov_b32_e32 v8, s13
	ds_read_b64 v[8:9], v8
	v_fma_f64 v[2:3], -v[22:23], v[6:7], v[2:3]
	s_waitcnt lgkmcnt(1)
	v_div_scale_f64 v[26:27], s[16:17], v[20:21], v[20:21], v[4:5]
	v_rcp_f64_e32 v[28:29], v[26:27]
	v_fma_f64 v[2:3], -v[24:25], v[16:17], v[2:3]
	v_add_u32_e32 v12, 0x2000, v12
	v_add_u32_e32 v13, 0x2000, v13
	v_fma_f64 v[30:31], -v[26:27], v[28:29], 1.0
	v_fmac_f64_e32 v[28:29], v[28:29], v[30:31]
	v_fma_f64 v[30:31], -v[26:27], v[28:29], 1.0
	v_fmac_f64_e32 v[28:29], v[28:29], v[30:31]
	v_div_scale_f64 v[30:31], vcc, v[4:5], v[20:21], v[4:5]
	v_mul_f64 v[32:33], v[30:31], v[28:29]
	v_fma_f64 v[26:27], -v[26:27], v[32:33], v[30:31]
	s_add_i32 s13, s12, -4
	s_nop 0
	v_div_fmas_f64 v[26:27], v[26:27], v[28:29], v[32:33]
	v_div_fixup_f64 v[4:5], v[26:27], v[20:21], v[4:5]
	v_fma_f64 v[2:3], -v[4:5], v[18:19], v[2:3]
	s_waitcnt lgkmcnt(0)
	v_div_scale_f64 v[6:7], s[16:17], v[8:9], v[8:9], v[2:3]
	v_rcp_f64_e32 v[16:17], v[6:7]
	ds_write_b64 v15, v[22:23]
	ds_write_b64 v12, v[24:25]
	;; [unrolled: 1-line block ×3, first 2 shown]
	s_sub_i32 s1, s1, 32
	s_cmp_lt_i32 s12, 7
	v_fma_f64 v[4:5], -v[6:7], v[16:17], 1.0
	v_fmac_f64_e32 v[16:17], v[16:17], v[4:5]
	v_fma_f64 v[4:5], -v[6:7], v[16:17], 1.0
	v_fmac_f64_e32 v[16:17], v[16:17], v[4:5]
	v_div_scale_f64 v[4:5], vcc, v[2:3], v[8:9], v[2:3]
	v_mul_f64 v[12:13], v[4:5], v[16:17]
	v_fma_f64 v[4:5], -v[6:7], v[12:13], v[4:5]
	s_nop 1
	v_div_fmas_f64 v[4:5], v[4:5], v[16:17], v[12:13]
	v_div_fixup_f64 v[2:3], v[4:5], v[8:9], v[2:3]
	ds_write_b64 v11, v[2:3]
	s_cbranch_scc1 .LBB106_45
; %bb.44:                               ;   in Loop: Header=BB106_41 Depth=1
	s_mov_b32 s12, s13
	s_branch .LBB106_41
.LBB106_45:
	s_cmp_lt_i32 s13, 0
	s_cbranch_scc1 .LBB106_58
; %bb.46:
	s_bitcmp1_b32 s13, 0
	s_cselect_b64 s[16:17], -1, 0
	s_and_b64 vcc, exec, s[16:17]
	s_mov_b32 s1, s13
	s_cbranch_vccnz .LBB106_51
; %bb.47:
	v_lshlrev_b32_e32 v1, 3, v0
	v_lshl_or_b32 v1, s13, 8, v1
	ds_read_b64 v[2:3], v1 offset:8192
	s_cmp_le_i32 s33, s13
	s_cbranch_scc1 .LBB106_50
; %bb.48:
	s_lshl_b32 s12, s31, 8
	s_lshl_b32 s1, s13, 3
	s_add_i32 s1, s12, s1
	v_lshl_or_b32 v4, v0, 3, s12
	s_addk_i32 s1, 0xff00
	v_add_u32_e32 v4, 0x1f00, v4
	s_mov_b32 s12, s33
.LBB106_49:                             ; =>This Inner Loop Header: Depth=1
	v_mov_b32_e32 v5, s1
	ds_read_b64 v[6:7], v4
	ds_read_b64 v[8:9], v5
	s_add_i32 s12, s12, -1
	s_addk_i32 s1, 0xff00
	v_add_u32_e32 v4, 0xffffff00, v4
	s_cmp_gt_i32 s12, s13
	s_waitcnt lgkmcnt(0)
	v_fma_f64 v[2:3], -v[6:7], v[8:9], v[2:3]
	s_cbranch_scc1 .LBB106_49
.LBB106_50:
	s_mul_i32 s1, s13, 0x108
	v_mov_b32_e32 v4, s1
	ds_read_b64 v[4:5], v4
	v_add_u32_e32 v1, 0x2000, v1
	s_add_i32 s1, s13, -1
	s_waitcnt lgkmcnt(0)
	v_div_scale_f64 v[6:7], s[16:17], v[4:5], v[4:5], v[2:3]
	v_rcp_f64_e32 v[8:9], v[6:7]
	v_div_scale_f64 v[10:11], vcc, v[2:3], v[4:5], v[2:3]
	v_fma_f64 v[12:13], -v[6:7], v[8:9], 1.0
	v_fmac_f64_e32 v[8:9], v[8:9], v[12:13]
	v_fma_f64 v[12:13], -v[6:7], v[8:9], 1.0
	v_fmac_f64_e32 v[8:9], v[8:9], v[12:13]
	v_mul_f64 v[12:13], v[10:11], v[8:9]
	v_fma_f64 v[6:7], -v[6:7], v[12:13], v[10:11]
	v_div_fmas_f64 v[6:7], v[6:7], v[8:9], v[12:13]
	v_div_fixup_f64 v[2:3], v[6:7], v[4:5], v[2:3]
	ds_write_b64 v1, v[2:3]
.LBB106_51:
	s_cmp_eq_u32 s13, 0
	s_cbranch_scc1 .LBB106_58
; %bb.52:
	s_lshl_b32 s12, s31, 8
	s_lshl_b32 s13, s1, 3
	v_lshl_or_b32 v1, v0, 3, s12
	s_add_i32 s13, s12, s13
	v_add_u32_e32 v1, 0x1f00, v1
	s_add_i32 s12, s13, 0xffffff00
	s_addk_i32 s13, 0xfef8
	v_lshlrev_b32_e32 v6, 3, v0
	s_branch .LBB106_54
.LBB106_53:                             ;   in Loop: Header=BB106_54 Depth=1
	s_addk_i32 s16, 0xfef8
	v_mov_b32_e32 v5, s16
	ds_read_b64 v[8:9], v5
	s_add_i32 s18, s1, -2
	s_add_i32 s12, s12, -16
	;; [unrolled: 1-line block ×3, first 2 shown]
	v_add_u32_e32 v4, 0x2000, v7
	s_waitcnt lgkmcnt(0)
	v_div_scale_f64 v[10:11], s[16:17], v[8:9], v[8:9], v[2:3]
	v_rcp_f64_e32 v[12:13], v[10:11]
	v_div_scale_f64 v[14:15], vcc, v[2:3], v[8:9], v[2:3]
	s_cmp_lt_i32 s1, 2
	v_fma_f64 v[16:17], -v[10:11], v[12:13], 1.0
	v_fmac_f64_e32 v[12:13], v[12:13], v[16:17]
	v_fma_f64 v[16:17], -v[10:11], v[12:13], 1.0
	v_fmac_f64_e32 v[12:13], v[12:13], v[16:17]
	v_mul_f64 v[16:17], v[14:15], v[12:13]
	v_fma_f64 v[10:11], -v[10:11], v[16:17], v[14:15]
	v_div_fmas_f64 v[10:11], v[10:11], v[12:13], v[16:17]
	v_div_fixup_f64 v[2:3], v[10:11], v[8:9], v[2:3]
	s_mov_b32 s1, s18
	ds_write_b64 v4, v[2:3]
	s_cbranch_scc1 .LBB106_58
.LBB106_54:                             ; =>This Loop Header: Depth=1
                                        ;     Child Loop BB106_55 Depth 2
                                        ;     Child Loop BB106_57 Depth 2
	v_lshl_or_b32 v2, s1, 8, v6
	ds_read_b64 v[4:5], v2 offset:8192
	s_cmp_le_i32 s33, s1
	s_mov_b32 s16, s12
	v_mov_b32_e32 v3, v1
	s_mov_b32 s17, s33
	s_cbranch_scc1 .LBB106_56
.LBB106_55:                             ;   Parent Loop BB106_54 Depth=1
                                        ; =>  This Inner Loop Header: Depth=2
	v_mov_b32_e32 v7, s16
	ds_read_b64 v[8:9], v3
	ds_read_b64 v[10:11], v7
	s_add_i32 s17, s17, -1
	s_addk_i32 s16, 0xff00
	v_add_u32_e32 v3, 0xffffff00, v3
	s_cmp_le_i32 s17, s1
	s_waitcnt lgkmcnt(0)
	v_fma_f64 v[4:5], -v[8:9], v[10:11], v[4:5]
	s_cbranch_scc0 .LBB106_55
.LBB106_56:                             ;   in Loop: Header=BB106_54 Depth=1
	s_mul_i32 s16, s1, 0x108
	v_add_u32_e32 v8, 0x2000, v2
	v_mov_b32_e32 v2, s16
	ds_read_b64 v[10:11], v2
	s_lshl_b32 s17, s1, 8
	s_addk_i32 s17, 0xff00
	v_lshl_or_b32 v7, v0, 3, s17
	ds_read_b64 v[2:3], v7 offset:8192
	s_waitcnt lgkmcnt(1)
	v_div_scale_f64 v[12:13], s[18:19], v[10:11], v[10:11], v[4:5]
	v_rcp_f64_e32 v[14:15], v[12:13]
	v_div_scale_f64 v[16:17], vcc, v[4:5], v[10:11], v[4:5]
	s_cmp_lt_i32 s33, s1
	v_fma_f64 v[18:19], -v[12:13], v[14:15], 1.0
	v_fmac_f64_e32 v[14:15], v[14:15], v[18:19]
	v_fma_f64 v[18:19], -v[12:13], v[14:15], 1.0
	v_fmac_f64_e32 v[14:15], v[14:15], v[18:19]
	v_mul_f64 v[18:19], v[16:17], v[14:15]
	v_fma_f64 v[12:13], -v[12:13], v[18:19], v[16:17]
	v_div_fmas_f64 v[12:13], v[12:13], v[14:15], v[18:19]
	v_div_fixup_f64 v[4:5], v[12:13], v[10:11], v[4:5]
	ds_write_b64 v8, v[4:5]
	v_mov_b32_e32 v4, v1
	s_mov_b32 s17, s13
	s_mov_b32 s18, s31
	s_cbranch_scc1 .LBB106_53
.LBB106_57:                             ;   Parent Loop BB106_54 Depth=1
                                        ; =>  This Inner Loop Header: Depth=2
	v_mov_b32_e32 v5, s17
	ds_read_b64 v[8:9], v4
	ds_read_b64 v[10:11], v5
	s_add_i32 s18, s18, -1
	s_addk_i32 s17, 0xff00
	v_add_u32_e32 v4, 0xffffff00, v4
	s_cmp_gt_i32 s18, s1
	s_waitcnt lgkmcnt(0)
	v_fma_f64 v[2:3], -v[8:9], v[10:11], v[2:3]
	s_cbranch_scc1 .LBB106_57
	s_branch .LBB106_53
.LBB106_58:
	s_mov_b64 s[18:19], 0
.LBB106_59:
	s_andn2_b64 vcc, exec, s[18:19]
	s_cbranch_vccnz .LBB106_79
; %bb.60:
	s_andn2_b64 vcc, exec, s[8:9]
	s_mov_b32 s9, s33
	s_cbranch_vccnz .LBB106_66
; %bb.61:
	v_lshlrev_b32_e32 v1, 3, v0
	s_mul_i32 s1, s31, 0x108
	v_lshl_or_b32 v2, s31, 8, v1
	s_addk_i32 s1, 0xfbe0
	v_add_u32_e32 v10, 0x1c00, v2
	s_mov_b32 s8, s33
.LBB106_62:                             ; =>This Loop Header: Depth=1
                                        ;     Child Loop BB106_63 Depth 2
	s_lshl_b32 s12, s8, 5
	v_or_b32_e32 v2, s12, v0
	s_sub_i32 s13, s12, 64
	v_lshlrev_b32_e32 v11, 3, v2
	v_or_b32_e32 v2, s13, v0
	s_addk_i32 s12, 0xffa0
	s_add_i32 s9, s8, -1
	v_lshlrev_b32_e32 v13, 3, v2
	v_or_b32_e32 v2, s12, v0
	v_lshl_or_b32 v12, s9, 8, v1
	v_lshlrev_b32_e32 v14, 3, v2
	ds_read_b64 v[8:9], v11 offset:8192
	ds_read_b64 v[6:7], v12 offset:8192
	;; [unrolled: 1-line block ×4, first 2 shown]
	s_cmp_le_i32 s33, s8
	v_mov_b32_e32 v15, v10
	s_mov_b32 s16, s1
	s_mov_b32 s17, s33
	s_cbranch_scc1 .LBB106_64
.LBB106_63:                             ;   Parent Loop BB106_62 Depth=1
                                        ; =>  This Inner Loop Header: Depth=2
	ds_read2_b64 v[16:19], v15 offset0:64 offset1:96
	v_mov_b32_e32 v52, s16
	ds_read2_b64 v[20:23], v15 offset1:32
	ds_read2_b64 v[24:27], v52 offset0:98 offset1:99
	ds_read2_b64 v[28:31], v52 offset0:96 offset1:97
	;; [unrolled: 1-line block ×7, first 2 shown]
	ds_read2_b64 v[52:55], v52 offset1:1
	s_add_i32 s17, s17, -4
	s_waitcnt lgkmcnt(7)
	v_fma_f64 v[8:9], -v[18:19], v[26:27], v[8:9]
	s_waitcnt lgkmcnt(5)
	v_fma_f64 v[6:7], -v[18:19], v[34:35], v[6:7]
	;; [unrolled: 2-line block ×4, first 2 shown]
	v_fma_f64 v[8:9], -v[16:17], v[24:25], v[8:9]
	v_fma_f64 v[6:7], -v[16:17], v[32:33], v[6:7]
	;; [unrolled: 1-line block ×4, first 2 shown]
	s_sub_i32 s16, s16, 32
	v_fma_f64 v[8:9], -v[22:23], v[30:31], v[8:9]
	v_fma_f64 v[6:7], -v[22:23], v[38:39], v[6:7]
	;; [unrolled: 1-line block ×3, first 2 shown]
	s_waitcnt lgkmcnt(0)
	v_fma_f64 v[2:3], -v[22:23], v[54:55], v[2:3]
	v_add_u32_e32 v15, 0xfffffc00, v15
	s_cmp_le_i32 s17, s8
	v_fma_f64 v[8:9], -v[20:21], v[28:29], v[8:9]
	v_fma_f64 v[6:7], -v[20:21], v[36:37], v[6:7]
	;; [unrolled: 1-line block ×4, first 2 shown]
	s_cbranch_scc0 .LBB106_63
.LBB106_64:                             ;   in Loop: Header=BB106_62 Depth=1
	s_mul_i32 s18, s8, 0x108
	v_add_u32_e32 v15, 0x2000, v11
	v_add_u32_e32 v11, 0x2000, v14
	v_mov_b32_e32 v14, s18
	ds_read_b64 v[20:21], v14
	s_add_i32 s16, s18, 0xfffffef8
	v_mov_b32_e32 v14, s16
	ds_read2_b64 v[16:19], v14 offset1:1
	s_add_i32 s13, s13, s8
	s_waitcnt lgkmcnt(1)
	v_div_scale_f64 v[22:23], s[16:17], v[20:21], v[20:21], v[8:9]
	v_rcp_f64_e32 v[24:25], v[22:23]
	v_div_scale_f64 v[26:27], vcc, v[8:9], v[20:21], v[8:9]
	s_lshl_b32 s13, s13, 3
	v_fma_f64 v[28:29], -v[22:23], v[24:25], 1.0
	v_fmac_f64_e32 v[24:25], v[24:25], v[28:29]
	v_fma_f64 v[28:29], -v[22:23], v[24:25], 1.0
	v_fmac_f64_e32 v[24:25], v[24:25], v[28:29]
	v_mul_f64 v[28:29], v[26:27], v[24:25]
	v_fma_f64 v[22:23], -v[22:23], v[28:29], v[26:27]
	v_div_fmas_f64 v[22:23], v[22:23], v[24:25], v[28:29]
	v_div_fixup_f64 v[24:25], v[22:23], v[20:21], v[8:9]
	s_waitcnt lgkmcnt(0)
	v_fma_f64 v[18:19], -v[24:25], v[18:19], v[6:7]
	v_div_scale_f64 v[6:7], s[16:17], v[16:17], v[16:17], v[18:19]
	v_rcp_f64_e32 v[20:21], v[6:7]
	v_div_scale_f64 v[8:9], vcc, v[18:19], v[16:17], v[18:19]
	s_add_i32 s12, s12, s9
	v_fma_f64 v[22:23], -v[6:7], v[20:21], 1.0
	v_fmac_f64_e32 v[20:21], v[20:21], v[22:23]
	v_fma_f64 v[22:23], -v[6:7], v[20:21], 1.0
	v_fmac_f64_e32 v[20:21], v[20:21], v[22:23]
	v_mul_f64 v[22:23], v[8:9], v[20:21]
	v_fma_f64 v[26:27], -v[6:7], v[22:23], v[8:9]
	v_mov_b32_e32 v6, s13
	s_add_i32 s13, s18, 0xfffffdf0
	v_mov_b32_e32 v7, s13
	ds_read_b64 v[28:29], v6
	ds_read2_b64 v[6:9], v7 offset1:1
	v_div_fmas_f64 v[20:21], v[26:27], v[20:21], v[22:23]
	v_div_fixup_f64 v[26:27], v[20:21], v[16:17], v[18:19]
	s_lshl_b32 s9, s12, 3
	s_waitcnt lgkmcnt(1)
	v_fma_f64 v[4:5], -v[24:25], v[28:29], v[4:5]
	s_waitcnt lgkmcnt(0)
	v_fma_f64 v[4:5], -v[26:27], v[8:9], v[4:5]
	v_div_scale_f64 v[8:9], s[16:17], v[6:7], v[6:7], v[4:5]
	v_rcp_f64_e32 v[28:29], v[8:9]
	v_mov_b32_e32 v14, s9
	s_add_i32 s9, s18, 0xfffffce8
	v_mov_b32_e32 v20, s9
	v_fma_f64 v[16:17], -v[8:9], v[28:29], 1.0
	v_fmac_f64_e32 v[28:29], v[28:29], v[16:17]
	v_fma_f64 v[16:17], -v[8:9], v[28:29], 1.0
	v_fmac_f64_e32 v[28:29], v[28:29], v[16:17]
	v_div_scale_f64 v[16:17], vcc, v[4:5], v[6:7], v[4:5]
	v_mul_f64 v[30:31], v[16:17], v[28:29]
	v_fma_f64 v[8:9], -v[8:9], v[30:31], v[16:17]
	ds_read2_b64 v[16:19], v14 offset1:1
	ds_read2_b64 v[20:23], v20 offset1:1
	v_div_fmas_f64 v[8:9], v[8:9], v[28:29], v[30:31]
	v_div_fixup_f64 v[4:5], v[8:9], v[6:7], v[4:5]
	v_add_u32_e32 v12, 0x2000, v12
	s_waitcnt lgkmcnt(1)
	v_fma_f64 v[2:3], -v[24:25], v[18:19], v[2:3]
	v_fma_f64 v[2:3], -v[26:27], v[16:17], v[2:3]
	s_waitcnt lgkmcnt(0)
	v_fma_f64 v[2:3], -v[4:5], v[22:23], v[2:3]
	v_div_scale_f64 v[6:7], s[12:13], v[20:21], v[20:21], v[2:3]
	v_rcp_f64_e32 v[8:9], v[6:7]
	v_add_u32_e32 v13, 0x2000, v13
	ds_write_b64 v15, v[24:25]
	ds_write_b64 v12, v[26:27]
	;; [unrolled: 1-line block ×3, first 2 shown]
	s_add_i32 s9, s8, -4
	v_fma_f64 v[4:5], -v[6:7], v[8:9], 1.0
	v_fmac_f64_e32 v[8:9], v[8:9], v[4:5]
	v_fma_f64 v[4:5], -v[6:7], v[8:9], 1.0
	v_fmac_f64_e32 v[8:9], v[8:9], v[4:5]
	v_div_scale_f64 v[4:5], vcc, v[2:3], v[20:21], v[2:3]
	v_mul_f64 v[12:13], v[4:5], v[8:9]
	v_fma_f64 v[4:5], -v[6:7], v[12:13], v[4:5]
	s_addk_i32 s1, 0xfc00
	s_nop 0
	v_div_fmas_f64 v[4:5], v[4:5], v[8:9], v[12:13]
	v_div_fixup_f64 v[2:3], v[4:5], v[20:21], v[2:3]
	s_cmp_lt_i32 s8, 7
	ds_write_b64 v11, v[2:3]
	s_cbranch_scc1 .LBB106_66
; %bb.65:                               ;   in Loop: Header=BB106_62 Depth=1
	s_mov_b32 s8, s9
	s_branch .LBB106_62
.LBB106_66:
	s_cmp_lt_i32 s9, 0
	s_cbranch_scc1 .LBB106_79
; %bb.67:
	s_bitcmp1_b32 s9, 0
	s_cselect_b64 s[12:13], -1, 0
	s_and_b64 vcc, exec, s[12:13]
	s_mov_b32 s1, s9
	s_cbranch_vccnz .LBB106_72
; %bb.68:
	v_lshlrev_b32_e32 v4, 3, v0
	v_lshl_or_b32 v1, s9, 8, v4
	ds_read_b64 v[2:3], v1 offset:8192
	s_cmp_le_i32 s33, s9
	s_cbranch_scc1 .LBB106_71
; %bb.69:
	s_lshl_b32 s1, s9, 8
	s_lshl_b32 s8, s31, 3
	s_add_i32 s1, s1, s8
	v_lshl_or_b32 v4, s31, 8, v4
	s_add_i32 s1, s1, -8
	v_add_u32_e32 v4, 0x1f00, v4
	s_mov_b32 s8, s33
.LBB106_70:                             ; =>This Inner Loop Header: Depth=1
	v_mov_b32_e32 v5, s1
	ds_read_b64 v[6:7], v4
	ds_read_b64 v[8:9], v5
	s_add_i32 s8, s8, -1
	s_add_i32 s1, s1, -8
	v_add_u32_e32 v4, 0xffffff00, v4
	s_cmp_gt_i32 s8, s9
	s_waitcnt lgkmcnt(0)
	v_fma_f64 v[2:3], -v[6:7], v[8:9], v[2:3]
	s_cbranch_scc1 .LBB106_70
.LBB106_71:
	s_mul_i32 s1, s9, 0x108
	v_mov_b32_e32 v4, s1
	ds_read_b64 v[4:5], v4
	v_add_u32_e32 v1, 0x2000, v1
	s_add_i32 s1, s9, -1
	s_waitcnt lgkmcnt(0)
	v_div_scale_f64 v[6:7], s[12:13], v[4:5], v[4:5], v[2:3]
	v_rcp_f64_e32 v[8:9], v[6:7]
	v_div_scale_f64 v[10:11], vcc, v[2:3], v[4:5], v[2:3]
	v_fma_f64 v[12:13], -v[6:7], v[8:9], 1.0
	v_fmac_f64_e32 v[8:9], v[8:9], v[12:13]
	v_fma_f64 v[12:13], -v[6:7], v[8:9], 1.0
	v_fmac_f64_e32 v[8:9], v[8:9], v[12:13]
	v_mul_f64 v[12:13], v[10:11], v[8:9]
	v_fma_f64 v[6:7], -v[6:7], v[12:13], v[10:11]
	v_div_fmas_f64 v[6:7], v[6:7], v[8:9], v[12:13]
	v_div_fixup_f64 v[2:3], v[6:7], v[4:5], v[2:3]
	ds_write_b64 v1, v[2:3]
.LBB106_72:
	s_cmp_eq_u32 s9, 0
	s_cbranch_scc1 .LBB106_79
; %bb.73:
	v_lshlrev_b32_e32 v1, 3, v0
	s_lshl_b32 s8, s1, 8
	s_lshl_b32 s9, s31, 3
	v_lshl_or_b32 v2, s31, 8, v1
	s_add_i32 s9, s8, s9
	v_add_u32_e32 v6, 0x1f00, v2
	s_add_i32 s8, s9, -8
	s_addk_i32 s9, 0xfef8
	s_branch .LBB106_75
.LBB106_74:                             ;   in Loop: Header=BB106_75 Depth=1
	s_addk_i32 s12, 0xfef8
	v_mov_b32_e32 v5, s12
	ds_read_b64 v[8:9], v5
	s_add_i32 s16, s1, -2
	s_addk_i32 s8, 0xfe00
	s_addk_i32 s9, 0xfe00
	v_add_u32_e32 v4, 0x2000, v7
	s_waitcnt lgkmcnt(0)
	v_div_scale_f64 v[10:11], s[12:13], v[8:9], v[8:9], v[2:3]
	v_rcp_f64_e32 v[12:13], v[10:11]
	v_div_scale_f64 v[14:15], vcc, v[2:3], v[8:9], v[2:3]
	s_cmp_lt_i32 s1, 2
	v_fma_f64 v[16:17], -v[10:11], v[12:13], 1.0
	v_fmac_f64_e32 v[12:13], v[12:13], v[16:17]
	v_fma_f64 v[16:17], -v[10:11], v[12:13], 1.0
	v_fmac_f64_e32 v[12:13], v[12:13], v[16:17]
	v_mul_f64 v[16:17], v[14:15], v[12:13]
	v_fma_f64 v[10:11], -v[10:11], v[16:17], v[14:15]
	v_div_fmas_f64 v[10:11], v[10:11], v[12:13], v[16:17]
	v_div_fixup_f64 v[2:3], v[10:11], v[8:9], v[2:3]
	s_mov_b32 s1, s16
	ds_write_b64 v4, v[2:3]
	s_cbranch_scc1 .LBB106_79
.LBB106_75:                             ; =>This Loop Header: Depth=1
                                        ;     Child Loop BB106_76 Depth 2
                                        ;     Child Loop BB106_78 Depth 2
	v_lshl_or_b32 v2, s1, 8, v1
	ds_read_b64 v[4:5], v2 offset:8192
	s_cmp_le_i32 s33, s1
	s_mov_b32 s12, s8
	v_mov_b32_e32 v3, v6
	s_mov_b32 s13, s33
	s_cbranch_scc1 .LBB106_77
.LBB106_76:                             ;   Parent Loop BB106_75 Depth=1
                                        ; =>  This Inner Loop Header: Depth=2
	v_mov_b32_e32 v7, s12
	ds_read_b64 v[8:9], v3
	ds_read_b64 v[10:11], v7
	s_add_i32 s13, s13, -1
	s_add_i32 s12, s12, -8
	v_add_u32_e32 v3, 0xffffff00, v3
	s_cmp_le_i32 s13, s1
	s_waitcnt lgkmcnt(0)
	v_fma_f64 v[4:5], -v[8:9], v[10:11], v[4:5]
	s_cbranch_scc0 .LBB106_76
.LBB106_77:                             ;   in Loop: Header=BB106_75 Depth=1
	s_mul_i32 s12, s1, 0x108
	v_add_u32_e32 v8, 0x2000, v2
	v_mov_b32_e32 v2, s12
	ds_read_b64 v[10:11], v2
	s_lshl_b32 s13, s1, 8
	s_addk_i32 s13, 0xff00
	v_lshl_or_b32 v7, v0, 3, s13
	ds_read_b64 v[2:3], v7 offset:8192
	s_waitcnt lgkmcnt(1)
	v_div_scale_f64 v[12:13], s[16:17], v[10:11], v[10:11], v[4:5]
	v_rcp_f64_e32 v[14:15], v[12:13]
	v_div_scale_f64 v[16:17], vcc, v[4:5], v[10:11], v[4:5]
	s_cmp_lt_i32 s33, s1
	v_fma_f64 v[18:19], -v[12:13], v[14:15], 1.0
	v_fmac_f64_e32 v[14:15], v[14:15], v[18:19]
	v_fma_f64 v[18:19], -v[12:13], v[14:15], 1.0
	v_fmac_f64_e32 v[14:15], v[14:15], v[18:19]
	v_mul_f64 v[18:19], v[16:17], v[14:15]
	v_fma_f64 v[12:13], -v[12:13], v[18:19], v[16:17]
	v_div_fmas_f64 v[12:13], v[12:13], v[14:15], v[18:19]
	v_div_fixup_f64 v[4:5], v[12:13], v[10:11], v[4:5]
	ds_write_b64 v8, v[4:5]
	v_mov_b32_e32 v4, v6
	s_mov_b32 s13, s9
	s_mov_b32 s16, s31
	s_cbranch_scc1 .LBB106_74
.LBB106_78:                             ;   Parent Loop BB106_75 Depth=1
                                        ; =>  This Inner Loop Header: Depth=2
	v_mov_b32_e32 v5, s13
	ds_read_b64 v[8:9], v4
	ds_read_b64 v[10:11], v5
	s_add_i32 s16, s16, -1
	s_add_i32 s13, s13, -8
	v_add_u32_e32 v4, 0xffffff00, v4
	s_cmp_gt_i32 s16, s1
	s_waitcnt lgkmcnt(0)
	v_fma_f64 v[2:3], -v[8:9], v[10:11], v[2:3]
	s_cbranch_scc1 .LBB106_78
	s_branch .LBB106_74
.LBB106_79:
	s_mov_b64 s[18:19], 0
.LBB106_80:
	s_andn2_b64 vcc, exec, s[18:19]
	s_cbranch_vccnz .LBB106_99
; %bb.81:
	s_cmp_lt_i32 s30, 4
	s_mov_b32 s9, 0
	s_cbranch_scc1 .LBB106_88
; %bb.82:
	v_mov_b32_e32 v1, 0x2000
	v_lshl_or_b32 v1, v0, 3, v1
	s_mov_b32 s1, 0
	s_mov_b32 s8, 0
.LBB106_83:                             ; =>This Loop Header: Depth=1
                                        ;     Child Loop BB106_85 Depth 2
	s_lshl_b32 s9, s8, 5
	v_or_b32_e32 v2, s9, v0
	s_or_b32 s13, s9, 32
	v_lshlrev_b32_e32 v10, 3, v2
	v_or_b32_e32 v2, s13, v0
	s_or_b32 s12, s9, 64
	v_lshlrev_b32_e32 v11, 3, v2
	;; [unrolled: 3-line block ×3, first 2 shown]
	v_or_b32_e32 v2, s9, v0
	v_lshlrev_b32_e32 v13, 3, v2
	ds_read_b64 v[8:9], v10 offset:8192
	ds_read_b64 v[6:7], v11 offset:8192
	;; [unrolled: 1-line block ×4, first 2 shown]
	s_cmp_eq_u32 s8, 0
	s_cbranch_scc1 .LBB106_86
; %bb.84:                               ;   in Loop: Header=BB106_83 Depth=1
	s_mov_b32 s16, 0
	s_mov_b32 s17, s1
	v_mov_b32_e32 v14, v1
.LBB106_85:                             ;   Parent Loop BB106_83 Depth=1
                                        ; =>  This Inner Loop Header: Depth=2
	ds_read2_b64 v[16:19], v14 offset1:32
	v_mov_b32_e32 v15, s17
	ds_read2_b64 v[20:23], v14 offset0:64 offset1:96
	ds_read_b128 v[24:27], v15
	ds_read_b128 v[28:31], v15 offset:16
	ds_read_b128 v[32:35], v15 offset:256
	ds_read_b128 v[36:39], v15 offset:272
	ds_read_b128 v[40:43], v15 offset:512
	ds_read_b128 v[44:47], v15 offset:528
	ds_read_b128 v[48:51], v15 offset:768
	ds_read_b128 v[52:55], v15 offset:784
	s_add_i32 s16, s16, 4
	s_waitcnt lgkmcnt(7)
	v_fma_f64 v[8:9], -v[16:17], v[24:25], v[8:9]
	s_waitcnt lgkmcnt(5)
	v_fma_f64 v[6:7], -v[16:17], v[32:33], v[6:7]
	;; [unrolled: 2-line block ×4, first 2 shown]
	v_fma_f64 v[8:9], -v[18:19], v[26:27], v[8:9]
	v_fma_f64 v[6:7], -v[18:19], v[34:35], v[6:7]
	;; [unrolled: 1-line block ×4, first 2 shown]
	s_add_i32 s17, s17, 32
	v_fma_f64 v[8:9], -v[20:21], v[28:29], v[8:9]
	v_fma_f64 v[6:7], -v[20:21], v[36:37], v[6:7]
	;; [unrolled: 1-line block ×3, first 2 shown]
	s_waitcnt lgkmcnt(0)
	v_fma_f64 v[2:3], -v[20:21], v[52:53], v[2:3]
	v_add_u32_e32 v14, 0x400, v14
	s_cmp_ge_u32 s16, s8
	v_fma_f64 v[8:9], -v[22:23], v[30:31], v[8:9]
	v_fma_f64 v[6:7], -v[22:23], v[38:39], v[6:7]
	v_fma_f64 v[4:5], -v[22:23], v[46:47], v[4:5]
	v_fma_f64 v[2:3], -v[22:23], v[54:55], v[2:3]
	s_cbranch_scc0 .LBB106_85
.LBB106_86:                             ;   in Loop: Header=BB106_83 Depth=1
	s_mul_i32 s16, s8, 0x108
	v_add_u32_e32 v14, 0x2000, v10
	v_add_u32_e32 v10, 0x2000, v13
	v_mov_b32_e32 v13, s16
	ds_read2_b64 v[16:19], v13 offset1:66
	s_add_i32 s13, s13, s8
	s_lshl_b32 s13, s13, 3
	v_mov_b32_e32 v13, s13
	s_add_i32 s12, s12, s8
	s_waitcnt lgkmcnt(0)
	v_div_scale_f64 v[20:21], s[16:17], v[16:17], v[16:17], v[8:9]
	v_rcp_f64_e32 v[22:23], v[20:21]
	v_div_scale_f64 v[24:25], vcc, v[8:9], v[16:17], v[8:9]
	s_lshl_b32 s12, s12, 3
	v_fma_f64 v[26:27], -v[20:21], v[22:23], 1.0
	v_fmac_f64_e32 v[22:23], v[22:23], v[26:27]
	v_fma_f64 v[26:27], -v[20:21], v[22:23], 1.0
	v_fmac_f64_e32 v[22:23], v[22:23], v[26:27]
	v_mul_f64 v[26:27], v[24:25], v[22:23]
	v_fma_f64 v[20:21], -v[20:21], v[26:27], v[24:25]
	v_div_fmas_f64 v[20:21], v[20:21], v[22:23], v[26:27]
	v_div_fixup_f64 v[8:9], v[20:21], v[16:17], v[8:9]
	ds_read_b128 v[20:23], v13
	v_mov_b32_e32 v13, s12
	ds_read_b128 v[24:27], v13
	s_add_i32 s9, s9, s8
	s_lshl_b32 s9, s9, 3
	s_waitcnt lgkmcnt(1)
	v_fma_f64 v[6:7], -v[8:9], v[20:21], v[6:7]
	v_div_scale_f64 v[16:17], s[12:13], v[22:23], v[22:23], v[6:7]
	v_rcp_f64_e32 v[20:21], v[16:17]
	s_waitcnt lgkmcnt(0)
	v_fma_f64 v[4:5], -v[8:9], v[24:25], v[4:5]
	v_mov_b32_e32 v13, s9
	v_add_u32_e32 v11, 0x2000, v11
	v_fma_f64 v[28:29], -v[16:17], v[20:21], 1.0
	v_fmac_f64_e32 v[20:21], v[20:21], v[28:29]
	v_fma_f64 v[28:29], -v[16:17], v[20:21], 1.0
	v_fmac_f64_e32 v[20:21], v[20:21], v[28:29]
	v_div_scale_f64 v[28:29], vcc, v[6:7], v[22:23], v[6:7]
	v_mul_f64 v[30:31], v[28:29], v[20:21]
	v_fma_f64 v[16:17], -v[16:17], v[30:31], v[28:29]
	v_add_u32_e32 v12, 0x2000, v12
	s_nop 0
	v_div_fmas_f64 v[16:17], v[16:17], v[20:21], v[30:31]
	v_div_fixup_f64 v[16:17], v[16:17], v[22:23], v[6:7]
	v_fma_f64 v[24:25], -v[16:17], v[26:27], v[4:5]
	v_div_scale_f64 v[4:5], s[12:13], v[18:19], v[18:19], v[24:25]
	v_rcp_f64_e32 v[26:27], v[4:5]
	s_add_i32 s9, s8, 4
	s_add_i32 s8, s8, 7
	s_addk_i32 s1, 0x400
	v_fma_f64 v[6:7], -v[4:5], v[26:27], 1.0
	v_fmac_f64_e32 v[26:27], v[26:27], v[6:7]
	v_fma_f64 v[6:7], -v[4:5], v[26:27], 1.0
	v_fmac_f64_e32 v[26:27], v[26:27], v[6:7]
	v_div_scale_f64 v[6:7], vcc, v[24:25], v[18:19], v[24:25]
	v_mul_f64 v[28:29], v[6:7], v[26:27]
	v_fma_f64 v[30:31], -v[4:5], v[28:29], v[6:7]
	ds_read_b128 v[4:7], v13
	ds_read_b128 v[20:23], v13 offset:16
	v_div_fmas_f64 v[26:27], v[30:31], v[26:27], v[28:29]
	v_div_fixup_f64 v[18:19], v[26:27], v[18:19], v[24:25]
	ds_write_b64 v14, v[8:9]
	ds_write_b64 v11, v[16:17]
	;; [unrolled: 1-line block ×3, first 2 shown]
	s_waitcnt lgkmcnt(4)
	v_fma_f64 v[2:3], -v[8:9], v[4:5], v[2:3]
	v_fma_f64 v[2:3], -v[16:17], v[6:7], v[2:3]
	s_waitcnt lgkmcnt(3)
	v_fma_f64 v[2:3], -v[18:19], v[20:21], v[2:3]
	v_div_scale_f64 v[4:5], s[12:13], v[22:23], v[22:23], v[2:3]
	v_rcp_f64_e32 v[6:7], v[4:5]
	s_cmp_ge_i32 s8, s31
	v_fma_f64 v[8:9], -v[4:5], v[6:7], 1.0
	v_fmac_f64_e32 v[6:7], v[6:7], v[8:9]
	v_fma_f64 v[8:9], -v[4:5], v[6:7], 1.0
	v_fmac_f64_e32 v[6:7], v[6:7], v[8:9]
	v_div_scale_f64 v[8:9], vcc, v[2:3], v[22:23], v[2:3]
	v_mul_f64 v[12:13], v[8:9], v[6:7]
	v_fma_f64 v[4:5], -v[4:5], v[12:13], v[8:9]
	s_nop 1
	v_div_fmas_f64 v[4:5], v[4:5], v[6:7], v[12:13]
	v_div_fixup_f64 v[2:3], v[4:5], v[22:23], v[2:3]
	ds_write_b64 v10, v[2:3]
	s_cbranch_scc1 .LBB106_88
; %bb.87:                               ;   in Loop: Header=BB106_83 Depth=1
	s_mov_b32 s8, s9
	s_branch .LBB106_83
.LBB106_88:
	s_cmp_ge_i32 s9, s31
	s_cbranch_scc1 .LBB106_99
; %bb.89:
	v_mov_b32_e32 v1, 0x2000
	s_add_i32 s1, s9, -1
	v_lshl_or_b32 v1, v0, 3, v1
	s_lshl_b32 s8, s9, 8
	s_mov_b32 s12, 0
	v_lshlrev_b32_e32 v4, 3, v0
	s_mov_b32 s13, s9
	s_branch .LBB106_91
.LBB106_90:                             ;   in Loop: Header=BB106_91 Depth=1
	s_mul_i32 s16, s9, 0x108
	v_mov_b32_e32 v6, s16
	ds_read_b64 v[6:7], v6
	v_add_u32_e32 v5, 0x2000, v5
	s_add_i32 s9, s9, 1
	s_add_i32 s12, s12, 1
	s_addk_i32 s8, 0x100
	s_waitcnt lgkmcnt(0)
	v_div_scale_f64 v[8:9], s[16:17], v[6:7], v[6:7], v[2:3]
	v_rcp_f64_e32 v[10:11], v[8:9]
	v_div_scale_f64 v[12:13], vcc, v[2:3], v[6:7], v[2:3]
	s_cmp_ge_i32 s9, s31
	v_fma_f64 v[14:15], -v[8:9], v[10:11], 1.0
	v_fmac_f64_e32 v[10:11], v[10:11], v[14:15]
	v_fma_f64 v[14:15], -v[8:9], v[10:11], 1.0
	v_fmac_f64_e32 v[10:11], v[10:11], v[14:15]
	v_mul_f64 v[14:15], v[12:13], v[10:11]
	v_fma_f64 v[8:9], -v[8:9], v[14:15], v[12:13]
	v_div_fmas_f64 v[8:9], v[8:9], v[10:11], v[14:15]
	v_div_fixup_f64 v[2:3], v[8:9], v[6:7], v[2:3]
	ds_write_b64 v5, v[2:3]
	v_add_u16_e64 v2, s13, 1
	v_readfirstlane_b32 s13, v2
	s_cbranch_scc1 .LBB106_99
.LBB106_91:                             ; =>This Loop Header: Depth=1
                                        ;     Child Loop BB106_94 Depth 2
                                        ;     Child Loop BB106_98 Depth 2
	v_lshl_or_b32 v5, s9, 8, v4
	ds_read_b64 v[2:3], v5 offset:8192
	s_cmp_eq_u32 s9, 0
	s_cbranch_scc1 .LBB106_90
; %bb.92:                               ;   in Loop: Header=BB106_91 Depth=1
	s_add_i32 s16, s1, s12
	s_cmp_lt_u32 s16, 7
	s_cbranch_scc1 .LBB106_96
; %bb.93:                               ;   in Loop: Header=BB106_91 Depth=1
	s_and_b32 s16, s9, -8
	s_mov_b32 s17, 0
	s_mov_b32 s18, s8
	v_mov_b32_e32 v6, v1
.LBB106_94:                             ;   Parent Loop BB106_91 Depth=1
                                        ; =>  This Inner Loop Header: Depth=2
	ds_read2_b64 v[8:11], v6 offset1:32
	v_mov_b32_e32 v7, s18
	ds_read2_b64 v[12:15], v6 offset0:64 offset1:96
	ds_read2_b64 v[16:19], v6 offset0:128 offset1:160
	;; [unrolled: 1-line block ×3, first 2 shown]
	ds_read_b128 v[24:27], v7
	ds_read_b128 v[28:31], v7 offset:16
	ds_read_b128 v[32:35], v7 offset:32
	;; [unrolled: 1-line block ×3, first 2 shown]
	s_add_i32 s17, s17, 8
	s_waitcnt lgkmcnt(3)
	v_fma_f64 v[2:3], -v[8:9], v[24:25], v[2:3]
	v_fma_f64 v[2:3], -v[10:11], v[26:27], v[2:3]
	s_waitcnt lgkmcnt(2)
	v_fma_f64 v[2:3], -v[12:13], v[28:29], v[2:3]
	v_fma_f64 v[2:3], -v[14:15], v[30:31], v[2:3]
	;; [unrolled: 3-line block ×3, first 2 shown]
	s_add_i32 s18, s18, 64
	s_waitcnt lgkmcnt(0)
	v_fma_f64 v[2:3], -v[20:21], v[36:37], v[2:3]
	v_add_u32_e32 v6, 0x800, v6
	s_cmp_eq_u32 s16, s17
	v_fma_f64 v[2:3], -v[22:23], v[38:39], v[2:3]
	s_cbranch_scc0 .LBB106_94
; %bb.95:                               ;   in Loop: Header=BB106_91 Depth=1
	s_and_b32 s17, s9, 7
	s_cmp_eq_u32 s17, 0
	s_cbranch_scc0 .LBB106_97
	s_branch .LBB106_90
.LBB106_96:                             ;   in Loop: Header=BB106_91 Depth=1
	s_mov_b32 s16, 0
	s_and_b32 s17, s9, 7
	s_cmp_eq_u32 s17, 0
	s_cbranch_scc1 .LBB106_90
.LBB106_97:                             ;   in Loop: Header=BB106_91 Depth=1
	s_and_b32 s17, s13, 7
	s_lshl_b32 s18, s16, 3
	v_lshl_add_u32 v6, s16, 8, v1
.LBB106_98:                             ;   Parent Loop BB106_91 Depth=1
                                        ; =>  This Inner Loop Header: Depth=2
	s_add_i32 s16, s8, s18
	v_mov_b32_e32 v7, s16
	ds_read_b64 v[8:9], v6
	ds_read_b64 v[10:11], v7
	s_add_i32 s18, s18, 8
	s_add_i32 s17, s17, -1
	v_add_u32_e32 v6, 0x100, v6
	s_cmp_lg_u32 s17, 0
	s_waitcnt lgkmcnt(0)
	v_fma_f64 v[2:3], -v[8:9], v[10:11], v[2:3]
	s_cbranch_scc1 .LBB106_98
	s_branch .LBB106_90
.LBB106_99:
	s_and_saveexec_b64 s[8:9], s[10:11]
	s_cbranch_execz .LBB106_106
; %bb.100:
	s_ashr_i32 s1, s0, 31
	s_mov_b32 s16, 0
	s_cmp_lt_u32 s30, 4
	v_lshlrev_b32_e32 v4, 3, v0
	s_cbranch_scc1 .LBB106_103
; %bb.101:
	v_mov_b32_e32 v1, s25
	v_add_co_u32_e32 v2, vcc, s24, v4
	v_addc_co_u32_e32 v3, vcc, 0, v1, vcc
	v_mov_b32_e32 v1, 0x2000
	s_mul_hi_i32 s19, s0, 24
	s_lshl_b64 s[8:9], s[0:1], 5
	s_lshl_b64 s[10:11], s[0:1], 4
	;; [unrolled: 1-line block ×3, first 2 shown]
	s_and_b32 s16, s30, 0x7ffffffc
	v_lshl_or_b32 v0, v0, 3, v1
	s_mul_i32 s17, s0, 24
	s_mov_b32 s18, 0
	v_mov_b32_e32 v1, s13
	v_mov_b32_e32 v5, s11
	;; [unrolled: 1-line block ×4, first 2 shown]
.LBB106_102:                            ; =>This Inner Loop Header: Depth=1
	v_add_co_u32_e32 v16, vcc, s12, v2
	ds_read2_b64 v[8:11], v0 offset1:32
	v_addc_co_u32_e32 v17, vcc, v3, v1, vcc
	v_add_co_u32_e32 v18, vcc, s10, v2
	ds_read2_b64 v[12:15], v0 offset0:64 offset1:96
	v_addc_co_u32_e32 v19, vcc, v3, v5, vcc
	v_add_co_u32_e32 v20, vcc, s17, v2
	v_addc_co_u32_e32 v21, vcc, v3, v6, vcc
	s_add_i32 s18, s18, 4
	s_waitcnt lgkmcnt(1)
	global_store_dwordx2 v[2:3], v[8:9], off
	global_store_dwordx2 v[16:17], v[10:11], off
	s_waitcnt lgkmcnt(0)
	global_store_dwordx2 v[18:19], v[12:13], off
	global_store_dwordx2 v[20:21], v[14:15], off
	v_add_co_u32_e32 v2, vcc, s8, v2
	v_add_u32_e32 v0, 0x400, v0
	s_cmp_lg_u32 s16, s18
	v_addc_co_u32_e32 v3, vcc, v3, v7, vcc
	s_cbranch_scc1 .LBB106_102
.LBB106_103:
	s_and_b32 s8, s30, 3
	s_cmp_eq_u32 s8, 0
	s_cbranch_scc1 .LBB106_106
; %bb.104:
	s_mul_hi_i32 s11, s0, s16
	s_mul_i32 s10, s0, s16
	s_lshl_b64 s[10:11], s[10:11], 3
	s_add_u32 s9, s14, s10
	s_addc_u32 s10, s15, s11
	s_add_u32 s6, s9, s6
	s_addc_u32 s7, s10, s7
	;; [unrolled: 2-line block ×4, first 2 shown]
	v_mov_b32_e32 v1, s3
	v_add_co_u32_e32 v0, vcc, s2, v4
	s_lshl_b64 s[0:1], s[0:1], 3
	v_lshl_or_b32 v2, s16, 8, v4
	v_addc_co_u32_e32 v1, vcc, 0, v1, vcc
	v_add_u32_e32 v2, 0x2000, v2
	v_mov_b32_e32 v3, s1
.LBB106_105:                            ; =>This Inner Loop Header: Depth=1
	ds_read_b64 v[4:5], v2
	s_add_i32 s8, s8, -1
	v_add_u32_e32 v2, 0x100, v2
	s_cmp_lg_u32 s8, 0
	s_waitcnt lgkmcnt(0)
	global_store_dwordx2 v[0:1], v[4:5], off
	v_add_co_u32_e32 v0, vcc, s0, v0
	v_addc_co_u32_e32 v1, vcc, v1, v3, vcc
	s_cbranch_scc1 .LBB106_105
.LBB106_106:
	s_endpgm
	.section	.rodata,"a",@progbits
	.p2align	6, 0x0
	.amdhsa_kernel _ZL31rocblas_trsm_small_right_deviceIddPKdPdLi32EEv13rocblas_fill_18rocblas_operation_17rocblas_diagonal_iiT0_T1_lilT2_lili
		.amdhsa_group_segment_fixed_size 16384
		.amdhsa_private_segment_fixed_size 0
		.amdhsa_kernarg_size 360
		.amdhsa_user_sgpr_count 6
		.amdhsa_user_sgpr_private_segment_buffer 1
		.amdhsa_user_sgpr_dispatch_ptr 0
		.amdhsa_user_sgpr_queue_ptr 0
		.amdhsa_user_sgpr_kernarg_segment_ptr 1
		.amdhsa_user_sgpr_dispatch_id 0
		.amdhsa_user_sgpr_flat_scratch_init 0
		.amdhsa_user_sgpr_kernarg_preload_length 0
		.amdhsa_user_sgpr_kernarg_preload_offset 0
		.amdhsa_user_sgpr_private_segment_size 0
		.amdhsa_uses_dynamic_stack 0
		.amdhsa_system_sgpr_private_segment_wavefront_offset 0
		.amdhsa_system_sgpr_workgroup_id_x 1
		.amdhsa_system_sgpr_workgroup_id_y 0
		.amdhsa_system_sgpr_workgroup_id_z 1
		.amdhsa_system_sgpr_workgroup_info 0
		.amdhsa_system_vgpr_workitem_id 0
		.amdhsa_next_free_vgpr 56
		.amdhsa_next_free_sgpr 38
		.amdhsa_accum_offset 56
		.amdhsa_reserve_vcc 1
		.amdhsa_reserve_flat_scratch 0
		.amdhsa_float_round_mode_32 0
		.amdhsa_float_round_mode_16_64 0
		.amdhsa_float_denorm_mode_32 3
		.amdhsa_float_denorm_mode_16_64 3
		.amdhsa_dx10_clamp 1
		.amdhsa_ieee_mode 1
		.amdhsa_fp16_overflow 0
		.amdhsa_tg_split 0
		.amdhsa_exception_fp_ieee_invalid_op 0
		.amdhsa_exception_fp_denorm_src 0
		.amdhsa_exception_fp_ieee_div_zero 0
		.amdhsa_exception_fp_ieee_overflow 0
		.amdhsa_exception_fp_ieee_underflow 0
		.amdhsa_exception_fp_ieee_inexact 0
		.amdhsa_exception_int_div_zero 0
	.end_amdhsa_kernel
	.section	.text._ZL31rocblas_trsm_small_right_deviceIddPKdPdLi32EEv13rocblas_fill_18rocblas_operation_17rocblas_diagonal_iiT0_T1_lilT2_lili,"axG",@progbits,_ZL31rocblas_trsm_small_right_deviceIddPKdPdLi32EEv13rocblas_fill_18rocblas_operation_17rocblas_diagonal_iiT0_T1_lilT2_lili,comdat
.Lfunc_end106:
	.size	_ZL31rocblas_trsm_small_right_deviceIddPKdPdLi32EEv13rocblas_fill_18rocblas_operation_17rocblas_diagonal_iiT0_T1_lilT2_lili, .Lfunc_end106-_ZL31rocblas_trsm_small_right_deviceIddPKdPdLi32EEv13rocblas_fill_18rocblas_operation_17rocblas_diagonal_iiT0_T1_lilT2_lili
                                        ; -- End function
	.section	.AMDGPU.csdata,"",@progbits
; Kernel info:
; codeLenInByte = 8000
; NumSgprs: 42
; NumVgprs: 56
; NumAgprs: 0
; TotalNumVgprs: 56
; ScratchSize: 0
; MemoryBound: 0
; FloatMode: 240
; IeeeMode: 1
; LDSByteSize: 16384 bytes/workgroup (compile time only)
; SGPRBlocks: 5
; VGPRBlocks: 6
; NumSGPRsForWavesPerEU: 42
; NumVGPRsForWavesPerEU: 56
; AccumOffset: 56
; Occupancy: 1
; WaveLimiterHint : 0
; COMPUTE_PGM_RSRC2:SCRATCH_EN: 0
; COMPUTE_PGM_RSRC2:USER_SGPR: 6
; COMPUTE_PGM_RSRC2:TRAP_HANDLER: 0
; COMPUTE_PGM_RSRC2:TGID_X_EN: 1
; COMPUTE_PGM_RSRC2:TGID_Y_EN: 0
; COMPUTE_PGM_RSRC2:TGID_Z_EN: 1
; COMPUTE_PGM_RSRC2:TIDIG_COMP_CNT: 0
; COMPUTE_PGM_RSRC3_GFX90A:ACCUM_OFFSET: 13
; COMPUTE_PGM_RSRC3_GFX90A:TG_SPLIT: 0
	.section	.text._ZL38rocblas_trsm_small_left_device_sharedBILi64ELi32ELb0EddPKdPdEv13rocblas_fill_18rocblas_operation_17rocblas_diagonal_iiT3_T4_lilT5_lili,"axG",@progbits,_ZL38rocblas_trsm_small_left_device_sharedBILi64ELi32ELb0EddPKdPdEv13rocblas_fill_18rocblas_operation_17rocblas_diagonal_iiT3_T4_lilT5_lili,comdat
	.globl	_ZL38rocblas_trsm_small_left_device_sharedBILi64ELi32ELb0EddPKdPdEv13rocblas_fill_18rocblas_operation_17rocblas_diagonal_iiT3_T4_lilT5_lili ; -- Begin function _ZL38rocblas_trsm_small_left_device_sharedBILi64ELi32ELb0EddPKdPdEv13rocblas_fill_18rocblas_operation_17rocblas_diagonal_iiT3_T4_lilT5_lili
	.p2align	8
	.type	_ZL38rocblas_trsm_small_left_device_sharedBILi64ELi32ELb0EddPKdPdEv13rocblas_fill_18rocblas_operation_17rocblas_diagonal_iiT3_T4_lilT5_lili,@function
_ZL38rocblas_trsm_small_left_device_sharedBILi64ELi32ELb0EddPKdPdEv13rocblas_fill_18rocblas_operation_17rocblas_diagonal_iiT3_T4_lilT5_lili: ; @_ZL38rocblas_trsm_small_left_device_sharedBILi64ELi32ELb0EddPKdPdEv13rocblas_fill_18rocblas_operation_17rocblas_diagonal_iiT3_T4_lilT5_lili
; %bb.0:
	s_load_dwordx4 s[8:11], s[4:5], 0x4
	s_load_dwordx4 s[12:15], s[4:5], 0x18
	s_load_dwordx2 s[20:21], s[4:5], 0x28
	s_load_dwordx4 s[0:3], s[4:5], 0x38
	s_load_dwordx2 s[16:17], s[4:5], 0x48
	s_waitcnt lgkmcnt(0)
	s_min_i32 s30, s10, 64
	s_mov_b32 s33, 0
	s_add_i32 s31, s30, -1
	v_cmp_gt_i32_e32 vcc, s30, v0
	s_and_saveexec_b64 s[18:19], vcc
	s_cbranch_execz .LBB107_10
; %bb.1:
	s_load_dword s22, s[4:5], 0x30
	s_mul_i32 s1, s7, s1
	s_mul_hi_u32 s24, s7, s0
	s_add_i32 s1, s24, s1
	s_mul_i32 s0, s7, s0
	s_waitcnt lgkmcnt(0)
	s_ashr_i32 s23, s22, 31
	s_cmp_lt_u32 s31, 3
	s_cbranch_scc1 .LBB107_4
; %bb.2:
	s_lshl_b64 s[24:25], s[0:1], 3
	s_add_u32 s26, s14, s24
	s_addc_u32 s27, s15, s25
	s_lshl_b64 s[24:25], s[20:21], 3
	s_add_u32 s24, s26, s24
	s_addc_u32 s25, s27, s25
	v_lshlrev_b32_e32 v1, 3, v0
	v_mov_b32_e32 v3, s25
	v_add_co_u32_e32 v2, vcc, s24, v1
	s_mul_hi_i32 s36, s22, 24
	s_lshl_b64 s[24:25], s[22:23], 5
	s_lshl_b64 s[26:27], s[22:23], 4
	;; [unrolled: 1-line block ×3, first 2 shown]
	v_addc_co_u32_e32 v3, vcc, 0, v3, vcc
	s_and_b32 s33, s30, -4
	s_mul_i32 s34, s22, 24
	s_mov_b32 s35, 0
	v_mov_b32_e32 v4, s29
	v_mov_b32_e32 v5, s27
	;; [unrolled: 1-line block ×4, first 2 shown]
.LBB107_3:                              ; =>This Inner Loop Header: Depth=1
	v_add_co_u32_e32 v10, vcc, s28, v2
	v_addc_co_u32_e32 v11, vcc, v3, v4, vcc
	v_add_co_u32_e32 v12, vcc, s26, v2
	v_addc_co_u32_e32 v13, vcc, v3, v5, vcc
	v_add_co_u32_e32 v14, vcc, s34, v2
	global_load_dwordx2 v[8:9], v[2:3], off
	v_addc_co_u32_e32 v15, vcc, v3, v6, vcc
	global_load_dwordx2 v[16:17], v[10:11], off
	global_load_dwordx2 v[18:19], v[12:13], off
	;; [unrolled: 1-line block ×3, first 2 shown]
	s_add_i32 s35, s35, 4
	v_add_co_u32_e32 v2, vcc, s24, v2
	v_addc_co_u32_e32 v3, vcc, v3, v7, vcc
	s_cmp_eq_u32 s33, s35
	s_waitcnt vmcnt(2)
	ds_write2st64_b64 v1, v[8:9], v[16:17] offset1:1
	s_waitcnt vmcnt(0)
	ds_write2st64_b64 v1, v[18:19], v[20:21] offset0:2 offset1:3
	v_add_u32_e32 v1, 0x800, v1
	s_cbranch_scc0 .LBB107_3
.LBB107_4:
	s_and_b32 s24, s30, 3
	s_cmp_eq_u32 s24, 0
	s_cbranch_scc1 .LBB107_7
; %bb.5:
	s_mul_i32 s25, s23, s33
	s_mul_hi_u32 s26, s22, s33
	s_add_i32 s27, s26, s25
	s_mul_i32 s26, s22, s33
	s_lshl_b64 s[0:1], s[0:1], 3
	s_lshl_b64 s[26:27], s[26:27], 3
	s_add_u32 s25, s0, s26
	s_addc_u32 s26, s1, s27
	s_lshl_b64 s[0:1], s[20:21], 3
	s_add_u32 s0, s25, s0
	s_addc_u32 s1, s26, s1
	s_add_u32 s0, s14, s0
	v_lshlrev_b32_e32 v2, 3, v0
	s_addc_u32 s1, s15, s1
	v_lshl_or_b32 v1, s33, 9, v2
	v_mov_b32_e32 v3, s1
	v_add_co_u32_e32 v2, vcc, s0, v2
	s_lshl_b64 s[0:1], s[22:23], 3
	v_addc_co_u32_e32 v3, vcc, 0, v3, vcc
	v_mov_b32_e32 v4, s1
.LBB107_6:                              ; =>This Inner Loop Header: Depth=1
	global_load_dwordx2 v[6:7], v[2:3], off
	v_add_co_u32_e32 v2, vcc, s0, v2
	s_add_i32 s24, s24, -1
	v_addc_co_u32_e32 v3, vcc, v3, v4, vcc
	s_cmp_lg_u32 s24, 0
	s_waitcnt vmcnt(0)
	ds_write_b64 v1, v[6:7]
	v_add_u32_e32 v1, 0x200, v1
	s_cbranch_scc1 .LBB107_6
.LBB107_7:
	v_mul_u32_u24_e32 v1, 0x41, v0
	v_mov_b32_e32 v2, 0
	s_cmpk_lg_i32 s9, 0x84
	v_lshlrev_b32_e32 v1, 3, v1
	v_mov_b32_e32 v3, 0x3ff00000
	s_cbranch_scc0 .LBB107_9
; %bb.8:
	ds_read_b64 v[2:3], v1
	s_waitcnt lgkmcnt(0)
	v_div_scale_f64 v[4:5], s[0:1], v[2:3], v[2:3], 1.0
	v_rcp_f64_e32 v[6:7], v[4:5]
	v_div_scale_f64 v[8:9], vcc, 1.0, v[2:3], 1.0
	v_fma_f64 v[10:11], -v[4:5], v[6:7], 1.0
	v_fmac_f64_e32 v[6:7], v[6:7], v[10:11]
	v_fma_f64 v[10:11], -v[4:5], v[6:7], 1.0
	v_fmac_f64_e32 v[6:7], v[6:7], v[10:11]
	v_mul_f64 v[10:11], v[8:9], v[6:7]
	v_fma_f64 v[4:5], -v[4:5], v[10:11], v[8:9]
	v_div_fmas_f64 v[4:5], v[4:5], v[6:7], v[10:11]
	v_div_fixup_f64 v[2:3], v[4:5], v[2:3], 1.0
.LBB107_9:
	ds_write_b64 v1, v[2:3]
.LBB107_10:
	s_or_b64 exec, exec, s[18:19]
	s_load_dword s9, s[4:5], 0x68
	s_load_dword s22, s[4:5], 0x50
	s_load_dwordx2 s[0:1], s[4:5], 0x58
	s_mov_b32 s18, 0
	s_waitcnt lgkmcnt(0)
	s_ashr_i32 s23, s22, 31
	s_mul_i32 s1, s7, s1
	s_mul_hi_u32 s4, s7, s0
	s_mul_i32 s0, s7, s0
	s_add_i32 s1, s4, s1
	s_lshl_b64 s[0:1], s[0:1], 3
	s_add_u32 s7, s2, s0
	s_addc_u32 s14, s3, s1
	s_lshl_b64 s[4:5], s[16:17], 3
	s_add_u32 s16, s7, s4
	s_addc_u32 s17, s14, s5
	s_lshl_b32 s14, s6, 6
	s_add_i32 s9, s9, -1
	s_sub_i32 s7, s11, s14
	s_cmp_ge_u32 s6, s9
	s_cselect_b32 s9, s7, 64
	s_mul_hi_i32 s7, s22, s14
	s_mul_i32 s6, s22, s14
	s_ashr_i32 s15, s14, 31
	s_lshl_b64 s[6:7], s[6:7], 3
	s_add_u32 s11, s16, s6
	s_addc_u32 s24, s17, s7
	s_cmp_gt_i32 s10, 0
	v_cmp_gt_i32_e32 vcc, s9, v0
	s_cselect_b64 s[6:7], -1, 0
	s_and_b64 s[6:7], vcc, s[6:7]
	s_and_saveexec_b64 s[16:17], s[6:7]
	s_cbranch_execz .LBB107_17
; %bb.11:
	s_cmp_lt_i32 s10, 8
	s_cbranch_scc1 .LBB107_14
; %bb.12:
	v_mad_i64_i32 v[2:3], s[18:19], s22, v0, 0
	v_lshlrev_b64 v[2:3], 3, v[2:3]
	v_mov_b32_e32 v4, s24
	v_add_co_u32_e32 v1, vcc, s11, v2
	v_addc_co_u32_e32 v2, vcc, v4, v3, vcc
	v_mov_b32_e32 v3, 0x8000
	s_lshl_b32 s9, s30, 3
	v_lshl_or_b32 v3, v0, 3, v3
	s_and_b32 s9, s9, 0x3c0
	s_mov_b32 s18, 0
	s_mov_b64 s[20:21], 0
.LBB107_13:                             ; =>This Inner Loop Header: Depth=1
	v_mov_b32_e32 v4, s21
	v_add_co_u32_e32 v20, vcc, s20, v1
	v_addc_co_u32_e32 v21, vcc, v2, v4, vcc
	global_load_dwordx4 v[4:7], v[20:21], off
	global_load_dwordx4 v[8:11], v[20:21], off offset:16
	global_load_dwordx4 v[12:15], v[20:21], off offset:32
	;; [unrolled: 1-line block ×3, first 2 shown]
	s_add_i32 s18, s18, 8
	s_add_u32 s20, s20, 64
	s_addc_u32 s21, s21, 0
	s_cmp_lg_u32 s9, s20
	s_waitcnt vmcnt(3)
	v_mul_f64 v[4:5], v[4:5], s[12:13]
	v_mul_f64 v[6:7], v[6:7], s[12:13]
	s_waitcnt vmcnt(2)
	v_mul_f64 v[8:9], v[8:9], s[12:13]
	v_mul_f64 v[10:11], v[10:11], s[12:13]
	;; [unrolled: 3-line block ×4, first 2 shown]
	ds_write2st64_b64 v3, v[4:5], v[6:7] offset1:1
	ds_write2st64_b64 v3, v[8:9], v[10:11] offset0:2 offset1:3
	ds_write2st64_b64 v3, v[12:13], v[14:15] offset0:4 offset1:5
	ds_write2st64_b64 v3, v[16:17], v[18:19] offset0:6 offset1:7
	v_add_u32_e32 v3, 0x1000, v3
	s_cbranch_scc1 .LBB107_13
.LBB107_14:
	s_and_b32 s9, s30, 7
	s_cmp_eq_u32 s9, 0
	s_mov_b32 s19, 0
	s_cbranch_scc1 .LBB107_17
; %bb.15:
	v_lshlrev_b32_e32 v2, 3, v0
	v_lshl_or_b32 v1, s18, 9, v2
	s_lshl_b64 s[20:21], s[14:15], 3
	s_lshl_b64 s[18:19], s[18:19], 3
	s_add_u32 s18, s2, s18
	s_addc_u32 s19, s3, s19
	s_add_u32 s18, s18, s4
	s_addc_u32 s19, s19, s5
	s_add_u32 s18, s18, s0
	v_mov_b32_e32 v3, s21
	v_add_co_u32_e32 v4, vcc, s20, v2
	s_addc_u32 s19, s19, s1
	v_addc_co_u32_e32 v5, vcc, 0, v3, vcc
	v_pk_mov_b32 v[2:3], s[18:19], s[18:19] op_sel:[0,1]
	v_mad_u64_u32 v[2:3], s[18:19], v4, s22, v[2:3]
	v_mul_lo_u32 v4, v4, s23
	v_mul_lo_u32 v5, v5, s22
	v_add_u32_e32 v1, 0x8000, v1
	v_add3_u32 v3, v5, v3, v4
.LBB107_16:                             ; =>This Inner Loop Header: Depth=1
	global_load_dwordx2 v[4:5], v[2:3], off
	v_add_co_u32_e32 v2, vcc, 8, v2
	s_add_i32 s9, s9, -1
	v_addc_co_u32_e32 v3, vcc, 0, v3, vcc
	s_cmp_lg_u32 s9, 0
	s_waitcnt vmcnt(0)
	v_mul_f64 v[4:5], v[4:5], s[12:13]
	ds_write_b64 v1, v[4:5]
	v_add_u32_e32 v1, 0x200, v1
	s_cbranch_scc1 .LBB107_16
.LBB107_17:
	s_or_b64 exec, exec, s[16:17]
	s_cmpk_eq_i32 s8, 0x6f
	s_mov_b64 s[8:9], -1
	s_waitcnt lgkmcnt(0)
	; wave barrier
	s_waitcnt lgkmcnt(0)
	s_cbranch_scc1 .LBB107_51
; %bb.18:
	s_cmp_lt_i32 s10, 32
	s_mov_b32 s12, 0
	s_cbranch_scc1 .LBB107_25
; %bb.19:
	v_mov_b32_e32 v1, 0x8000
	v_lshl_or_b32 v1, v0, 3, v1
	s_mov_b32 s8, 0
	s_mov_b32 s9, 0
	v_lshlrev_b32_e32 v66, 3, v0
.LBB107_20:                             ; =>This Loop Header: Depth=1
                                        ;     Child Loop BB107_22 Depth 2
	v_lshl_or_b32 v67, s9, 9, v66
	ds_read2st64_b64 v[62:65], v67 offset0:64 offset1:65
	ds_read2st64_b64 v[58:61], v67 offset0:66 offset1:67
	ds_read2st64_b64 v[54:57], v67 offset0:68 offset1:69
	ds_read2st64_b64 v[50:53], v67 offset0:70 offset1:71
	ds_read2st64_b64 v[46:49], v67 offset0:72 offset1:73
	ds_read2st64_b64 v[42:45], v67 offset0:74 offset1:75
	ds_read2st64_b64 v[38:41], v67 offset0:76 offset1:77
	ds_read2st64_b64 v[34:37], v67 offset0:78 offset1:79
	ds_read2st64_b64 v[30:33], v67 offset0:80 offset1:81
	ds_read2st64_b64 v[26:29], v67 offset0:82 offset1:83
	ds_read2st64_b64 v[22:25], v67 offset0:84 offset1:85
	ds_read2st64_b64 v[18:21], v67 offset0:86 offset1:87
	ds_read2st64_b64 v[14:17], v67 offset0:88 offset1:89
	ds_read2st64_b64 v[10:13], v67 offset0:90 offset1:91
	ds_read2st64_b64 v[6:9], v67 offset0:92 offset1:93
	ds_read2st64_b64 v[2:5], v67 offset0:94 offset1:95
	s_cmp_eq_u32 s9, 0
	s_cbranch_scc1 .LBB107_23
; %bb.21:                               ;   in Loop: Header=BB107_20 Depth=1
	s_mov_b32 s12, 0
	s_mov_b32 s13, s8
	v_mov_b32_e32 v68, v1
.LBB107_22:                             ;   Parent Loop BB107_20 Depth=1
                                        ; =>  This Inner Loop Header: Depth=2
	v_mov_b32_e32 v69, s13
	ds_read_b64 v[134:135], v68
	ds_read2st64_b64 v[70:73], v69 offset1:1
	ds_read2st64_b64 v[74:77], v69 offset0:2 offset1:3
	ds_read2st64_b64 v[78:81], v69 offset0:4 offset1:5
	;; [unrolled: 1-line block ×15, first 2 shown]
	s_add_i32 s12, s12, 1
	s_add_i32 s13, s13, 8
	v_add_u32_e32 v68, 0x200, v68
	s_cmp_lt_u32 s12, s9
	s_waitcnt lgkmcnt(14)
	v_fma_f64 v[62:63], -v[134:135], v[70:71], v[62:63]
	v_fma_f64 v[64:65], -v[134:135], v[72:73], v[64:65]
	;; [unrolled: 1-line block ×4, first 2 shown]
	s_waitcnt lgkmcnt(13)
	v_fma_f64 v[54:55], -v[134:135], v[78:79], v[54:55]
	v_fma_f64 v[56:57], -v[134:135], v[80:81], v[56:57]
	s_waitcnt lgkmcnt(12)
	v_fma_f64 v[50:51], -v[134:135], v[82:83], v[50:51]
	v_fma_f64 v[52:53], -v[134:135], v[84:85], v[52:53]
	s_waitcnt lgkmcnt(11)
	v_fma_f64 v[46:47], -v[134:135], v[86:87], v[46:47]
	v_fma_f64 v[48:49], -v[134:135], v[88:89], v[48:49]
	s_waitcnt lgkmcnt(10)
	v_fma_f64 v[42:43], -v[134:135], v[90:91], v[42:43]
	v_fma_f64 v[44:45], -v[134:135], v[92:93], v[44:45]
	s_waitcnt lgkmcnt(9)
	v_fma_f64 v[38:39], -v[134:135], v[94:95], v[38:39]
	v_fma_f64 v[40:41], -v[134:135], v[96:97], v[40:41]
	s_waitcnt lgkmcnt(8)
	v_fma_f64 v[34:35], -v[134:135], v[98:99], v[34:35]
	v_fma_f64 v[36:37], -v[134:135], v[100:101], v[36:37]
	s_waitcnt lgkmcnt(7)
	v_fma_f64 v[30:31], -v[134:135], v[102:103], v[30:31]
	v_fma_f64 v[32:33], -v[134:135], v[104:105], v[32:33]
	s_waitcnt lgkmcnt(6)
	v_fma_f64 v[26:27], -v[134:135], v[106:107], v[26:27]
	v_fma_f64 v[28:29], -v[134:135], v[108:109], v[28:29]
	s_waitcnt lgkmcnt(5)
	v_fma_f64 v[22:23], -v[134:135], v[110:111], v[22:23]
	v_fma_f64 v[24:25], -v[134:135], v[112:113], v[24:25]
	s_waitcnt lgkmcnt(4)
	v_fma_f64 v[18:19], -v[134:135], v[114:115], v[18:19]
	v_fma_f64 v[20:21], -v[134:135], v[116:117], v[20:21]
	s_waitcnt lgkmcnt(3)
	v_fma_f64 v[14:15], -v[134:135], v[118:119], v[14:15]
	v_fma_f64 v[16:17], -v[134:135], v[120:121], v[16:17]
	s_waitcnt lgkmcnt(2)
	v_fma_f64 v[10:11], -v[134:135], v[122:123], v[10:11]
	v_fma_f64 v[12:13], -v[134:135], v[124:125], v[12:13]
	s_waitcnt lgkmcnt(1)
	v_fma_f64 v[6:7], -v[134:135], v[126:127], v[6:7]
	v_fma_f64 v[8:9], -v[134:135], v[128:129], v[8:9]
	s_waitcnt lgkmcnt(0)
	v_fma_f64 v[2:3], -v[134:135], v[130:131], v[2:3]
	v_fma_f64 v[4:5], -v[134:135], v[132:133], v[4:5]
	s_cbranch_scc1 .LBB107_22
.LBB107_23:                             ;   in Loop: Header=BB107_20 Depth=1
	s_mul_i32 s12, s9, 0x208
	v_add_u32_e32 v68, 0x8000, v67
	v_mov_b32_e32 v67, s12
	ds_read2_b64 v[70:73], v67 offset1:130
	s_lshl_b32 s12, s9, 6
	s_or_b32 s13, s12, 64
	s_add_i32 s16, s13, s9
	s_lshl_b32 s16, s16, 3
	s_waitcnt lgkmcnt(0)
	v_mul_f64 v[62:63], v[70:71], v[62:63]
	ds_write_b64 v68, v[62:63]
	v_mov_b32_e32 v68, s16
	s_or_b32 s16, s12, 0x80
	s_add_i32 s17, s16, s9
	s_lshl_b32 s17, s17, 3
	ds_read_b128 v[68:71], v68
	v_mov_b32_e32 v74, s17
	ds_read_b128 v[74:77], v74
	s_addk_i32 s8, 0x4000
	s_waitcnt lgkmcnt(1)
	v_fma_f64 v[64:65], -v[62:63], v[68:69], v[64:65]
	v_or_b32_e32 v68, s13, v0
	s_or_b32 s13, s12, 0xc0
	v_mul_f64 v[64:65], v[70:71], v[64:65]
	s_waitcnt lgkmcnt(0)
	v_fma_f64 v[58:59], -v[62:63], v[74:75], v[58:59]
	s_add_i32 s17, s13, s9
	v_fma_f64 v[58:59], -v[64:65], v[76:77], v[58:59]
	s_lshl_b32 s17, s17, 3
	v_lshlrev_b32_e32 v68, 3, v68
	v_mul_f64 v[58:59], v[72:73], v[58:59]
	v_mov_b32_e32 v72, s17
	ds_write_b64 v68, v[64:65] offset:32768
	ds_read_b128 v[68:71], v72
	ds_read_b128 v[72:75], v72 offset:16
	v_or_b32_e32 v76, s16, v0
	v_lshlrev_b32_e32 v76, 3, v76
	ds_write_b64 v76, v[58:59] offset:32768
	s_waitcnt lgkmcnt(2)
	v_fma_f64 v[60:61], -v[62:63], v[68:69], v[60:61]
	v_or_b32_e32 v68, s13, v0
	s_or_b32 s13, s12, 0x100
	s_add_i32 s16, s13, s9
	v_fma_f64 v[60:61], -v[64:65], v[70:71], v[60:61]
	s_lshl_b32 s16, s16, 3
	s_waitcnt lgkmcnt(1)
	v_fma_f64 v[60:61], -v[58:59], v[72:73], v[60:61]
	v_mov_b32_e32 v73, s16
	v_lshlrev_b32_e32 v72, 3, v68
	ds_read_b128 v[68:71], v73
	v_mul_f64 v[60:61], v[74:75], v[60:61]
	ds_write_b64 v72, v[60:61] offset:32768
	ds_read_b128 v[72:75], v73 offset:16
	v_add_u32_e32 v76, 0x800, v67
	ds_read2_b64 v[76:79], v76 offset0:4 offset1:134
	s_waitcnt lgkmcnt(3)
	v_fma_f64 v[54:55], -v[62:63], v[68:69], v[54:55]
	v_fma_f64 v[54:55], -v[64:65], v[70:71], v[54:55]
	s_or_b32 s16, s12, 0x140
	s_waitcnt lgkmcnt(1)
	v_fma_f64 v[54:55], -v[58:59], v[72:73], v[54:55]
	s_add_i32 s17, s16, s9
	v_fma_f64 v[54:55], -v[60:61], v[74:75], v[54:55]
	s_lshl_b32 s17, s17, 3
	s_waitcnt lgkmcnt(0)
	v_mul_f64 v[54:55], v[76:77], v[54:55]
	v_mov_b32_e32 v76, s17
	ds_read_b128 v[68:71], v76
	ds_read_b128 v[72:75], v76 offset:16
	v_or_b32_e32 v77, s13, v0
	s_or_b32 s13, s12, 0x180
	s_add_i32 s17, s13, s9
	s_waitcnt lgkmcnt(1)
	v_fma_f64 v[56:57], -v[62:63], v[68:69], v[56:57]
	v_fma_f64 v[56:57], -v[64:65], v[70:71], v[56:57]
	ds_read_b128 v[68:71], v76 offset:32
	s_lshl_b32 s17, s17, 3
	s_waitcnt lgkmcnt(1)
	v_fma_f64 v[56:57], -v[58:59], v[72:73], v[56:57]
	v_mov_b32_e32 v76, s17
	v_fma_f64 v[56:57], -v[60:61], v[74:75], v[56:57]
	ds_read_b128 v[72:75], v76
	v_lshlrev_b32_e32 v77, 3, v77
	s_waitcnt lgkmcnt(1)
	v_fma_f64 v[56:57], -v[54:55], v[68:69], v[56:57]
	v_or_b32_e32 v68, s16, v0
	ds_write_b64 v77, v[54:55] offset:32768
	v_mul_f64 v[56:57], v[70:71], v[56:57]
	v_lshlrev_b32_e32 v77, 3, v68
	ds_read_b128 v[68:71], v76 offset:16
	ds_read_b128 v[80:83], v76 offset:32
	s_waitcnt lgkmcnt(3)
	v_fma_f64 v[50:51], -v[62:63], v[72:73], v[50:51]
	v_fma_f64 v[50:51], -v[64:65], v[74:75], v[50:51]
	ds_write_b64 v77, v[56:57] offset:32768
	s_waitcnt lgkmcnt(2)
	v_fma_f64 v[50:51], -v[58:59], v[68:69], v[50:51]
	v_or_b32_e32 v68, s13, v0
	s_or_b32 s13, s12, 0x1c0
	s_add_i32 s16, s13, s9
	v_fma_f64 v[50:51], -v[60:61], v[70:71], v[50:51]
	s_lshl_b32 s16, s16, 3
	s_waitcnt lgkmcnt(1)
	v_fma_f64 v[50:51], -v[54:55], v[80:81], v[50:51]
	v_mov_b32_e32 v80, s16
	v_lshlrev_b32_e32 v72, 3, v68
	ds_read_b128 v[68:71], v80
	v_fma_f64 v[50:51], -v[56:57], v[82:83], v[50:51]
	v_mul_f64 v[50:51], v[78:79], v[50:51]
	ds_write_b64 v72, v[50:51] offset:32768
	ds_read_b128 v[72:75], v80 offset:16
	ds_read_b128 v[76:79], v80 offset:32
	ds_read_b64 v[80:81], v80 offset:48
	s_waitcnt lgkmcnt(4)
	v_fma_f64 v[52:53], -v[62:63], v[68:69], v[52:53]
	v_fma_f64 v[52:53], -v[64:65], v[70:71], v[52:53]
	v_add_u32_e32 v68, 0xc00, v67
	s_waitcnt lgkmcnt(2)
	v_fma_f64 v[52:53], -v[58:59], v[72:73], v[52:53]
	ds_read2_b64 v[68:71], v68 offset0:71 offset1:136
	v_fma_f64 v[52:53], -v[60:61], v[74:75], v[52:53]
	s_waitcnt lgkmcnt(2)
	v_fma_f64 v[52:53], -v[54:55], v[76:77], v[52:53]
	v_fma_f64 v[52:53], -v[56:57], v[78:79], v[52:53]
	s_waitcnt lgkmcnt(1)
	v_fma_f64 v[52:53], -v[50:51], v[80:81], v[52:53]
	s_waitcnt lgkmcnt(0)
	v_mul_f64 v[52:53], v[68:69], v[52:53]
	v_or_b32_e32 v68, s13, v0
	s_or_b32 s13, s12, 0x200
	s_add_i32 s16, s13, s9
	s_lshl_b32 s16, s16, 3
	v_mov_b32_e32 v69, s16
	ds_read_b128 v[72:75], v69
	v_lshlrev_b32_e32 v68, 3, v68
	ds_write_b64 v68, v[52:53] offset:32768
	ds_read_b128 v[76:79], v69 offset:16
	ds_read_b128 v[80:83], v69 offset:32
	;; [unrolled: 1-line block ×3, first 2 shown]
	v_or_b32_e32 v68, s13, v0
	s_waitcnt lgkmcnt(4)
	v_fma_f64 v[46:47], -v[62:63], v[72:73], v[46:47]
	v_fma_f64 v[46:47], -v[64:65], v[74:75], v[46:47]
	s_waitcnt lgkmcnt(2)
	v_fma_f64 v[46:47], -v[58:59], v[76:77], v[46:47]
	v_fma_f64 v[46:47], -v[60:61], v[78:79], v[46:47]
	s_waitcnt lgkmcnt(1)
	v_fma_f64 v[46:47], -v[54:55], v[80:81], v[46:47]
	s_or_b32 s13, s12, 0x240
	v_fma_f64 v[46:47], -v[56:57], v[82:83], v[46:47]
	s_add_i32 s16, s13, s9
	s_waitcnt lgkmcnt(0)
	v_fma_f64 v[46:47], -v[50:51], v[84:85], v[46:47]
	s_lshl_b32 s16, s16, 3
	v_fma_f64 v[46:47], -v[52:53], v[86:87], v[46:47]
	v_mov_b32_e32 v84, s16
	v_mul_f64 v[46:47], v[70:71], v[46:47]
	v_lshlrev_b32_e32 v72, 3, v68
	ds_read_b128 v[68:71], v84
	ds_write_b64 v72, v[46:47] offset:32768
	ds_read_b128 v[72:75], v84 offset:16
	ds_read_b128 v[76:79], v84 offset:32
	ds_read_b128 v[80:83], v84 offset:48
	s_or_b32 s16, s12, 0x280
	s_add_i32 s17, s16, s9
	s_waitcnt lgkmcnt(4)
	v_fma_f64 v[48:49], -v[62:63], v[68:69], v[48:49]
	v_fma_f64 v[48:49], -v[64:65], v[70:71], v[48:49]
	s_waitcnt lgkmcnt(2)
	v_fma_f64 v[48:49], -v[58:59], v[72:73], v[48:49]
	v_fma_f64 v[48:49], -v[60:61], v[74:75], v[48:49]
	s_waitcnt lgkmcnt(1)
	v_fma_f64 v[48:49], -v[54:55], v[76:77], v[48:49]
	ds_read_b64 v[76:77], v84 offset:64
	s_lshl_b32 s17, s17, 3
	v_fma_f64 v[48:49], -v[56:57], v[78:79], v[48:49]
	v_mov_b32_e32 v84, s17
	s_waitcnt lgkmcnt(1)
	v_fma_f64 v[48:49], -v[50:51], v[80:81], v[48:49]
	ds_read_b128 v[72:75], v84
	v_fma_f64 v[48:49], -v[52:53], v[82:83], v[48:49]
	s_waitcnt lgkmcnt(1)
	v_fma_f64 v[48:49], -v[46:47], v[76:77], v[48:49]
	ds_read_b128 v[76:79], v84 offset:16
	v_add_u32_e32 v68, 0x1000, v67
	ds_read_b128 v[80:83], v84 offset:32
	ds_read2_b64 v[68:71], v68 offset0:73 offset1:138
	s_waitcnt lgkmcnt(3)
	v_fma_f64 v[42:43], -v[62:63], v[72:73], v[42:43]
	v_fma_f64 v[42:43], -v[64:65], v[74:75], v[42:43]
	ds_read_b128 v[72:75], v84 offset:48
	s_waitcnt lgkmcnt(3)
	v_fma_f64 v[42:43], -v[58:59], v[76:77], v[42:43]
	v_fma_f64 v[42:43], -v[60:61], v[78:79], v[42:43]
	ds_read_b128 v[76:79], v84 offset:64
	s_waitcnt lgkmcnt(3)
	v_fma_f64 v[42:43], -v[54:55], v[80:81], v[42:43]
	s_waitcnt lgkmcnt(2)
	v_mul_f64 v[48:49], v[68:69], v[48:49]
	v_or_b32_e32 v68, s13, v0
	v_fma_f64 v[42:43], -v[56:57], v[82:83], v[42:43]
	v_lshlrev_b32_e32 v68, 3, v68
	s_waitcnt lgkmcnt(1)
	v_fma_f64 v[42:43], -v[50:51], v[72:73], v[42:43]
	s_or_b32 s13, s12, 0x2c0
	ds_write_b64 v68, v[48:49] offset:32768
	v_fma_f64 v[42:43], -v[52:53], v[74:75], v[42:43]
	v_or_b32_e32 v68, s16, v0
	s_add_i32 s16, s13, s9
	s_waitcnt lgkmcnt(1)
	v_fma_f64 v[42:43], -v[46:47], v[76:77], v[42:43]
	s_lshl_b32 s16, s16, 3
	v_fma_f64 v[42:43], -v[48:49], v[78:79], v[42:43]
	v_mov_b32_e32 v84, s16
	v_mul_f64 v[42:43], v[70:71], v[42:43]
	v_lshlrev_b32_e32 v72, 3, v68
	ds_read_b128 v[68:71], v84
	ds_write_b64 v72, v[42:43] offset:32768
	ds_read_b128 v[72:75], v84 offset:16
	ds_read_b128 v[76:79], v84 offset:32
	ds_read_b128 v[80:83], v84 offset:48
	s_waitcnt lgkmcnt(4)
	v_fma_f64 v[44:45], -v[62:63], v[68:69], v[44:45]
	v_fma_f64 v[44:45], -v[64:65], v[70:71], v[44:45]
	s_waitcnt lgkmcnt(2)
	v_fma_f64 v[44:45], -v[58:59], v[72:73], v[44:45]
	v_fma_f64 v[44:45], -v[60:61], v[74:75], v[44:45]
	s_waitcnt lgkmcnt(1)
	v_fma_f64 v[44:45], -v[54:55], v[76:77], v[44:45]
	ds_read_b128 v[68:71], v84 offset:64
	ds_read_b64 v[76:77], v84 offset:80
	v_fma_f64 v[44:45], -v[56:57], v[78:79], v[44:45]
	v_add_u32_e32 v72, 0x1400, v67
	s_waitcnt lgkmcnt(2)
	v_fma_f64 v[44:45], -v[50:51], v[80:81], v[44:45]
	ds_read2_b64 v[72:75], v72 offset0:75 offset1:140
	v_fma_f64 v[44:45], -v[52:53], v[82:83], v[44:45]
	s_waitcnt lgkmcnt(2)
	v_fma_f64 v[44:45], -v[46:47], v[68:69], v[44:45]
	v_or_b32_e32 v68, s13, v0
	s_or_b32 s13, s12, 0x300
	v_fma_f64 v[44:45], -v[48:49], v[70:71], v[44:45]
	s_add_i32 s16, s13, s9
	s_waitcnt lgkmcnt(1)
	v_fma_f64 v[44:45], -v[42:43], v[76:77], v[44:45]
	s_lshl_b32 s16, s16, 3
	s_waitcnt lgkmcnt(0)
	v_mul_f64 v[44:45], v[72:73], v[44:45]
	v_mov_b32_e32 v73, s16
	v_lshlrev_b32_e32 v72, 3, v68
	ds_read_b128 v[68:71], v73
	ds_write_b64 v72, v[44:45] offset:32768
	ds_read_b128 v[76:79], v73 offset:16
	ds_read_b128 v[80:83], v73 offset:32
	;; [unrolled: 1-line block ×3, first 2 shown]
	s_waitcnt lgkmcnt(4)
	v_fma_f64 v[38:39], -v[62:63], v[68:69], v[38:39]
	v_fma_f64 v[38:39], -v[64:65], v[70:71], v[38:39]
	s_waitcnt lgkmcnt(2)
	v_fma_f64 v[38:39], -v[58:59], v[76:77], v[38:39]
	v_fma_f64 v[38:39], -v[60:61], v[78:79], v[38:39]
	ds_read_b128 v[68:71], v73 offset:64
	ds_read_b128 v[76:79], v73 offset:80
	s_waitcnt lgkmcnt(3)
	v_fma_f64 v[38:39], -v[54:55], v[80:81], v[38:39]
	v_fma_f64 v[38:39], -v[56:57], v[82:83], v[38:39]
	s_waitcnt lgkmcnt(2)
	v_fma_f64 v[38:39], -v[50:51], v[84:85], v[38:39]
	v_fma_f64 v[38:39], -v[52:53], v[86:87], v[38:39]
	s_waitcnt lgkmcnt(1)
	v_fma_f64 v[38:39], -v[46:47], v[68:69], v[38:39]
	v_or_b32_e32 v68, s13, v0
	s_or_b32 s13, s12, 0x340
	s_add_i32 s16, s13, s9
	s_lshl_b32 s16, s16, 3
	v_fma_f64 v[38:39], -v[48:49], v[70:71], v[38:39]
	v_mov_b32_e32 v84, s16
	s_waitcnt lgkmcnt(0)
	v_fma_f64 v[38:39], -v[42:43], v[76:77], v[38:39]
	v_lshlrev_b32_e32 v72, 3, v68
	ds_read_b128 v[68:71], v84
	v_fma_f64 v[38:39], -v[44:45], v[78:79], v[38:39]
	v_mul_f64 v[38:39], v[74:75], v[38:39]
	ds_write_b64 v72, v[38:39] offset:32768
	ds_read_b128 v[72:75], v84 offset:16
	ds_read_b128 v[76:79], v84 offset:32
	;; [unrolled: 1-line block ×3, first 2 shown]
	s_waitcnt lgkmcnt(4)
	v_fma_f64 v[40:41], -v[62:63], v[68:69], v[40:41]
	v_fma_f64 v[40:41], -v[64:65], v[70:71], v[40:41]
	s_waitcnt lgkmcnt(2)
	v_fma_f64 v[40:41], -v[58:59], v[72:73], v[40:41]
	v_fma_f64 v[40:41], -v[60:61], v[74:75], v[40:41]
	ds_read_b128 v[68:71], v84 offset:64
	ds_read_b128 v[72:75], v84 offset:80
	s_waitcnt lgkmcnt(3)
	v_fma_f64 v[40:41], -v[54:55], v[76:77], v[40:41]
	v_fma_f64 v[40:41], -v[56:57], v[78:79], v[40:41]
	s_waitcnt lgkmcnt(2)
	v_fma_f64 v[40:41], -v[50:51], v[80:81], v[40:41]
	v_fma_f64 v[40:41], -v[52:53], v[82:83], v[40:41]
	;; [unrolled: 3-line block ×4, first 2 shown]
	s_or_b32 s16, s9, 14
	ds_read_b64 v[74:75], v84 offset:96
	ds_read_b64 v[72:73], v67 offset:6760
	s_lshl_b32 s17, s16, 6
	s_add_i32 s18, s17, s9
	s_lshl_b32 s18, s18, 3
	v_mov_b32_e32 v67, s18
	ds_read_b128 v[68:71], v67
	s_waitcnt lgkmcnt(2)
	v_fma_f64 v[40:41], -v[38:39], v[74:75], v[40:41]
	s_waitcnt lgkmcnt(1)
	v_mul_f64 v[40:41], v[72:73], v[40:41]
	v_or_b32_e32 v72, s13, v0
	v_lshlrev_b32_e32 v76, 3, v72
	ds_read_b128 v[72:75], v67 offset:16
	ds_write_b64 v76, v[40:41] offset:32768
	ds_read_b128 v[76:79], v67 offset:32
	s_waitcnt lgkmcnt(3)
	v_fma_f64 v[34:35], -v[62:63], v[68:69], v[34:35]
	v_fma_f64 v[34:35], -v[64:65], v[70:71], v[34:35]
	ds_read_b128 v[68:71], v67 offset:48
	s_waitcnt lgkmcnt(3)
	v_fma_f64 v[34:35], -v[58:59], v[72:73], v[34:35]
	v_fma_f64 v[34:35], -v[60:61], v[74:75], v[34:35]
	;; [unrolled: 4-line block ×4, first 2 shown]
	ds_read_b128 v[68:71], v67 offset:96
	s_mul_i32 s13, s16, 0x208
	s_waitcnt lgkmcnt(2)
	v_fma_f64 v[34:35], -v[46:47], v[72:73], v[34:35]
	v_mov_b32_e32 v67, s13
	v_fma_f64 v[34:35], -v[48:49], v[74:75], v[34:35]
	s_or_b32 s13, s12, 0x3c0
	ds_read_b64 v[72:73], v67
	s_waitcnt lgkmcnt(2)
	v_fma_f64 v[34:35], -v[42:43], v[76:77], v[34:35]
	s_add_i32 s16, s13, s9
	v_fma_f64 v[34:35], -v[44:45], v[78:79], v[34:35]
	s_lshl_b32 s16, s16, 3
	s_waitcnt lgkmcnt(1)
	v_fma_f64 v[34:35], -v[38:39], v[68:69], v[34:35]
	v_mov_b32_e32 v67, s16
	v_fma_f64 v[34:35], -v[40:41], v[70:71], v[34:35]
	ds_read_b128 v[68:71], v67
	s_waitcnt lgkmcnt(1)
	v_mul_f64 v[34:35], v[72:73], v[34:35]
	v_or_b32_e32 v72, s17, v0
	v_lshlrev_b32_e32 v76, 3, v72
	ds_read_b128 v[72:75], v67 offset:16
	ds_write_b64 v76, v[34:35] offset:32768
	ds_read_b128 v[76:79], v67 offset:32
	s_waitcnt lgkmcnt(3)
	v_fma_f64 v[36:37], -v[62:63], v[68:69], v[36:37]
	v_fma_f64 v[36:37], -v[64:65], v[70:71], v[36:37]
	ds_read_b128 v[68:71], v67 offset:48
	s_waitcnt lgkmcnt(3)
	v_fma_f64 v[36:37], -v[58:59], v[72:73], v[36:37]
	v_fma_f64 v[36:37], -v[60:61], v[74:75], v[36:37]
	;; [unrolled: 4-line block ×5, first 2 shown]
	s_waitcnt lgkmcnt(1)
	v_fma_f64 v[36:37], -v[42:43], v[76:77], v[36:37]
	v_fma_f64 v[36:37], -v[44:45], v[78:79], v[36:37]
	s_waitcnt lgkmcnt(0)
	v_fma_f64 v[36:37], -v[38:39], v[68:69], v[36:37]
	s_or_b32 s16, s9, 16
	v_fma_f64 v[36:37], -v[40:41], v[70:71], v[36:37]
	s_lshl_b32 s17, s16, 6
	ds_read_b128 v[68:71], v67 offset:112
	s_add_i32 s18, s17, s9
	s_lshl_b32 s18, s18, 3
	v_mov_b32_e32 v67, s18
	ds_read_b128 v[72:75], v67
	s_waitcnt lgkmcnt(1)
	v_fma_f64 v[36:37], -v[34:35], v[68:69], v[36:37]
	v_or_b32_e32 v68, s13, v0
	v_mul_f64 v[36:37], v[70:71], v[36:37]
	v_lshlrev_b32_e32 v76, 3, v68
	ds_read_b128 v[68:71], v67 offset:16
	ds_write_b64 v76, v[36:37] offset:32768
	ds_read_b128 v[76:79], v67 offset:32
	s_waitcnt lgkmcnt(3)
	v_fma_f64 v[30:31], -v[62:63], v[72:73], v[30:31]
	v_fma_f64 v[30:31], -v[64:65], v[74:75], v[30:31]
	ds_read_b128 v[72:75], v67 offset:48
	s_waitcnt lgkmcnt(3)
	v_fma_f64 v[30:31], -v[58:59], v[68:69], v[30:31]
	v_fma_f64 v[30:31], -v[60:61], v[70:71], v[30:31]
	;; [unrolled: 4-line block ×4, first 2 shown]
	s_waitcnt lgkmcnt(1)
	v_fma_f64 v[30:31], -v[46:47], v[68:69], v[30:31]
	v_fma_f64 v[30:31], -v[48:49], v[70:71], v[30:31]
	ds_read_b128 v[68:71], v67 offset:96
	ds_read_b128 v[72:75], v67 offset:112
	s_mul_i32 s13, s16, 0x208
	s_waitcnt lgkmcnt(2)
	v_fma_f64 v[30:31], -v[42:43], v[76:77], v[30:31]
	v_mov_b32_e32 v67, s13
	s_or_b32 s13, s12, 0x440
	v_fma_f64 v[30:31], -v[44:45], v[78:79], v[30:31]
	ds_read_b64 v[76:77], v67
	s_add_i32 s16, s13, s9
	s_waitcnt lgkmcnt(2)
	v_fma_f64 v[30:31], -v[38:39], v[68:69], v[30:31]
	s_lshl_b32 s16, s16, 3
	v_fma_f64 v[30:31], -v[40:41], v[70:71], v[30:31]
	v_mov_b32_e32 v84, s16
	ds_read_b128 v[68:71], v84
	s_waitcnt lgkmcnt(2)
	v_fma_f64 v[30:31], -v[34:35], v[72:73], v[30:31]
	v_fma_f64 v[30:31], -v[36:37], v[74:75], v[30:31]
	v_or_b32_e32 v67, s17, v0
	s_waitcnt lgkmcnt(1)
	v_mul_f64 v[30:31], v[76:77], v[30:31]
	v_lshlrev_b32_e32 v67, 3, v67
	ds_write_b64 v67, v[30:31] offset:32768
	ds_read_b128 v[72:75], v84 offset:16
	ds_read_b128 v[76:79], v84 offset:32
	;; [unrolled: 1-line block ×3, first 2 shown]
	s_waitcnt lgkmcnt(4)
	v_fma_f64 v[32:33], -v[62:63], v[68:69], v[32:33]
	v_fma_f64 v[32:33], -v[64:65], v[70:71], v[32:33]
	s_waitcnt lgkmcnt(2)
	v_fma_f64 v[32:33], -v[58:59], v[72:73], v[32:33]
	v_fma_f64 v[32:33], -v[60:61], v[74:75], v[32:33]
	ds_read_b128 v[68:71], v84 offset:64
	ds_read_b128 v[72:75], v84 offset:80
	s_waitcnt lgkmcnt(3)
	v_fma_f64 v[32:33], -v[54:55], v[76:77], v[32:33]
	v_fma_f64 v[32:33], -v[56:57], v[78:79], v[32:33]
	s_waitcnt lgkmcnt(2)
	v_fma_f64 v[32:33], -v[50:51], v[80:81], v[32:33]
	v_fma_f64 v[32:33], -v[52:53], v[82:83], v[32:33]
	ds_read_b128 v[76:79], v84 offset:96
	s_waitcnt lgkmcnt(2)
	v_fma_f64 v[32:33], -v[46:47], v[68:69], v[32:33]
	v_fma_f64 v[32:33], -v[48:49], v[70:71], v[32:33]
	ds_read_b128 v[68:71], v84 offset:112
	s_waitcnt lgkmcnt(2)
	v_fma_f64 v[32:33], -v[42:43], v[72:73], v[32:33]
	v_fma_f64 v[32:33], -v[44:45], v[74:75], v[32:33]
	s_waitcnt lgkmcnt(1)
	v_fma_f64 v[32:33], -v[38:39], v[76:77], v[32:33]
	v_fma_f64 v[32:33], -v[40:41], v[78:79], v[32:33]
	s_waitcnt lgkmcnt(0)
	v_fma_f64 v[32:33], -v[34:35], v[68:69], v[32:33]
	s_or_b32 s16, s9, 18
	v_fma_f64 v[32:33], -v[36:37], v[70:71], v[32:33]
	s_lshl_b32 s17, s16, 6
	ds_read_b128 v[68:71], v84 offset:128
	s_add_i32 s18, s17, s9
	s_lshl_b32 s18, s18, 3
	v_mov_b32_e32 v67, s18
	ds_read_b128 v[72:75], v67
	s_waitcnt lgkmcnt(1)
	v_fma_f64 v[32:33], -v[30:31], v[68:69], v[32:33]
	v_or_b32_e32 v68, s13, v0
	v_mul_f64 v[32:33], v[70:71], v[32:33]
	v_lshlrev_b32_e32 v76, 3, v68
	ds_read_b128 v[68:71], v67 offset:16
	ds_write_b64 v76, v[32:33] offset:32768
	ds_read_b128 v[76:79], v67 offset:32
	s_waitcnt lgkmcnt(3)
	v_fma_f64 v[26:27], -v[62:63], v[72:73], v[26:27]
	v_fma_f64 v[26:27], -v[64:65], v[74:75], v[26:27]
	ds_read_b128 v[72:75], v67 offset:48
	s_waitcnt lgkmcnt(3)
	v_fma_f64 v[26:27], -v[58:59], v[68:69], v[26:27]
	v_fma_f64 v[26:27], -v[60:61], v[70:71], v[26:27]
	;; [unrolled: 4-line block ×4, first 2 shown]
	s_waitcnt lgkmcnt(1)
	v_fma_f64 v[26:27], -v[46:47], v[68:69], v[26:27]
	v_fma_f64 v[26:27], -v[48:49], v[70:71], v[26:27]
	ds_read_b128 v[68:71], v67 offset:96
	ds_read_b128 v[72:75], v67 offset:112
	s_waitcnt lgkmcnt(2)
	v_fma_f64 v[26:27], -v[42:43], v[76:77], v[26:27]
	v_fma_f64 v[26:27], -v[44:45], v[78:79], v[26:27]
	ds_read_b128 v[76:79], v67 offset:128
	s_waitcnt lgkmcnt(2)
	v_fma_f64 v[26:27], -v[38:39], v[68:69], v[26:27]
	s_mul_i32 s13, s16, 0x208
	v_fma_f64 v[26:27], -v[40:41], v[70:71], v[26:27]
	v_mov_b32_e32 v67, s13
	s_waitcnt lgkmcnt(1)
	v_fma_f64 v[26:27], -v[34:35], v[72:73], v[26:27]
	s_or_b32 s13, s12, 0x4c0
	ds_read_b64 v[72:73], v67
	s_add_i32 s16, s13, s9
	v_fma_f64 v[26:27], -v[36:37], v[74:75], v[26:27]
	s_lshl_b32 s16, s16, 3
	s_waitcnt lgkmcnt(1)
	v_fma_f64 v[26:27], -v[30:31], v[76:77], v[26:27]
	v_mov_b32_e32 v67, s16
	v_fma_f64 v[26:27], -v[32:33], v[78:79], v[26:27]
	ds_read_b128 v[68:71], v67
	s_waitcnt lgkmcnt(1)
	v_mul_f64 v[26:27], v[72:73], v[26:27]
	v_or_b32_e32 v72, s17, v0
	v_lshlrev_b32_e32 v76, 3, v72
	ds_read_b128 v[72:75], v67 offset:16
	ds_write_b64 v76, v[26:27] offset:32768
	ds_read_b128 v[76:79], v67 offset:32
	s_waitcnt lgkmcnt(3)
	v_fma_f64 v[28:29], -v[62:63], v[68:69], v[28:29]
	v_fma_f64 v[28:29], -v[64:65], v[70:71], v[28:29]
	ds_read_b128 v[68:71], v67 offset:48
	s_waitcnt lgkmcnt(3)
	v_fma_f64 v[28:29], -v[58:59], v[72:73], v[28:29]
	v_fma_f64 v[28:29], -v[60:61], v[74:75], v[28:29]
	;; [unrolled: 4-line block ×6, first 2 shown]
	ds_read_b128 v[76:79], v67 offset:128
	s_waitcnt lgkmcnt(2)
	v_fma_f64 v[28:29], -v[38:39], v[68:69], v[28:29]
	s_or_b32 s16, s9, 20
	v_fma_f64 v[28:29], -v[40:41], v[70:71], v[28:29]
	ds_read_b128 v[68:71], v67 offset:144
	s_lshl_b32 s17, s16, 6
	s_waitcnt lgkmcnt(2)
	v_fma_f64 v[28:29], -v[34:35], v[72:73], v[28:29]
	s_add_i32 s18, s17, s9
	v_fma_f64 v[28:29], -v[36:37], v[74:75], v[28:29]
	s_lshl_b32 s18, s18, 3
	s_waitcnt lgkmcnt(1)
	v_fma_f64 v[28:29], -v[30:31], v[76:77], v[28:29]
	v_mov_b32_e32 v67, s18
	v_fma_f64 v[28:29], -v[32:33], v[78:79], v[28:29]
	ds_read_b128 v[72:75], v67
	s_waitcnt lgkmcnt(1)
	v_fma_f64 v[28:29], -v[26:27], v[68:69], v[28:29]
	v_or_b32_e32 v68, s13, v0
	v_mul_f64 v[28:29], v[70:71], v[28:29]
	v_lshlrev_b32_e32 v76, 3, v68
	ds_read_b128 v[68:71], v67 offset:16
	ds_write_b64 v76, v[28:29] offset:32768
	ds_read_b128 v[76:79], v67 offset:32
	s_waitcnt lgkmcnt(3)
	v_fma_f64 v[22:23], -v[62:63], v[72:73], v[22:23]
	v_fma_f64 v[22:23], -v[64:65], v[74:75], v[22:23]
	ds_read_b128 v[72:75], v67 offset:48
	s_waitcnt lgkmcnt(3)
	v_fma_f64 v[22:23], -v[58:59], v[68:69], v[22:23]
	v_fma_f64 v[22:23], -v[60:61], v[70:71], v[22:23]
	;; [unrolled: 4-line block ×6, first 2 shown]
	s_waitcnt lgkmcnt(1)
	v_fma_f64 v[22:23], -v[38:39], v[72:73], v[22:23]
	v_fma_f64 v[22:23], -v[40:41], v[74:75], v[22:23]
	ds_read_b128 v[72:75], v67 offset:128
	s_waitcnt lgkmcnt(1)
	v_fma_f64 v[22:23], -v[34:35], v[68:69], v[22:23]
	v_fma_f64 v[22:23], -v[36:37], v[70:71], v[22:23]
	ds_read_b128 v[68:71], v67 offset:144
	s_mul_i32 s13, s16, 0x208
	v_mov_b32_e32 v67, s13
	s_or_b32 s13, s12, 0x540
	ds_read_b64 v[76:77], v67
	s_waitcnt lgkmcnt(2)
	v_fma_f64 v[22:23], -v[30:31], v[72:73], v[22:23]
	s_add_i32 s16, s13, s9
	v_fma_f64 v[22:23], -v[32:33], v[74:75], v[22:23]
	s_lshl_b32 s16, s16, 3
	s_waitcnt lgkmcnt(1)
	v_fma_f64 v[22:23], -v[26:27], v[68:69], v[22:23]
	v_mov_b32_e32 v84, s16
	v_fma_f64 v[22:23], -v[28:29], v[70:71], v[22:23]
	ds_read_b128 v[68:71], v84
	v_or_b32_e32 v67, s17, v0
	s_waitcnt lgkmcnt(1)
	v_mul_f64 v[22:23], v[76:77], v[22:23]
	v_lshlrev_b32_e32 v67, 3, v67
	ds_write_b64 v67, v[22:23] offset:32768
	ds_read_b128 v[72:75], v84 offset:16
	ds_read_b128 v[76:79], v84 offset:32
	;; [unrolled: 1-line block ×3, first 2 shown]
	s_waitcnt lgkmcnt(4)
	v_fma_f64 v[24:25], -v[62:63], v[68:69], v[24:25]
	v_fma_f64 v[24:25], -v[64:65], v[70:71], v[24:25]
	s_waitcnt lgkmcnt(2)
	v_fma_f64 v[24:25], -v[58:59], v[72:73], v[24:25]
	v_fma_f64 v[24:25], -v[60:61], v[74:75], v[24:25]
	ds_read_b128 v[68:71], v84 offset:64
	ds_read_b128 v[72:75], v84 offset:80
	s_waitcnt lgkmcnt(3)
	v_fma_f64 v[24:25], -v[54:55], v[76:77], v[24:25]
	v_fma_f64 v[24:25], -v[56:57], v[78:79], v[24:25]
	s_waitcnt lgkmcnt(2)
	v_fma_f64 v[24:25], -v[50:51], v[80:81], v[24:25]
	v_fma_f64 v[24:25], -v[52:53], v[82:83], v[24:25]
	ds_read_b128 v[76:79], v84 offset:96
	s_waitcnt lgkmcnt(2)
	v_fma_f64 v[24:25], -v[46:47], v[68:69], v[24:25]
	v_fma_f64 v[24:25], -v[48:49], v[70:71], v[24:25]
	ds_read_b128 v[68:71], v84 offset:112
	;; [unrolled: 4-line block ×4, first 2 shown]
	s_waitcnt lgkmcnt(2)
	v_fma_f64 v[24:25], -v[34:35], v[68:69], v[24:25]
	s_or_b32 s16, s9, 22
	v_fma_f64 v[24:25], -v[36:37], v[70:71], v[24:25]
	s_lshl_b32 s17, s16, 6
	ds_read_b128 v[68:71], v84 offset:160
	s_waitcnt lgkmcnt(2)
	v_fma_f64 v[24:25], -v[30:31], v[72:73], v[24:25]
	s_add_i32 s18, s17, s9
	v_fma_f64 v[24:25], -v[32:33], v[74:75], v[24:25]
	s_lshl_b32 s18, s18, 3
	s_waitcnt lgkmcnt(1)
	v_fma_f64 v[24:25], -v[26:27], v[76:77], v[24:25]
	v_mov_b32_e32 v67, s18
	v_fma_f64 v[24:25], -v[28:29], v[78:79], v[24:25]
	ds_read_b128 v[72:75], v67
	s_waitcnt lgkmcnt(1)
	v_fma_f64 v[24:25], -v[22:23], v[68:69], v[24:25]
	v_or_b32_e32 v68, s13, v0
	v_mul_f64 v[24:25], v[70:71], v[24:25]
	v_lshlrev_b32_e32 v76, 3, v68
	ds_read_b128 v[68:71], v67 offset:16
	ds_write_b64 v76, v[24:25] offset:32768
	ds_read_b128 v[76:79], v67 offset:32
	s_waitcnt lgkmcnt(3)
	v_fma_f64 v[18:19], -v[62:63], v[72:73], v[18:19]
	v_fma_f64 v[18:19], -v[64:65], v[74:75], v[18:19]
	ds_read_b128 v[72:75], v67 offset:48
	s_waitcnt lgkmcnt(3)
	v_fma_f64 v[18:19], -v[58:59], v[68:69], v[18:19]
	v_fma_f64 v[18:19], -v[60:61], v[70:71], v[18:19]
	;; [unrolled: 4-line block ×6, first 2 shown]
	s_waitcnt lgkmcnt(1)
	v_fma_f64 v[18:19], -v[38:39], v[72:73], v[18:19]
	v_fma_f64 v[18:19], -v[40:41], v[74:75], v[18:19]
	ds_read_b128 v[72:75], v67 offset:128
	ds_read_b128 v[76:79], v67 offset:144
	s_waitcnt lgkmcnt(2)
	v_fma_f64 v[18:19], -v[34:35], v[68:69], v[18:19]
	v_fma_f64 v[18:19], -v[36:37], v[70:71], v[18:19]
	ds_read_b128 v[68:71], v67 offset:160
	s_mul_i32 s13, s16, 0x208
	s_waitcnt lgkmcnt(2)
	v_fma_f64 v[18:19], -v[30:31], v[72:73], v[18:19]
	v_mov_b32_e32 v67, s13
	v_fma_f64 v[18:19], -v[32:33], v[74:75], v[18:19]
	s_or_b32 s13, s12, 0x5c0
	ds_read_b64 v[72:73], v67
	s_waitcnt lgkmcnt(2)
	v_fma_f64 v[18:19], -v[26:27], v[76:77], v[18:19]
	s_add_i32 s16, s13, s9
	v_fma_f64 v[18:19], -v[28:29], v[78:79], v[18:19]
	s_lshl_b32 s16, s16, 3
	s_waitcnt lgkmcnt(1)
	v_fma_f64 v[18:19], -v[22:23], v[68:69], v[18:19]
	v_mov_b32_e32 v67, s16
	v_fma_f64 v[18:19], -v[24:25], v[70:71], v[18:19]
	ds_read_b128 v[68:71], v67
	s_waitcnt lgkmcnt(1)
	v_mul_f64 v[18:19], v[72:73], v[18:19]
	v_or_b32_e32 v72, s17, v0
	v_lshlrev_b32_e32 v76, 3, v72
	ds_read_b128 v[72:75], v67 offset:16
	ds_write_b64 v76, v[18:19] offset:32768
	ds_read_b128 v[76:79], v67 offset:32
	s_waitcnt lgkmcnt(3)
	v_fma_f64 v[20:21], -v[62:63], v[68:69], v[20:21]
	v_fma_f64 v[20:21], -v[64:65], v[70:71], v[20:21]
	ds_read_b128 v[68:71], v67 offset:48
	s_waitcnt lgkmcnt(3)
	v_fma_f64 v[20:21], -v[58:59], v[72:73], v[20:21]
	v_fma_f64 v[20:21], -v[60:61], v[74:75], v[20:21]
	;; [unrolled: 4-line block ×6, first 2 shown]
	s_waitcnt lgkmcnt(1)
	v_fma_f64 v[20:21], -v[38:39], v[68:69], v[20:21]
	v_fma_f64 v[20:21], -v[40:41], v[70:71], v[20:21]
	ds_read_b128 v[68:71], v67 offset:128
	ds_read_b128 v[76:79], v67 offset:144
	s_waitcnt lgkmcnt(2)
	v_fma_f64 v[20:21], -v[34:35], v[72:73], v[20:21]
	v_fma_f64 v[20:21], -v[36:37], v[74:75], v[20:21]
	ds_read_b128 v[72:75], v67 offset:160
	s_waitcnt lgkmcnt(2)
	v_fma_f64 v[20:21], -v[30:31], v[68:69], v[20:21]
	s_or_b32 s16, s9, 24
	v_fma_f64 v[20:21], -v[32:33], v[70:71], v[20:21]
	ds_read_b128 v[68:71], v67 offset:176
	s_lshl_b32 s17, s16, 6
	s_waitcnt lgkmcnt(2)
	v_fma_f64 v[20:21], -v[26:27], v[76:77], v[20:21]
	s_add_i32 s18, s17, s9
	v_fma_f64 v[20:21], -v[28:29], v[78:79], v[20:21]
	s_lshl_b32 s18, s18, 3
	s_waitcnt lgkmcnt(1)
	v_fma_f64 v[20:21], -v[22:23], v[72:73], v[20:21]
	v_mov_b32_e32 v67, s18
	v_fma_f64 v[20:21], -v[24:25], v[74:75], v[20:21]
	ds_read_b128 v[72:75], v67
	s_waitcnt lgkmcnt(1)
	v_fma_f64 v[20:21], -v[18:19], v[68:69], v[20:21]
	v_or_b32_e32 v68, s13, v0
	v_mul_f64 v[20:21], v[70:71], v[20:21]
	v_lshlrev_b32_e32 v76, 3, v68
	ds_read_b128 v[68:71], v67 offset:16
	ds_write_b64 v76, v[20:21] offset:32768
	ds_read_b128 v[76:79], v67 offset:32
	s_waitcnt lgkmcnt(3)
	v_fma_f64 v[14:15], -v[62:63], v[72:73], v[14:15]
	v_fma_f64 v[14:15], -v[64:65], v[74:75], v[14:15]
	ds_read_b128 v[72:75], v67 offset:48
	s_waitcnt lgkmcnt(3)
	v_fma_f64 v[14:15], -v[58:59], v[68:69], v[14:15]
	v_fma_f64 v[14:15], -v[60:61], v[70:71], v[14:15]
	;; [unrolled: 4-line block ×8, first 2 shown]
	s_waitcnt lgkmcnt(1)
	v_fma_f64 v[14:15], -v[30:31], v[76:77], v[14:15]
	v_fma_f64 v[14:15], -v[32:33], v[78:79], v[14:15]
	ds_read_b128 v[68:71], v67 offset:160
	s_waitcnt lgkmcnt(1)
	v_fma_f64 v[14:15], -v[26:27], v[72:73], v[14:15]
	v_fma_f64 v[14:15], -v[28:29], v[74:75], v[14:15]
	ds_read_b128 v[72:75], v67 offset:176
	s_mul_i32 s13, s16, 0x208
	v_mov_b32_e32 v67, s13
	s_or_b32 s13, s12, 0x640
	ds_read_b64 v[76:77], v67
	s_add_i32 s16, s13, s9
	s_waitcnt lgkmcnt(2)
	v_fma_f64 v[14:15], -v[22:23], v[68:69], v[14:15]
	s_lshl_b32 s16, s16, 3
	v_fma_f64 v[14:15], -v[24:25], v[70:71], v[14:15]
	v_mov_b32_e32 v84, s16
	ds_read_b128 v[68:71], v84
	s_waitcnt lgkmcnt(2)
	v_fma_f64 v[14:15], -v[18:19], v[72:73], v[14:15]
	v_fma_f64 v[14:15], -v[20:21], v[74:75], v[14:15]
	v_or_b32_e32 v67, s17, v0
	s_waitcnt lgkmcnt(1)
	v_mul_f64 v[14:15], v[76:77], v[14:15]
	v_lshlrev_b32_e32 v67, 3, v67
	ds_write_b64 v67, v[14:15] offset:32768
	ds_read_b128 v[72:75], v84 offset:16
	ds_read_b128 v[76:79], v84 offset:32
	;; [unrolled: 1-line block ×3, first 2 shown]
	s_waitcnt lgkmcnt(4)
	v_fma_f64 v[16:17], -v[62:63], v[68:69], v[16:17]
	v_fma_f64 v[16:17], -v[64:65], v[70:71], v[16:17]
	s_waitcnt lgkmcnt(2)
	v_fma_f64 v[16:17], -v[58:59], v[72:73], v[16:17]
	v_fma_f64 v[16:17], -v[60:61], v[74:75], v[16:17]
	ds_read_b128 v[68:71], v84 offset:64
	ds_read_b128 v[72:75], v84 offset:80
	s_waitcnt lgkmcnt(3)
	v_fma_f64 v[16:17], -v[54:55], v[76:77], v[16:17]
	v_fma_f64 v[16:17], -v[56:57], v[78:79], v[16:17]
	s_waitcnt lgkmcnt(2)
	v_fma_f64 v[16:17], -v[50:51], v[80:81], v[16:17]
	v_fma_f64 v[16:17], -v[52:53], v[82:83], v[16:17]
	ds_read_b128 v[76:79], v84 offset:96
	s_waitcnt lgkmcnt(2)
	v_fma_f64 v[16:17], -v[46:47], v[68:69], v[16:17]
	v_fma_f64 v[16:17], -v[48:49], v[70:71], v[16:17]
	ds_read_b128 v[68:71], v84 offset:112
	s_waitcnt lgkmcnt(2)
	v_fma_f64 v[16:17], -v[42:43], v[72:73], v[16:17]
	v_fma_f64 v[16:17], -v[44:45], v[74:75], v[16:17]
	s_waitcnt lgkmcnt(1)
	v_fma_f64 v[16:17], -v[38:39], v[76:77], v[16:17]
	ds_read_b128 v[72:75], v84 offset:128
	v_fma_f64 v[16:17], -v[40:41], v[78:79], v[16:17]
	s_waitcnt lgkmcnt(1)
	v_fma_f64 v[16:17], -v[34:35], v[68:69], v[16:17]
	v_fma_f64 v[16:17], -v[36:37], v[70:71], v[16:17]
	ds_read_b128 v[68:71], v84 offset:144
	ds_read_b128 v[76:79], v84 offset:160
	s_waitcnt lgkmcnt(2)
	v_fma_f64 v[16:17], -v[30:31], v[72:73], v[16:17]
	v_fma_f64 v[16:17], -v[32:33], v[74:75], v[16:17]
	ds_read_b128 v[72:75], v84 offset:176
	s_waitcnt lgkmcnt(2)
	v_fma_f64 v[16:17], -v[26:27], v[68:69], v[16:17]
	s_or_b32 s16, s9, 26
	v_fma_f64 v[16:17], -v[28:29], v[70:71], v[16:17]
	s_lshl_b32 s17, s16, 6
	ds_read_b128 v[68:71], v84 offset:192
	s_waitcnt lgkmcnt(2)
	v_fma_f64 v[16:17], -v[22:23], v[76:77], v[16:17]
	s_add_i32 s18, s17, s9
	v_fma_f64 v[16:17], -v[24:25], v[78:79], v[16:17]
	s_lshl_b32 s18, s18, 3
	s_waitcnt lgkmcnt(1)
	v_fma_f64 v[16:17], -v[18:19], v[72:73], v[16:17]
	v_mov_b32_e32 v67, s18
	v_fma_f64 v[16:17], -v[20:21], v[74:75], v[16:17]
	ds_read_b128 v[72:75], v67
	s_waitcnt lgkmcnt(1)
	v_fma_f64 v[16:17], -v[14:15], v[68:69], v[16:17]
	v_or_b32_e32 v68, s13, v0
	v_mul_f64 v[16:17], v[70:71], v[16:17]
	v_lshlrev_b32_e32 v76, 3, v68
	ds_read_b128 v[68:71], v67 offset:16
	ds_write_b64 v76, v[16:17] offset:32768
	ds_read_b128 v[76:79], v67 offset:32
	s_waitcnt lgkmcnt(3)
	v_fma_f64 v[10:11], -v[62:63], v[72:73], v[10:11]
	v_fma_f64 v[10:11], -v[64:65], v[74:75], v[10:11]
	ds_read_b128 v[72:75], v67 offset:48
	s_waitcnt lgkmcnt(3)
	v_fma_f64 v[10:11], -v[58:59], v[68:69], v[10:11]
	v_fma_f64 v[10:11], -v[60:61], v[70:71], v[10:11]
	;; [unrolled: 4-line block ×11, first 2 shown]
	s_waitcnt lgkmcnt(1)
	v_fma_f64 v[10:11], -v[18:19], v[76:77], v[10:11]
	s_mul_i32 s13, s16, 0x208
	v_fma_f64 v[10:11], -v[20:21], v[78:79], v[10:11]
	v_mov_b32_e32 v67, s13
	s_waitcnt lgkmcnt(0)
	v_fma_f64 v[10:11], -v[14:15], v[72:73], v[10:11]
	s_or_b32 s13, s12, 0x6c0
	ds_read_b64 v[72:73], v67
	s_add_i32 s16, s13, s9
	s_lshl_b32 s16, s16, 3
	v_mov_b32_e32 v67, s16
	v_fma_f64 v[10:11], -v[16:17], v[74:75], v[10:11]
	ds_read_b128 v[68:71], v67
	s_waitcnt lgkmcnt(1)
	v_mul_f64 v[10:11], v[72:73], v[10:11]
	v_or_b32_e32 v72, s17, v0
	v_lshlrev_b32_e32 v76, 3, v72
	ds_read_b128 v[72:75], v67 offset:16
	ds_write_b64 v76, v[10:11] offset:32768
	ds_read_b128 v[76:79], v67 offset:32
	s_waitcnt lgkmcnt(3)
	v_fma_f64 v[12:13], -v[62:63], v[68:69], v[12:13]
	v_fma_f64 v[12:13], -v[64:65], v[70:71], v[12:13]
	ds_read_b128 v[68:71], v67 offset:48
	s_waitcnt lgkmcnt(3)
	v_fma_f64 v[12:13], -v[58:59], v[72:73], v[12:13]
	v_fma_f64 v[12:13], -v[60:61], v[74:75], v[12:13]
	;; [unrolled: 4-line block ×11, first 2 shown]
	s_waitcnt lgkmcnt(1)
	v_fma_f64 v[12:13], -v[18:19], v[76:77], v[12:13]
	v_fma_f64 v[12:13], -v[20:21], v[78:79], v[12:13]
	s_waitcnt lgkmcnt(0)
	v_fma_f64 v[12:13], -v[14:15], v[68:69], v[12:13]
	s_or_b32 s16, s9, 28
	v_fma_f64 v[12:13], -v[16:17], v[70:71], v[12:13]
	s_lshl_b32 s17, s16, 6
	ds_read_b128 v[68:71], v67 offset:208
	s_add_i32 s18, s17, s9
	s_lshl_b32 s18, s18, 3
	v_mov_b32_e32 v67, s18
	ds_read_b128 v[72:75], v67
	s_waitcnt lgkmcnt(1)
	v_fma_f64 v[12:13], -v[10:11], v[68:69], v[12:13]
	v_or_b32_e32 v68, s13, v0
	v_mul_f64 v[12:13], v[70:71], v[12:13]
	v_lshlrev_b32_e32 v76, 3, v68
	ds_read_b128 v[68:71], v67 offset:16
	ds_write_b64 v76, v[12:13] offset:32768
	ds_read_b128 v[76:79], v67 offset:32
	s_waitcnt lgkmcnt(3)
	v_fma_f64 v[6:7], -v[62:63], v[72:73], v[6:7]
	v_fma_f64 v[6:7], -v[64:65], v[74:75], v[6:7]
	ds_read_b128 v[72:75], v67 offset:48
	s_waitcnt lgkmcnt(3)
	v_fma_f64 v[6:7], -v[58:59], v[68:69], v[6:7]
	v_fma_f64 v[6:7], -v[60:61], v[70:71], v[6:7]
	;; [unrolled: 4-line block ×10, first 2 shown]
	s_waitcnt lgkmcnt(1)
	v_fma_f64 v[6:7], -v[22:23], v[68:69], v[6:7]
	v_fma_f64 v[6:7], -v[24:25], v[70:71], v[6:7]
	ds_read_b128 v[68:71], v67 offset:192
	ds_read_b128 v[72:75], v67 offset:208
	s_mul_i32 s13, s16, 0x208
	s_waitcnt lgkmcnt(2)
	v_fma_f64 v[6:7], -v[18:19], v[76:77], v[6:7]
	v_mov_b32_e32 v67, s13
	s_or_b32 s16, s12, 0x740
	v_fma_f64 v[6:7], -v[20:21], v[78:79], v[6:7]
	ds_read_b64 v[76:77], v67
	s_add_i32 s13, s16, s9
	s_waitcnt lgkmcnt(2)
	v_fma_f64 v[6:7], -v[14:15], v[68:69], v[6:7]
	s_lshl_b32 s13, s13, 3
	v_fma_f64 v[6:7], -v[16:17], v[70:71], v[6:7]
	v_mov_b32_e32 v84, s13
	ds_read_b128 v[68:71], v84
	s_waitcnt lgkmcnt(2)
	v_fma_f64 v[6:7], -v[10:11], v[72:73], v[6:7]
	v_fma_f64 v[6:7], -v[12:13], v[74:75], v[6:7]
	v_or_b32_e32 v67, s17, v0
	s_waitcnt lgkmcnt(1)
	v_mul_f64 v[6:7], v[76:77], v[6:7]
	v_lshlrev_b32_e32 v67, 3, v67
	ds_write_b64 v67, v[6:7] offset:32768
	ds_read_b128 v[72:75], v84 offset:16
	ds_read_b128 v[76:79], v84 offset:32
	;; [unrolled: 1-line block ×3, first 2 shown]
	s_waitcnt lgkmcnt(4)
	v_fma_f64 v[8:9], -v[62:63], v[68:69], v[8:9]
	v_fma_f64 v[8:9], -v[64:65], v[70:71], v[8:9]
	s_waitcnt lgkmcnt(2)
	v_fma_f64 v[8:9], -v[58:59], v[72:73], v[8:9]
	v_fma_f64 v[8:9], -v[60:61], v[74:75], v[8:9]
	ds_read_b128 v[68:71], v84 offset:64
	ds_read_b128 v[72:75], v84 offset:80
	s_waitcnt lgkmcnt(3)
	v_fma_f64 v[8:9], -v[54:55], v[76:77], v[8:9]
	v_fma_f64 v[8:9], -v[56:57], v[78:79], v[8:9]
	s_waitcnt lgkmcnt(2)
	v_fma_f64 v[8:9], -v[50:51], v[80:81], v[8:9]
	v_fma_f64 v[8:9], -v[52:53], v[82:83], v[8:9]
	ds_read_b128 v[76:79], v84 offset:96
	s_waitcnt lgkmcnt(2)
	v_fma_f64 v[8:9], -v[46:47], v[68:69], v[8:9]
	v_fma_f64 v[8:9], -v[48:49], v[70:71], v[8:9]
	ds_read_b128 v[68:71], v84 offset:112
	;; [unrolled: 4-line block ×8, first 2 shown]
	s_waitcnt lgkmcnt(2)
	v_fma_f64 v[8:9], -v[18:19], v[72:73], v[8:9]
	v_fma_f64 v[8:9], -v[20:21], v[74:75], v[8:9]
	s_waitcnt lgkmcnt(1)
	v_fma_f64 v[8:9], -v[14:15], v[76:77], v[8:9]
	v_fma_f64 v[8:9], -v[16:17], v[78:79], v[8:9]
	s_waitcnt lgkmcnt(0)
	v_fma_f64 v[8:9], -v[10:11], v[68:69], v[8:9]
	s_or_b32 s17, s9, 30
	v_fma_f64 v[8:9], -v[12:13], v[70:71], v[8:9]
	s_lshl_b32 s13, s17, 6
	ds_read_b128 v[68:71], v84 offset:224
	s_add_i32 s18, s13, s9
	s_lshl_b32 s18, s18, 3
	v_mov_b32_e32 v67, s18
	ds_read_b128 v[72:75], v67
	s_waitcnt lgkmcnt(1)
	v_fma_f64 v[8:9], -v[6:7], v[68:69], v[8:9]
	v_or_b32_e32 v68, s16, v0
	v_mul_f64 v[8:9], v[70:71], v[8:9]
	v_lshlrev_b32_e32 v76, 3, v68
	ds_read_b128 v[68:71], v67 offset:16
	ds_write_b64 v76, v[8:9] offset:32768
	ds_read_b128 v[76:79], v67 offset:32
	s_waitcnt lgkmcnt(3)
	v_fma_f64 v[2:3], -v[62:63], v[72:73], v[2:3]
	v_fma_f64 v[2:3], -v[64:65], v[74:75], v[2:3]
	ds_read_b128 v[72:75], v67 offset:48
	s_waitcnt lgkmcnt(3)
	v_fma_f64 v[2:3], -v[58:59], v[68:69], v[2:3]
	v_fma_f64 v[2:3], -v[60:61], v[70:71], v[2:3]
	;; [unrolled: 4-line block ×10, first 2 shown]
	s_waitcnt lgkmcnt(1)
	v_fma_f64 v[2:3], -v[22:23], v[68:69], v[2:3]
	v_fma_f64 v[2:3], -v[24:25], v[70:71], v[2:3]
	ds_read_b128 v[68:71], v67 offset:192
	ds_read_b128 v[72:75], v67 offset:208
	s_waitcnt lgkmcnt(2)
	v_fma_f64 v[2:3], -v[18:19], v[76:77], v[2:3]
	v_fma_f64 v[2:3], -v[20:21], v[78:79], v[2:3]
	ds_read_b128 v[76:79], v67 offset:224
	s_waitcnt lgkmcnt(2)
	v_fma_f64 v[2:3], -v[14:15], v[68:69], v[2:3]
	s_mul_i32 s16, s17, 0x208
	v_fma_f64 v[2:3], -v[16:17], v[70:71], v[2:3]
	v_mov_b32_e32 v67, s16
	s_or_b32 s12, s12, 0x7c0
	s_waitcnt lgkmcnt(1)
	v_fma_f64 v[2:3], -v[10:11], v[72:73], v[2:3]
	ds_read_b64 v[72:73], v67
	s_add_i32 s16, s12, s9
	s_lshl_b32 s16, s16, 3
	v_fma_f64 v[2:3], -v[12:13], v[74:75], v[2:3]
	v_mov_b32_e32 v67, s16
	s_waitcnt lgkmcnt(1)
	v_fma_f64 v[2:3], -v[6:7], v[76:77], v[2:3]
	ds_read_b128 v[68:71], v67
	v_fma_f64 v[2:3], -v[8:9], v[78:79], v[2:3]
	s_waitcnt lgkmcnt(1)
	v_mul_f64 v[80:81], v[72:73], v[2:3]
	ds_read_b128 v[72:75], v67 offset:16
	v_or_b32_e32 v2, s13, v0
	v_lshlrev_b32_e32 v2, 3, v2
	ds_write_b64 v2, v[80:81] offset:32768
	ds_read_b128 v[76:79], v67 offset:32
	s_waitcnt lgkmcnt(3)
	v_fma_f64 v[2:3], -v[62:63], v[68:69], v[4:5]
	v_fma_f64 v[2:3], -v[64:65], v[70:71], v[2:3]
	s_waitcnt lgkmcnt(2)
	v_fma_f64 v[58:59], -v[58:59], v[72:73], v[2:3]
	ds_read_b128 v[2:5], v67 offset:48
	v_fma_f64 v[58:59], -v[60:61], v[74:75], v[58:59]
	s_waitcnt lgkmcnt(1)
	v_fma_f64 v[54:55], -v[54:55], v[76:77], v[58:59]
	ds_read_b128 v[58:61], v67 offset:64
	;; [unrolled: 4-line block ×10, first 2 shown]
	v_fma_f64 v[22:23], -v[24:25], v[36:37], v[22:23]
	s_waitcnt lgkmcnt(1)
	v_fma_f64 v[18:19], -v[18:19], v[30:31], v[22:23]
	v_fma_f64 v[22:23], -v[20:21], v[32:33], v[18:19]
	ds_read_b128 v[18:21], v67 offset:208
	s_waitcnt lgkmcnt(1)
	v_fma_f64 v[2:3], -v[14:15], v[2:3], v[22:23]
	ds_read_b128 v[22:25], v67 offset:224
	v_fma_f64 v[14:15], -v[16:17], v[4:5], v[2:3]
	ds_read_b128 v[2:5], v67 offset:240
	s_waitcnt lgkmcnt(2)
	v_fma_f64 v[10:11], -v[10:11], v[18:19], v[14:15]
	v_fma_f64 v[10:11], -v[12:13], v[20:21], v[10:11]
	s_waitcnt lgkmcnt(1)
	v_fma_f64 v[6:7], -v[6:7], v[22:23], v[10:11]
	v_fma_f64 v[6:7], -v[8:9], v[24:25], v[6:7]
	s_waitcnt lgkmcnt(0)
	v_fma_f64 v[2:3], -v[80:81], v[2:3], v[6:7]
	v_mul_f64 v[2:3], v[4:5], v[2:3]
	v_or_b32_e32 v4, s12, v0
	s_add_i32 s12, s9, 32
	s_add_i32 s9, s9, 63
	v_lshlrev_b32_e32 v4, 3, v4
	s_cmp_lt_i32 s9, s30
	ds_write_b64 v4, v[2:3] offset:32768
	s_cbranch_scc0 .LBB107_25
; %bb.24:                               ;   in Loop: Header=BB107_20 Depth=1
	s_mov_b32 s9, s12
	s_branch .LBB107_20
.LBB107_25:
	s_cmp_lt_i32 s12, s30
	s_cbranch_scc0 .LBB107_50
; %bb.26:
	s_add_i32 s8, s12, 3
	s_cmp_ge_i32 s8, s30
	s_cbranch_scc1 .LBB107_38
; %bb.27:
	v_mov_b32_e32 v1, 0x8000
	s_add_i32 s8, s12, -1
	s_lshl_b32 s9, s12, 9
	v_lshl_or_b32 v1, v0, 3, v1
	s_and_b32 s13, s12, -4
	s_and_b32 s16, s12, 3
	s_mov_b32 s17, 0
	v_lshlrev_b32_e32 v10, 3, v0
.LBB107_28:                             ; =>This Loop Header: Depth=1
                                        ;     Child Loop BB107_31 Depth 2
                                        ;     Child Loop BB107_35 Depth 2
	v_lshl_or_b32 v11, s12, 9, v10
	ds_read2st64_b64 v[6:9], v11 offset0:64 offset1:65
	ds_read2st64_b64 v[2:5], v11 offset0:66 offset1:67
	s_cmp_eq_u32 s12, 0
	s_cbranch_scc1 .LBB107_36
; %bb.29:                               ;   in Loop: Header=BB107_28 Depth=1
	s_lshl_b32 s18, s17, 2
	s_add_i32 s18, s8, s18
	s_cmp_lt_u32 s18, 3
	s_cbranch_scc1 .LBB107_33
; %bb.30:                               ;   in Loop: Header=BB107_28 Depth=1
	s_mov_b32 s18, 0
	v_mov_b32_e32 v12, v1
	s_mov_b32 s19, s9
.LBB107_31:                             ;   Parent Loop BB107_28 Depth=1
                                        ; =>  This Inner Loop Header: Depth=2
	v_mov_b32_e32 v13, s19
	ds_read2st64_b64 v[14:17], v12 offset1:1
	ds_read2st64_b64 v[18:21], v12 offset0:2 offset1:3
	ds_read_b128 v[22:25], v13
	ds_read_b128 v[26:29], v13 offset:16
	ds_read_b128 v[30:33], v13 offset:512
	;; [unrolled: 1-line block ×7, first 2 shown]
	s_add_i32 s18, s18, 4
	s_add_i32 s19, s19, 32
	s_waitcnt lgkmcnt(7)
	v_fma_f64 v[6:7], -v[14:15], v[22:23], v[6:7]
	s_waitcnt lgkmcnt(5)
	v_fma_f64 v[8:9], -v[14:15], v[30:31], v[8:9]
	;; [unrolled: 2-line block ×4, first 2 shown]
	v_fma_f64 v[6:7], -v[16:17], v[24:25], v[6:7]
	v_fma_f64 v[8:9], -v[16:17], v[32:33], v[8:9]
	v_fma_f64 v[2:3], -v[16:17], v[40:41], v[2:3]
	v_fma_f64 v[4:5], -v[16:17], v[48:49], v[4:5]
	v_fma_f64 v[6:7], -v[18:19], v[26:27], v[6:7]
	v_fma_f64 v[8:9], -v[18:19], v[34:35], v[8:9]
	v_fma_f64 v[2:3], -v[18:19], v[42:43], v[2:3]
	s_waitcnt lgkmcnt(0)
	v_fma_f64 v[4:5], -v[18:19], v[50:51], v[4:5]
	v_add_u32_e32 v12, 0x800, v12
	s_cmp_lg_u32 s13, s18
	v_fma_f64 v[6:7], -v[20:21], v[28:29], v[6:7]
	v_fma_f64 v[8:9], -v[20:21], v[36:37], v[8:9]
	;; [unrolled: 1-line block ×4, first 2 shown]
	s_cbranch_scc1 .LBB107_31
; %bb.32:                               ;   in Loop: Header=BB107_28 Depth=1
	s_mov_b32 s19, s13
	s_and_b32 s18, s12, 3
	s_cmp_eq_u32 s18, 0
	s_cbranch_scc0 .LBB107_34
	s_branch .LBB107_36
.LBB107_33:                             ;   in Loop: Header=BB107_28 Depth=1
	s_mov_b32 s19, 0
	s_and_b32 s18, s12, 3
	s_cmp_eq_u32 s18, 0
	s_cbranch_scc1 .LBB107_36
.LBB107_34:                             ;   in Loop: Header=BB107_28 Depth=1
	s_lshl_b32 s18, s19, 3
	v_lshl_add_u32 v12, s19, 9, v1
	s_mov_b32 s19, s16
.LBB107_35:                             ;   Parent Loop BB107_28 Depth=1
                                        ; =>  This Inner Loop Header: Depth=2
	s_add_i32 s20, s9, s18
	v_mov_b32_e32 v13, s20
	ds_read_b64 v[22:23], v12
	ds_read2st64_b64 v[14:17], v13 offset1:1
	ds_read2st64_b64 v[18:21], v13 offset0:2 offset1:3
	s_add_i32 s18, s18, 8
	s_add_i32 s19, s19, -1
	v_add_u32_e32 v12, 0x200, v12
	s_cmp_lg_u32 s19, 0
	s_waitcnt lgkmcnt(1)
	v_fma_f64 v[6:7], -v[22:23], v[14:15], v[6:7]
	v_fma_f64 v[8:9], -v[22:23], v[16:17], v[8:9]
	s_waitcnt lgkmcnt(0)
	v_fma_f64 v[2:3], -v[22:23], v[18:19], v[2:3]
	v_fma_f64 v[4:5], -v[22:23], v[20:21], v[4:5]
	s_cbranch_scc1 .LBB107_35
.LBB107_36:                             ;   in Loop: Header=BB107_28 Depth=1
	s_mul_i32 s18, s12, 0x208
	v_mov_b32_e32 v12, s18
	ds_read2_b64 v[12:15], v12 offset1:130
	s_lshl_b32 s18, s12, 6
	s_add_i32 s19, s18, 64
	s_add_i32 s20, s19, s12
	s_lshl_b32 s20, s20, 3
	s_waitcnt lgkmcnt(0)
	v_mul_f64 v[24:25], v[12:13], v[6:7]
	v_mov_b32_e32 v6, s20
	s_add_i32 s20, s18, 0x80
	ds_read2_b64 v[16:19], v6 offset1:1
	s_add_i32 s21, s20, s12
	s_lshl_b32 s21, s21, 3
	v_mov_b32_e32 v6, s21
	ds_read2_b64 v[20:23], v6 offset1:1
	s_waitcnt lgkmcnt(1)
	v_fma_f64 v[6:7], -v[24:25], v[16:17], v[8:9]
	s_addk_i32 s18, 0xc0
	v_mul_f64 v[16:17], v[18:19], v[6:7]
	v_or_b32_e32 v6, s19, v0
	s_add_i32 s19, s18, s12
	v_add_u32_e32 v11, 0x8000, v11
	s_lshl_b32 s19, s19, 3
	ds_write_b64 v11, v[24:25]
	v_lshlrev_b32_e32 v6, 3, v6
	v_mov_b32_e32 v11, s19
	ds_write_b64 v6, v[16:17] offset:32768
	s_waitcnt lgkmcnt(2)
	v_fma_f64 v[2:3], -v[24:25], v[20:21], v[2:3]
	ds_read2_b64 v[6:9], v11 offset1:1
	v_fma_f64 v[2:3], -v[16:17], v[22:23], v[2:3]
	v_mul_f64 v[2:3], v[14:15], v[2:3]
	ds_read2_b64 v[12:15], v11 offset0:2 offset1:3
	v_or_b32_e32 v18, s20, v0
	s_waitcnt lgkmcnt(1)
	v_fma_f64 v[4:5], -v[24:25], v[6:7], v[4:5]
	v_lshlrev_b32_e32 v11, 3, v18
	v_fma_f64 v[4:5], -v[16:17], v[8:9], v[4:5]
	ds_write_b64 v11, v[2:3] offset:32768
	s_waitcnt lgkmcnt(1)
	v_fma_f64 v[2:3], -v[2:3], v[12:13], v[4:5]
	v_or_b32_e32 v4, s18, v0
	s_add_i32 s18, s12, 4
	s_add_i32 s12, s12, 7
	;; [unrolled: 1-line block ×3, first 2 shown]
	s_addk_i32 s9, 0x800
	s_add_i32 s13, s13, 4
	v_mul_f64 v[2:3], v[14:15], v[2:3]
	v_lshlrev_b32_e32 v4, 3, v4
	s_cmp_lt_i32 s12, s30
	ds_write_b64 v4, v[2:3] offset:32768
	s_cbranch_scc0 .LBB107_39
; %bb.37:                               ;   in Loop: Header=BB107_28 Depth=1
	s_mov_b32 s12, s18
	s_branch .LBB107_28
.LBB107_38:
	s_mov_b32 s18, s12
.LBB107_39:
	s_cmp_ge_i32 s18, s30
	s_cbranch_scc1 .LBB107_50
; %bb.40:
	v_mov_b32_e32 v1, 0x8000
	s_add_i32 s8, s18, -1
	v_lshl_or_b32 v1, v0, 3, v1
	s_lshl_b32 s9, s18, 9
	s_mov_b32 s12, 0
	v_lshlrev_b32_e32 v4, 3, v0
	s_mov_b32 s13, s18
	s_branch .LBB107_42
.LBB107_41:                             ;   in Loop: Header=BB107_42 Depth=1
	s_mul_i32 s16, s18, 0x208
	v_mov_b32_e32 v6, s16
	ds_read_b64 v[6:7], v6
	s_add_i32 s18, s18, 1
	s_add_i32 s12, s12, 1
	s_addk_i32 s9, 0x200
	v_add_u16_e64 v8, s13, 1
	v_add_u32_e32 v5, 0x8000, v5
	s_waitcnt lgkmcnt(0)
	v_mul_f64 v[2:3], v[6:7], v[2:3]
	s_cmp_ge_i32 s18, s30
	v_readfirstlane_b32 s13, v8
	ds_write_b64 v5, v[2:3]
	s_cbranch_scc1 .LBB107_50
.LBB107_42:                             ; =>This Loop Header: Depth=1
                                        ;     Child Loop BB107_45 Depth 2
                                        ;     Child Loop BB107_49 Depth 2
	v_lshl_or_b32 v5, s18, 9, v4
	ds_read_b64 v[2:3], v5 offset:32768
	s_cmp_eq_u32 s18, 0
	s_cbranch_scc1 .LBB107_41
; %bb.43:                               ;   in Loop: Header=BB107_42 Depth=1
	s_add_i32 s16, s8, s12
	s_cmp_lt_u32 s16, 7
	s_cbranch_scc1 .LBB107_47
; %bb.44:                               ;   in Loop: Header=BB107_42 Depth=1
	s_and_b32 s16, s18, -8
	s_mov_b32 s17, 0
	s_mov_b32 s19, s9
	v_mov_b32_e32 v6, v1
.LBB107_45:                             ;   Parent Loop BB107_42 Depth=1
                                        ; =>  This Inner Loop Header: Depth=2
	v_mov_b32_e32 v7, s19
	ds_read2st64_b64 v[8:11], v6 offset1:1
	ds_read2st64_b64 v[12:15], v6 offset0:2 offset1:3
	ds_read2st64_b64 v[16:19], v6 offset0:4 offset1:5
	;; [unrolled: 1-line block ×3, first 2 shown]
	ds_read_b128 v[24:27], v7
	ds_read_b128 v[28:31], v7 offset:16
	ds_read_b128 v[32:35], v7 offset:32
	;; [unrolled: 1-line block ×3, first 2 shown]
	s_add_i32 s17, s17, 8
	s_waitcnt lgkmcnt(3)
	v_fma_f64 v[2:3], -v[8:9], v[24:25], v[2:3]
	v_fma_f64 v[2:3], -v[10:11], v[26:27], v[2:3]
	s_waitcnt lgkmcnt(2)
	v_fma_f64 v[2:3], -v[12:13], v[28:29], v[2:3]
	v_fma_f64 v[2:3], -v[14:15], v[30:31], v[2:3]
	;; [unrolled: 3-line block ×3, first 2 shown]
	s_add_i32 s19, s19, 64
	s_waitcnt lgkmcnt(0)
	v_fma_f64 v[2:3], -v[20:21], v[36:37], v[2:3]
	v_add_u32_e32 v6, 0x1000, v6
	s_cmp_lg_u32 s16, s17
	v_fma_f64 v[2:3], -v[22:23], v[38:39], v[2:3]
	s_cbranch_scc1 .LBB107_45
; %bb.46:                               ;   in Loop: Header=BB107_42 Depth=1
	s_and_b32 s17, s18, 7
	s_cmp_eq_u32 s17, 0
	s_cbranch_scc0 .LBB107_48
	s_branch .LBB107_41
.LBB107_47:                             ;   in Loop: Header=BB107_42 Depth=1
	s_mov_b32 s16, 0
	s_and_b32 s17, s18, 7
	s_cmp_eq_u32 s17, 0
	s_cbranch_scc1 .LBB107_41
.LBB107_48:                             ;   in Loop: Header=BB107_42 Depth=1
	s_and_b32 s17, s13, 7
	s_lshl_b32 s19, s16, 3
	v_lshl_add_u32 v6, s16, 9, v1
.LBB107_49:                             ;   Parent Loop BB107_42 Depth=1
                                        ; =>  This Inner Loop Header: Depth=2
	s_add_i32 s16, s9, s19
	v_mov_b32_e32 v7, s16
	ds_read_b64 v[8:9], v6
	ds_read_b64 v[10:11], v7
	s_add_i32 s19, s19, 8
	s_add_i32 s17, s17, -1
	v_add_u32_e32 v6, 0x200, v6
	s_cmp_lg_u32 s17, 0
	s_waitcnt lgkmcnt(0)
	v_fma_f64 v[2:3], -v[8:9], v[10:11], v[2:3]
	s_cbranch_scc1 .LBB107_49
	s_branch .LBB107_41
.LBB107_50:
	s_mov_b64 s[8:9], 0
.LBB107_51:
	s_and_b64 vcc, exec, s[8:9]
	s_cbranch_vccz .LBB107_79
; %bb.52:
	s_cmp_lt_i32 s10, 32
	s_mov_b32 s12, s31
	s_cbranch_scc1 .LBB107_58
; %bb.53:
	v_lshlrev_b32_e32 v1, 3, v0
	s_mul_i32 s8, s30, 0x208
	v_lshl_or_b32 v2, s30, 9, v1
	s_addk_i32 s8, 0xfd00
	v_add_u32_e32 v128, 0x7e00, v2
	s_mov_b32 s9, s31
.LBB107_54:                             ; =>This Loop Header: Depth=1
                                        ;     Child Loop BB107_55 Depth 2
	s_lshl_b32 s12, s9, 6
	v_or_b32_e32 v2, s12, v0
	v_lshlrev_b32_e32 v66, 3, v2
	ds_read2st64_b64 v[62:65], v66 offset0:63 offset1:64
	ds_read2st64_b64 v[58:61], v66 offset0:61 offset1:62
	;; [unrolled: 1-line block ×16, first 2 shown]
	s_cmp_le_i32 s31, s9
	v_mov_b32_e32 v67, v128
	s_mov_b32 s13, s8
	s_mov_b32 s16, s31
	s_cbranch_scc1 .LBB107_56
.LBB107_55:                             ;   Parent Loop BB107_54 Depth=1
                                        ; =>  This Inner Loop Header: Depth=2
	v_mov_b32_e32 v129, s13
	ds_read_b64 v[134:135], v67
	ds_read2_b64 v[68:71], v129 offset0:30 offset1:31
	ds_read2_b64 v[72:75], v129 offset0:28 offset1:29
	;; [unrolled: 1-line block ×15, first 2 shown]
	ds_read2_b64 v[130:133], v129 offset1:1
	s_add_i32 s16, s16, -1
	s_addk_i32 s13, 0xfe00
	v_add_u32_e32 v67, 0xfffffe00, v67
	s_cmp_gt_i32 s16, s9
	s_waitcnt lgkmcnt(14)
	v_fma_f64 v[64:65], -v[134:135], v[70:71], v[64:65]
	v_fma_f64 v[62:63], -v[134:135], v[68:69], v[62:63]
	;; [unrolled: 1-line block ×4, first 2 shown]
	s_waitcnt lgkmcnt(13)
	v_fma_f64 v[56:57], -v[134:135], v[78:79], v[56:57]
	v_fma_f64 v[54:55], -v[134:135], v[76:77], v[54:55]
	s_waitcnt lgkmcnt(12)
	v_fma_f64 v[52:53], -v[134:135], v[82:83], v[52:53]
	v_fma_f64 v[50:51], -v[134:135], v[80:81], v[50:51]
	;; [unrolled: 3-line block ×14, first 2 shown]
	s_cbranch_scc1 .LBB107_55
.LBB107_56:                             ;   in Loop: Header=BB107_54 Depth=1
	s_add_i32 s16, s9, -1
	s_add_i32 s13, s16, s12
	s_lshl_b32 s13, s13, 3
	v_mov_b32_e32 v67, s13
	s_mul_i32 s13, s9, 0x208
	ds_read2_b64 v[70:73], v67 offset1:1
	s_add_i32 s17, s13, 0xfffffdf8
	v_mov_b32_e32 v67, s17
	ds_read_b64 v[74:75], v67
	s_lshl_b32 s16, s16, 6
	s_waitcnt lgkmcnt(1)
	v_mul_f64 v[68:69], v[72:73], v[64:65]
	v_fma_f64 v[62:63], -v[68:69], v[70:71], v[62:63]
	s_add_i32 s18, s9, -3
	s_waitcnt lgkmcnt(0)
	v_mul_f64 v[70:71], v[74:75], v[62:63]
	v_or_b32_e32 v62, s16, v0
	s_add_i32 s17, s18, s12
	v_add_u32_e32 v66, 0x8000, v66
	v_lshlrev_b32_e32 v62, 3, v62
	s_lshl_b32 s17, s17, 3
	ds_write_b64 v66, v[68:69]
	ds_write_b64 v62, v[70:71] offset:32768
	v_mov_b32_e32 v62, s17
	ds_read2_b64 v[62:65], v62 offset1:1
	s_add_i32 s17, s18, s16
	s_lshl_b32 s17, s17, 3
	v_mov_b32_e32 v66, s17
	ds_read2_b64 v[74:77], v66 offset1:1
	s_add_i32 s17, s12, 0xffffff80
	s_add_i32 s19, s18, s17
	s_lshl_b32 s19, s19, 3
	s_waitcnt lgkmcnt(1)
	v_fma_f64 v[60:61], -v[68:69], v[64:65], v[60:61]
	v_mov_b32_e32 v64, s19
	ds_read2_b64 v[64:67], v64 offset1:1
	s_add_i32 s19, s13, 0xfffff9e8
	v_mov_b32_e32 v72, s19
	s_waitcnt lgkmcnt(1)
	v_fma_f64 v[60:61], -v[70:71], v[76:77], v[60:61]
	ds_read_b64 v[76:77], v72
	v_fma_f64 v[58:59], -v[68:69], v[62:63], v[58:59]
	s_add_i32 s20, s9, -5
	s_waitcnt lgkmcnt(1)
	v_mul_f64 v[72:73], v[66:67], v[60:61]
	v_fma_f64 v[58:59], -v[70:71], v[74:75], v[58:59]
	s_add_i32 s19, s20, s12
	v_fma_f64 v[58:59], -v[72:73], v[64:65], v[58:59]
	s_lshl_b32 s19, s19, 3
	v_or_b32_e32 v60, s17, v0
	s_waitcnt lgkmcnt(0)
	v_mul_f64 v[74:75], v[76:77], v[58:59]
	v_mov_b32_e32 v58, s19
	s_add_i32 s19, s20, s16
	v_lshlrev_b32_e32 v60, 3, v60
	s_lshl_b32 s19, s19, 3
	ds_write_b64 v60, v[72:73] offset:32768
	v_mov_b32_e32 v62, s19
	ds_read2_b64 v[58:61], v58 offset1:1
	ds_read2_b64 v[62:65], v62 offset1:1
	s_add_i32 s19, s20, s17
	s_lshl_b32 s18, s18, 6
	s_lshl_b32 s19, s19, 3
	v_or_b32_e32 v66, s18, v0
	s_waitcnt lgkmcnt(1)
	v_fma_f64 v[56:57], -v[68:69], v[60:61], v[56:57]
	v_mov_b32_e32 v60, s19
	s_add_i32 s19, s20, s18
	v_lshlrev_b32_e32 v66, 3, v66
	s_lshl_b32 s19, s19, 3
	ds_write_b64 v66, v[74:75] offset:32768
	s_waitcnt lgkmcnt(1)
	v_fma_f64 v[56:57], -v[70:71], v[64:65], v[56:57]
	ds_read2_b64 v[64:67], v60 offset1:1
	v_mov_b32_e32 v60, s19
	s_add_i32 s19, s12, 0xffffff00
	s_add_i32 s21, s20, s19
	s_lshl_b32 s21, s21, 3
	ds_read2_b64 v[78:81], v60 offset1:1
	v_mov_b32_e32 v60, s21
	ds_read2_b64 v[82:85], v60 offset1:1
	s_add_i32 s21, s13, 0xfffff5d8
	v_mov_b32_e32 v60, s21
	ds_read_b64 v[60:61], v60
	v_fma_f64 v[54:55], -v[68:69], v[58:59], v[54:55]
	s_waitcnt lgkmcnt(3)
	v_fma_f64 v[56:57], -v[72:73], v[66:67], v[56:57]
	v_fma_f64 v[54:55], -v[70:71], v[62:63], v[54:55]
	s_waitcnt lgkmcnt(2)
	v_fma_f64 v[56:57], -v[74:75], v[80:81], v[56:57]
	v_fma_f64 v[54:55], -v[72:73], v[64:65], v[54:55]
	s_add_i32 s25, s9, -7
	s_waitcnt lgkmcnt(1)
	v_mul_f64 v[76:77], v[84:85], v[56:57]
	v_fma_f64 v[54:55], -v[74:75], v[78:79], v[54:55]
	s_add_i32 s21, s25, s12
	v_fma_f64 v[54:55], -v[76:77], v[82:83], v[54:55]
	s_lshl_b32 s21, s21, 3
	v_or_b32_e32 v56, s19, v0
	s_waitcnt lgkmcnt(0)
	v_mul_f64 v[78:79], v[60:61], v[54:55]
	v_mov_b32_e32 v54, s21
	s_add_i32 s21, s25, s16
	v_lshlrev_b32_e32 v56, 3, v56
	s_lshl_b32 s21, s21, 3
	ds_write_b64 v56, v[76:77] offset:32768
	v_mov_b32_e32 v58, s21
	ds_read2_b64 v[54:57], v54 offset1:1
	ds_read2_b64 v[58:61], v58 offset1:1
	s_add_i32 s21, s25, s17
	s_lshl_b32 s20, s20, 6
	s_lshl_b32 s21, s21, 3
	v_or_b32_e32 v62, s20, v0
	s_waitcnt lgkmcnt(1)
	v_fma_f64 v[52:53], -v[68:69], v[56:57], v[52:53]
	v_mov_b32_e32 v56, s21
	s_add_i32 s21, s25, s18
	v_lshlrev_b32_e32 v62, 3, v62
	s_lshl_b32 s21, s21, 3
	ds_write_b64 v62, v[78:79] offset:32768
	s_waitcnt lgkmcnt(1)
	v_fma_f64 v[52:53], -v[70:71], v[60:61], v[52:53]
	ds_read2_b64 v[60:63], v56 offset1:1
	v_mov_b32_e32 v56, s21
	s_add_i32 s21, s25, s19
	s_lshl_b32 s21, s21, 3
	ds_read2_b64 v[64:67], v56 offset1:1
	v_mov_b32_e32 v56, s21
	s_add_i32 s21, s25, s20
	s_lshl_b32 s21, s21, 3
	v_mov_b32_e32 v57, s21
	s_add_i32 s21, s13, 0xfffff3d0
	ds_read2_b64 v[82:85], v56 offset1:1
	ds_read2_b64 v[86:89], v57 offset1:1
	v_mov_b32_e32 v56, s21
	ds_read_b64 v[56:57], v56
	s_waitcnt lgkmcnt(4)
	v_fma_f64 v[52:53], -v[72:73], v[62:63], v[52:53]
	s_waitcnt lgkmcnt(3)
	v_fma_f64 v[52:53], -v[74:75], v[66:67], v[52:53]
	;; [unrolled: 2-line block ×4, first 2 shown]
	s_add_i32 s21, s12, 0xfffffe80
	s_waitcnt lgkmcnt(0)
	v_mul_f64 v[80:81], v[56:57], v[52:53]
	v_or_b32_e32 v52, s21, v0
	s_add_i32 s26, s25, s21
	v_lshlrev_b32_e32 v52, 3, v52
	s_lshl_b32 s26, s26, 3
	ds_write_b64 v52, v[80:81] offset:32768
	v_fma_f64 v[50:51], -v[68:69], v[54:55], v[50:51]
	v_mov_b32_e32 v52, s26
	s_add_i32 s26, s13, 0xfffff1c8
	v_fma_f64 v[50:51], -v[70:71], v[58:59], v[50:51]
	ds_read_b64 v[52:53], v52
	v_mov_b32_e32 v54, s26
	v_fma_f64 v[50:51], -v[72:73], v[60:61], v[50:51]
	ds_read_b64 v[54:55], v54
	v_fma_f64 v[50:51], -v[74:75], v[64:65], v[50:51]
	v_fma_f64 v[50:51], -v[76:77], v[82:83], v[50:51]
	v_fma_f64 v[50:51], -v[78:79], v[86:87], v[50:51]
	s_add_i32 s27, s9, -9
	s_waitcnt lgkmcnt(1)
	v_fma_f64 v[50:51], -v[80:81], v[52:53], v[50:51]
	s_lshl_b32 s25, s25, 6
	s_add_i32 s26, s27, s12
	s_waitcnt lgkmcnt(0)
	v_mul_f64 v[82:83], v[54:55], v[50:51]
	v_or_b32_e32 v50, s25, v0
	s_lshl_b32 s26, s26, 3
	v_lshlrev_b32_e32 v66, 3, v50
	v_mov_b32_e32 v50, s26
	s_add_i32 s26, s27, s16
	s_lshl_b32 s26, s26, 3
	v_mov_b32_e32 v54, s26
	s_add_i32 s26, s27, s17
	s_lshl_b32 s26, s26, 3
	v_mov_b32_e32 v58, s26
	s_add_i32 s26, s27, s18
	ds_read2_b64 v[50:53], v50 offset1:1
	ds_read2_b64 v[54:57], v54 offset1:1
	s_lshl_b32 s26, s26, 3
	v_mov_b32_e32 v62, s26
	ds_read2_b64 v[58:61], v58 offset1:1
	ds_read2_b64 v[62:65], v62 offset1:1
	s_add_i32 s26, s27, s19
	s_waitcnt lgkmcnt(3)
	v_fma_f64 v[48:49], -v[68:69], v[52:53], v[48:49]
	s_lshl_b32 s26, s26, 3
	s_waitcnt lgkmcnt(2)
	v_fma_f64 v[48:49], -v[70:71], v[56:57], v[48:49]
	v_mov_b32_e32 v52, s26
	s_add_i32 s26, s27, s20
	s_waitcnt lgkmcnt(1)
	v_fma_f64 v[48:49], -v[72:73], v[60:61], v[48:49]
	s_lshl_b32 s26, s26, 3
	ds_write_b64 v66, v[82:83] offset:32768
	s_waitcnt lgkmcnt(1)
	v_fma_f64 v[48:49], -v[74:75], v[64:65], v[48:49]
	ds_read2_b64 v[64:67], v52 offset1:1
	v_mov_b32_e32 v52, s26
	s_add_i32 s26, s27, s21
	s_lshl_b32 s26, s26, 3
	ds_read2_b64 v[86:89], v52 offset1:1
	v_mov_b32_e32 v52, s26
	s_add_i32 s26, s27, s25
	s_lshl_b32 s26, s26, 3
	v_mov_b32_e32 v53, s26
	s_add_i32 s26, s13, 0xffffefc0
	ds_read2_b64 v[90:93], v52 offset1:1
	ds_read2_b64 v[94:97], v53 offset1:1
	v_mov_b32_e32 v52, s26
	ds_read_b64 v[52:53], v52
	s_waitcnt lgkmcnt(4)
	v_fma_f64 v[48:49], -v[76:77], v[66:67], v[48:49]
	s_waitcnt lgkmcnt(3)
	v_fma_f64 v[48:49], -v[78:79], v[88:89], v[48:49]
	;; [unrolled: 2-line block ×4, first 2 shown]
	s_add_i32 s26, s12, 0xfffffe00
	s_waitcnt lgkmcnt(0)
	v_mul_f64 v[84:85], v[52:53], v[48:49]
	v_or_b32_e32 v48, s26, v0
	v_fma_f64 v[46:47], -v[68:69], v[50:51], v[46:47]
	s_add_i32 s28, s27, s26
	v_lshlrev_b32_e32 v48, 3, v48
	v_fma_f64 v[46:47], -v[70:71], v[54:55], v[46:47]
	s_lshl_b32 s28, s28, 3
	ds_write_b64 v48, v[84:85] offset:32768
	v_fma_f64 v[46:47], -v[72:73], v[58:59], v[46:47]
	v_mov_b32_e32 v48, s28
	s_add_i32 s28, s13, 0xffffedb8
	v_fma_f64 v[46:47], -v[74:75], v[62:63], v[46:47]
	ds_read_b64 v[48:49], v48
	v_mov_b32_e32 v50, s28
	v_fma_f64 v[46:47], -v[76:77], v[64:65], v[46:47]
	ds_read_b64 v[50:51], v50
	v_fma_f64 v[46:47], -v[78:79], v[86:87], v[46:47]
	v_fma_f64 v[46:47], -v[80:81], v[90:91], v[46:47]
	s_add_i32 s29, s9, -11
	v_fma_f64 v[46:47], -v[82:83], v[94:95], v[46:47]
	s_add_i32 s28, s29, s12
	s_waitcnt lgkmcnt(1)
	v_fma_f64 v[46:47], -v[84:85], v[48:49], v[46:47]
	s_lshl_b32 s28, s28, 3
	s_waitcnt lgkmcnt(0)
	v_mul_f64 v[86:87], v[50:51], v[46:47]
	v_mov_b32_e32 v46, s28
	s_add_i32 s28, s29, s16
	s_lshl_b32 s28, s28, 3
	v_mov_b32_e32 v50, s28
	ds_read2_b64 v[46:49], v46 offset1:1
	ds_read2_b64 v[50:53], v50 offset1:1
	s_add_i32 s28, s29, s17
	s_lshl_b32 s27, s27, 6
	s_lshl_b32 s28, s28, 3
	v_or_b32_e32 v54, s27, v0
	s_waitcnt lgkmcnt(1)
	v_fma_f64 v[44:45], -v[68:69], v[48:49], v[44:45]
	v_mov_b32_e32 v48, s28
	s_add_i32 s28, s29, s18
	v_lshlrev_b32_e32 v54, 3, v54
	s_lshl_b32 s28, s28, 3
	ds_write_b64 v54, v[86:87] offset:32768
	s_waitcnt lgkmcnt(1)
	v_fma_f64 v[44:45], -v[70:71], v[52:53], v[44:45]
	ds_read2_b64 v[52:55], v48 offset1:1
	v_mov_b32_e32 v48, s28
	s_add_i32 s28, s29, s19
	s_lshl_b32 s28, s28, 3
	ds_read2_b64 v[56:59], v48 offset1:1
	v_mov_b32_e32 v48, s28
	s_add_i32 s28, s29, s20
	s_lshl_b32 s28, s28, 3
	v_mov_b32_e32 v49, s28
	s_add_i32 s28, s29, s21
	s_lshl_b32 s28, s28, 3
	ds_read2_b64 v[60:63], v48 offset1:1
	ds_read2_b64 v[64:67], v49 offset1:1
	v_mov_b32_e32 v48, s28
	s_add_i32 s28, s29, s25
	s_lshl_b32 s28, s28, 3
	s_waitcnt lgkmcnt(3)
	v_fma_f64 v[44:45], -v[72:73], v[54:55], v[44:45]
	v_mov_b32_e32 v49, s28
	ds_read2_b64 v[90:93], v48 offset1:1
	ds_read2_b64 v[94:97], v49 offset1:1
	s_waitcnt lgkmcnt(4)
	v_fma_f64 v[44:45], -v[74:75], v[58:59], v[44:45]
	s_add_i32 s28, s29, s26
	s_waitcnt lgkmcnt(3)
	v_fma_f64 v[44:45], -v[76:77], v[62:63], v[44:45]
	s_lshl_b32 s28, s28, 3
	s_waitcnt lgkmcnt(2)
	v_fma_f64 v[44:45], -v[78:79], v[66:67], v[44:45]
	v_mov_b32_e32 v48, s28
	s_add_i32 s28, s29, s27
	s_waitcnt lgkmcnt(1)
	v_fma_f64 v[44:45], -v[80:81], v[92:93], v[44:45]
	s_lshl_b32 s28, s28, 3
	s_waitcnt lgkmcnt(0)
	v_fma_f64 v[44:45], -v[82:83], v[96:97], v[44:45]
	ds_read2_b64 v[96:99], v48 offset1:1
	v_mov_b32_e32 v48, s28
	s_add_i32 s28, s12, 0xfffffd80
	v_fma_f64 v[42:43], -v[68:69], v[46:47], v[42:43]
	s_add_i32 s33, s29, s28
	v_fma_f64 v[42:43], -v[70:71], v[50:51], v[42:43]
	s_lshl_b32 s33, s33, 3
	v_fma_f64 v[42:43], -v[72:73], v[52:53], v[42:43]
	ds_read2_b64 v[100:103], v48 offset1:1
	v_mov_b32_e32 v48, s33
	v_fma_f64 v[42:43], -v[74:75], v[56:57], v[42:43]
	ds_read2_b64 v[104:107], v48 offset1:1
	s_add_i32 s33, s13, 0xffffe9a8
	v_fma_f64 v[42:43], -v[76:77], v[60:61], v[42:43]
	v_mov_b32_e32 v48, s33
	v_fma_f64 v[42:43], -v[78:79], v[64:65], v[42:43]
	ds_read_b64 v[48:49], v48
	v_fma_f64 v[42:43], -v[80:81], v[90:91], v[42:43]
	s_waitcnt lgkmcnt(3)
	v_fma_f64 v[44:45], -v[84:85], v[98:99], v[44:45]
	v_fma_f64 v[42:43], -v[82:83], v[94:95], v[42:43]
	s_waitcnt lgkmcnt(2)
	v_fma_f64 v[44:45], -v[86:87], v[102:103], v[44:45]
	v_fma_f64 v[42:43], -v[84:85], v[96:97], v[42:43]
	s_waitcnt lgkmcnt(1)
	v_mul_f64 v[88:89], v[106:107], v[44:45]
	v_fma_f64 v[42:43], -v[86:87], v[100:101], v[42:43]
	s_add_i32 s34, s9, -13
	v_fma_f64 v[42:43], -v[88:89], v[104:105], v[42:43]
	s_lshl_b32 s29, s29, 6
	s_add_i32 s33, s34, s12
	s_waitcnt lgkmcnt(0)
	v_mul_f64 v[90:91], v[48:49], v[42:43]
	v_or_b32_e32 v42, s29, v0
	s_lshl_b32 s33, s33, 3
	v_lshlrev_b32_e32 v58, 3, v42
	v_mov_b32_e32 v42, s33
	s_add_i32 s33, s34, s16
	s_lshl_b32 s33, s33, 3
	v_or_b32_e32 v44, s28, v0
	v_mov_b32_e32 v46, s33
	s_add_i32 s33, s34, s17
	v_lshlrev_b32_e32 v44, 3, v44
	s_lshl_b32 s33, s33, 3
	ds_write_b64 v44, v[88:89] offset:32768
	v_mov_b32_e32 v50, s33
	s_add_i32 s33, s34, s18
	ds_read2_b64 v[42:45], v42 offset1:1
	ds_read2_b64 v[46:49], v46 offset1:1
	s_lshl_b32 s33, s33, 3
	v_mov_b32_e32 v54, s33
	ds_read2_b64 v[50:53], v50 offset1:1
	ds_read2_b64 v[54:57], v54 offset1:1
	s_add_i32 s33, s34, s19
	s_waitcnt lgkmcnt(3)
	v_fma_f64 v[40:41], -v[68:69], v[44:45], v[40:41]
	s_lshl_b32 s33, s33, 3
	s_waitcnt lgkmcnt(2)
	v_fma_f64 v[40:41], -v[70:71], v[48:49], v[40:41]
	v_mov_b32_e32 v44, s33
	s_add_i32 s33, s34, s20
	s_waitcnt lgkmcnt(1)
	v_fma_f64 v[40:41], -v[72:73], v[52:53], v[40:41]
	s_lshl_b32 s33, s33, 3
	ds_write_b64 v58, v[90:91] offset:32768
	s_waitcnt lgkmcnt(1)
	v_fma_f64 v[40:41], -v[74:75], v[56:57], v[40:41]
	ds_read2_b64 v[56:59], v44 offset1:1
	v_mov_b32_e32 v44, s33
	s_add_i32 s33, s34, s21
	s_lshl_b32 s33, s33, 3
	ds_read2_b64 v[60:63], v44 offset1:1
	v_mov_b32_e32 v44, s33
	s_add_i32 s33, s34, s25
	s_lshl_b32 s33, s33, 3
	v_mov_b32_e32 v45, s33
	s_add_i32 s33, s34, s26
	s_lshl_b32 s33, s33, 3
	ds_read2_b64 v[64:67], v44 offset1:1
	ds_read2_b64 v[94:97], v45 offset1:1
	v_mov_b32_e32 v44, s33
	s_add_i32 s33, s34, s27
	s_lshl_b32 s33, s33, 3
	s_waitcnt lgkmcnt(3)
	v_fma_f64 v[40:41], -v[76:77], v[58:59], v[40:41]
	v_mov_b32_e32 v45, s33
	ds_read2_b64 v[98:101], v44 offset1:1
	ds_read2_b64 v[102:105], v45 offset1:1
	s_waitcnt lgkmcnt(4)
	v_fma_f64 v[40:41], -v[78:79], v[62:63], v[40:41]
	s_add_i32 s33, s34, s28
	s_waitcnt lgkmcnt(3)
	v_fma_f64 v[40:41], -v[80:81], v[66:67], v[40:41]
	s_lshl_b32 s33, s33, 3
	s_waitcnt lgkmcnt(2)
	v_fma_f64 v[40:41], -v[82:83], v[96:97], v[40:41]
	v_mov_b32_e32 v44, s33
	s_add_i32 s33, s34, s29
	v_fma_f64 v[38:39], -v[68:69], v[42:43], v[38:39]
	s_waitcnt lgkmcnt(1)
	v_fma_f64 v[40:41], -v[84:85], v[100:101], v[40:41]
	s_lshl_b32 s33, s33, 3
	v_fma_f64 v[38:39], -v[70:71], v[46:47], v[38:39]
	s_waitcnt lgkmcnt(0)
	v_fma_f64 v[40:41], -v[86:87], v[104:105], v[40:41]
	ds_read2_b64 v[104:107], v44 offset1:1
	v_mov_b32_e32 v44, s33
	s_add_i32 s33, s12, 0xfffffd00
	v_fma_f64 v[38:39], -v[72:73], v[50:51], v[38:39]
	s_add_i32 s35, s34, s33
	v_fma_f64 v[38:39], -v[74:75], v[54:55], v[38:39]
	s_lshl_b32 s35, s35, 3
	v_fma_f64 v[38:39], -v[76:77], v[56:57], v[38:39]
	ds_read2_b64 v[108:111], v44 offset1:1
	v_mov_b32_e32 v44, s35
	v_fma_f64 v[38:39], -v[78:79], v[60:61], v[38:39]
	ds_read2_b64 v[112:115], v44 offset1:1
	s_add_i32 s35, s13, 0xffffe598
	v_fma_f64 v[38:39], -v[80:81], v[64:65], v[38:39]
	v_mov_b32_e32 v44, s35
	v_fma_f64 v[38:39], -v[82:83], v[94:95], v[38:39]
	ds_read_b64 v[44:45], v44
	v_fma_f64 v[38:39], -v[84:85], v[98:99], v[38:39]
	s_waitcnt lgkmcnt(3)
	v_fma_f64 v[40:41], -v[88:89], v[106:107], v[40:41]
	v_fma_f64 v[38:39], -v[86:87], v[102:103], v[38:39]
	s_waitcnt lgkmcnt(2)
	v_fma_f64 v[40:41], -v[90:91], v[110:111], v[40:41]
	v_fma_f64 v[38:39], -v[88:89], v[104:105], v[38:39]
	s_waitcnt lgkmcnt(1)
	v_mul_f64 v[92:93], v[114:115], v[40:41]
	v_fma_f64 v[38:39], -v[90:91], v[108:109], v[38:39]
	v_fma_f64 v[38:39], -v[92:93], v[112:113], v[38:39]
	s_lshl_b32 s34, s34, 6
	s_add_i32 s36, s9, -15
	s_waitcnt lgkmcnt(0)
	v_mul_f64 v[94:95], v[44:45], v[38:39]
	v_or_b32_e32 v38, s34, v0
	s_add_i32 s35, s36, s12
	v_or_b32_e32 v40, s33, v0
	v_lshlrev_b32_e32 v38, 3, v38
	s_lshl_b32 s35, s35, 3
	v_lshlrev_b32_e32 v40, 3, v40
	ds_write_b64 v38, v[94:95] offset:32768
	v_mov_b32_e32 v38, s35
	ds_write_b64 v40, v[92:93] offset:32768
	ds_read2_b64 v[38:41], v38 offset1:1
	s_add_i32 s35, s36, s16
	s_lshl_b32 s35, s35, 3
	v_mov_b32_e32 v42, s35
	ds_read2_b64 v[42:45], v42 offset1:1
	s_add_i32 s35, s36, s17
	s_lshl_b32 s35, s35, 3
	s_waitcnt lgkmcnt(1)
	v_fma_f64 v[36:37], -v[68:69], v[40:41], v[36:37]
	v_mov_b32_e32 v40, s35
	s_add_i32 s35, s36, s18
	s_lshl_b32 s35, s35, 3
	v_mov_b32_e32 v41, s35
	s_add_i32 s35, s36, s19
	s_lshl_b32 s35, s35, 3
	ds_read2_b64 v[46:49], v40 offset1:1
	ds_read2_b64 v[50:53], v41 offset1:1
	v_mov_b32_e32 v40, s35
	s_add_i32 s35, s36, s20
	s_lshl_b32 s35, s35, 3
	v_mov_b32_e32 v41, s35
	ds_read2_b64 v[54:57], v40 offset1:1
	ds_read2_b64 v[58:61], v41 offset1:1
	s_waitcnt lgkmcnt(4)
	v_fma_f64 v[36:37], -v[70:71], v[44:45], v[36:37]
	s_add_i32 s35, s36, s21
	s_waitcnt lgkmcnt(3)
	v_fma_f64 v[36:37], -v[72:73], v[48:49], v[36:37]
	s_lshl_b32 s35, s35, 3
	s_waitcnt lgkmcnt(2)
	v_fma_f64 v[36:37], -v[74:75], v[52:53], v[36:37]
	v_mov_b32_e32 v40, s35
	s_add_i32 s35, s36, s25
	s_waitcnt lgkmcnt(1)
	v_fma_f64 v[36:37], -v[76:77], v[56:57], v[36:37]
	s_lshl_b32 s35, s35, 3
	s_waitcnt lgkmcnt(0)
	v_fma_f64 v[36:37], -v[78:79], v[60:61], v[36:37]
	ds_read2_b64 v[60:63], v40 offset1:1
	v_mov_b32_e32 v40, s35
	s_add_i32 s35, s36, s26
	s_lshl_b32 s35, s35, 3
	ds_read2_b64 v[64:67], v40 offset1:1
	v_mov_b32_e32 v40, s35
	s_add_i32 s35, s36, s27
	s_lshl_b32 s35, s35, 3
	v_mov_b32_e32 v41, s35
	s_add_i32 s35, s36, s28
	s_lshl_b32 s35, s35, 3
	ds_read2_b64 v[98:101], v40 offset1:1
	ds_read2_b64 v[102:105], v41 offset1:1
	v_mov_b32_e32 v40, s35
	s_add_i32 s35, s36, s29
	s_lshl_b32 s35, s35, 3
	s_waitcnt lgkmcnt(3)
	v_fma_f64 v[36:37], -v[80:81], v[62:63], v[36:37]
	v_mov_b32_e32 v41, s35
	ds_read2_b64 v[106:109], v40 offset1:1
	ds_read2_b64 v[110:113], v41 offset1:1
	s_waitcnt lgkmcnt(4)
	v_fma_f64 v[36:37], -v[82:83], v[66:67], v[36:37]
	s_add_i32 s35, s36, s33
	v_fma_f64 v[34:35], -v[68:69], v[38:39], v[34:35]
	s_waitcnt lgkmcnt(3)
	v_fma_f64 v[36:37], -v[84:85], v[100:101], v[36:37]
	s_lshl_b32 s35, s35, 3
	v_fma_f64 v[34:35], -v[70:71], v[42:43], v[34:35]
	s_waitcnt lgkmcnt(2)
	v_fma_f64 v[36:37], -v[86:87], v[104:105], v[36:37]
	v_mov_b32_e32 v40, s35
	s_add_i32 s35, s36, s34
	v_fma_f64 v[34:35], -v[72:73], v[46:47], v[34:35]
	s_waitcnt lgkmcnt(1)
	v_fma_f64 v[36:37], -v[88:89], v[108:109], v[36:37]
	s_lshl_b32 s35, s35, 3
	v_fma_f64 v[34:35], -v[74:75], v[50:51], v[34:35]
	s_waitcnt lgkmcnt(0)
	v_fma_f64 v[36:37], -v[90:91], v[112:113], v[36:37]
	ds_read2_b64 v[112:115], v40 offset1:1
	v_mov_b32_e32 v40, s35
	s_add_i32 s35, s12, 0xfffffc80
	v_fma_f64 v[34:35], -v[76:77], v[54:55], v[34:35]
	s_add_i32 s37, s36, s35
	v_fma_f64 v[34:35], -v[78:79], v[58:59], v[34:35]
	s_lshl_b32 s37, s37, 3
	v_fma_f64 v[34:35], -v[80:81], v[60:61], v[34:35]
	ds_read2_b64 v[116:119], v40 offset1:1
	v_mov_b32_e32 v40, s37
	v_fma_f64 v[34:35], -v[82:83], v[64:65], v[34:35]
	ds_read2_b64 v[120:123], v40 offset1:1
	s_add_i32 s37, s13, 0xffffe188
	v_fma_f64 v[34:35], -v[84:85], v[98:99], v[34:35]
	v_mov_b32_e32 v40, s37
	v_fma_f64 v[34:35], -v[86:87], v[102:103], v[34:35]
	ds_read_b64 v[40:41], v40
	v_fma_f64 v[34:35], -v[88:89], v[106:107], v[34:35]
	s_waitcnt lgkmcnt(3)
	v_fma_f64 v[36:37], -v[92:93], v[114:115], v[36:37]
	v_fma_f64 v[34:35], -v[90:91], v[110:111], v[34:35]
	s_waitcnt lgkmcnt(2)
	v_fma_f64 v[36:37], -v[94:95], v[118:119], v[36:37]
	v_fma_f64 v[34:35], -v[92:93], v[112:113], v[34:35]
	s_sub_i32 s38, s9, 17
	s_waitcnt lgkmcnt(1)
	v_mul_f64 v[96:97], v[122:123], v[36:37]
	v_fma_f64 v[34:35], -v[94:95], v[116:117], v[34:35]
	s_add_i32 s37, s38, s12
	v_fma_f64 v[34:35], -v[96:97], v[120:121], v[34:35]
	s_lshl_b32 s37, s37, 3
	v_or_b32_e32 v36, s35, v0
	s_waitcnt lgkmcnt(0)
	v_mul_f64 v[98:99], v[40:41], v[34:35]
	v_mov_b32_e32 v34, s37
	s_add_i32 s37, s38, s16
	v_lshlrev_b32_e32 v36, 3, v36
	s_lshl_b32 s37, s37, 3
	ds_write_b64 v36, v[96:97] offset:32768
	v_mov_b32_e32 v38, s37
	ds_read2_b64 v[34:37], v34 offset1:1
	ds_read2_b64 v[38:41], v38 offset1:1
	s_add_i32 s37, s38, s17
	s_lshl_b32 s36, s36, 6
	s_lshl_b32 s37, s37, 3
	v_or_b32_e32 v42, s36, v0
	s_waitcnt lgkmcnt(1)
	v_fma_f64 v[32:33], -v[68:69], v[36:37], v[32:33]
	v_mov_b32_e32 v36, s37
	s_add_i32 s37, s38, s18
	v_lshlrev_b32_e32 v42, 3, v42
	s_lshl_b32 s37, s37, 3
	ds_write_b64 v42, v[98:99] offset:32768
	s_waitcnt lgkmcnt(1)
	v_fma_f64 v[32:33], -v[70:71], v[40:41], v[32:33]
	ds_read2_b64 v[40:43], v36 offset1:1
	v_mov_b32_e32 v36, s37
	s_add_i32 s37, s38, s19
	s_lshl_b32 s37, s37, 3
	ds_read2_b64 v[44:47], v36 offset1:1
	v_mov_b32_e32 v36, s37
	s_add_i32 s37, s38, s20
	s_lshl_b32 s37, s37, 3
	v_mov_b32_e32 v37, s37
	s_add_i32 s37, s38, s21
	s_lshl_b32 s37, s37, 3
	ds_read2_b64 v[48:51], v36 offset1:1
	ds_read2_b64 v[52:55], v37 offset1:1
	v_mov_b32_e32 v36, s37
	s_add_i32 s37, s38, s25
	s_lshl_b32 s37, s37, 3
	s_waitcnt lgkmcnt(3)
	v_fma_f64 v[32:33], -v[72:73], v[42:43], v[32:33]
	v_mov_b32_e32 v37, s37
	ds_read2_b64 v[56:59], v36 offset1:1
	ds_read2_b64 v[60:63], v37 offset1:1
	s_waitcnt lgkmcnt(4)
	v_fma_f64 v[32:33], -v[74:75], v[46:47], v[32:33]
	s_add_i32 s37, s38, s26
	s_waitcnt lgkmcnt(3)
	v_fma_f64 v[32:33], -v[76:77], v[50:51], v[32:33]
	s_lshl_b32 s37, s37, 3
	s_waitcnt lgkmcnt(2)
	v_fma_f64 v[32:33], -v[78:79], v[54:55], v[32:33]
	v_mov_b32_e32 v36, s37
	s_add_i32 s37, s38, s27
	s_waitcnt lgkmcnt(1)
	v_fma_f64 v[32:33], -v[80:81], v[58:59], v[32:33]
	s_lshl_b32 s37, s37, 3
	s_waitcnt lgkmcnt(0)
	v_fma_f64 v[32:33], -v[82:83], v[62:63], v[32:33]
	ds_read2_b64 v[62:65], v36 offset1:1
	v_mov_b32_e32 v36, s37
	s_add_i32 s37, s38, s28
	s_lshl_b32 s37, s37, 3
	ds_read2_b64 v[102:105], v36 offset1:1
	v_mov_b32_e32 v36, s37
	s_add_i32 s37, s38, s29
	s_lshl_b32 s37, s37, 3
	v_mov_b32_e32 v37, s37
	s_add_i32 s37, s38, s33
	s_lshl_b32 s37, s37, 3
	s_waitcnt lgkmcnt(1)
	v_fma_f64 v[32:33], -v[84:85], v[64:65], v[32:33]
	ds_read2_b64 v[64:67], v36 offset1:1
	ds_read2_b64 v[106:109], v37 offset1:1
	v_mov_b32_e32 v36, s37
	s_add_i32 s37, s38, s34
	s_lshl_b32 s37, s37, 3
	v_fma_f64 v[30:31], -v[68:69], v[34:35], v[30:31]
	v_mov_b32_e32 v37, s37
	ds_read2_b64 v[110:113], v36 offset1:1
	ds_read2_b64 v[114:117], v37 offset1:1
	v_fma_f64 v[30:31], -v[70:71], v[38:39], v[30:31]
	s_waitcnt lgkmcnt(4)
	v_fma_f64 v[32:33], -v[86:87], v[104:105], v[32:33]
	s_add_i32 s37, s38, s35
	v_fma_f64 v[30:31], -v[72:73], v[40:41], v[30:31]
	s_waitcnt lgkmcnt(3)
	v_fma_f64 v[32:33], -v[88:89], v[66:67], v[32:33]
	s_lshl_b32 s37, s37, 3
	v_fma_f64 v[30:31], -v[74:75], v[44:45], v[30:31]
	s_waitcnt lgkmcnt(2)
	v_fma_f64 v[32:33], -v[90:91], v[108:109], v[32:33]
	v_mov_b32_e32 v36, s37
	s_add_i32 s37, s38, s36
	v_fma_f64 v[30:31], -v[76:77], v[48:49], v[30:31]
	s_waitcnt lgkmcnt(1)
	v_fma_f64 v[32:33], -v[92:93], v[112:113], v[32:33]
	s_lshl_b32 s37, s37, 3
	v_fma_f64 v[30:31], -v[78:79], v[52:53], v[30:31]
	s_waitcnt lgkmcnt(0)
	v_fma_f64 v[32:33], -v[94:95], v[116:117], v[32:33]
	ds_read2_b64 v[116:119], v36 offset1:1
	v_mov_b32_e32 v36, s37
	s_add_i32 s37, s12, 0xfffffc00
	v_fma_f64 v[30:31], -v[80:81], v[56:57], v[30:31]
	s_add_i32 s39, s38, s37
	v_fma_f64 v[30:31], -v[82:83], v[60:61], v[30:31]
	s_lshl_b32 s39, s39, 3
	v_fma_f64 v[30:31], -v[84:85], v[62:63], v[30:31]
	ds_read2_b64 v[120:123], v36 offset1:1
	v_mov_b32_e32 v36, s39
	v_fma_f64 v[30:31], -v[86:87], v[102:103], v[30:31]
	ds_read2_b64 v[124:127], v36 offset1:1
	s_add_i32 s39, s13, 0xffffdd78
	v_fma_f64 v[30:31], -v[88:89], v[64:65], v[30:31]
	v_mov_b32_e32 v36, s39
	v_fma_f64 v[30:31], -v[90:91], v[106:107], v[30:31]
	ds_read_b64 v[36:37], v36
	v_fma_f64 v[30:31], -v[92:93], v[110:111], v[30:31]
	s_waitcnt lgkmcnt(3)
	v_fma_f64 v[32:33], -v[96:97], v[118:119], v[32:33]
	v_fma_f64 v[30:31], -v[94:95], v[114:115], v[30:31]
	s_waitcnt lgkmcnt(2)
	v_fma_f64 v[32:33], -v[98:99], v[122:123], v[32:33]
	v_fma_f64 v[30:31], -v[96:97], v[116:117], v[30:31]
	s_waitcnt lgkmcnt(1)
	v_mul_f64 v[100:101], v[126:127], v[32:33]
	v_fma_f64 v[30:31], -v[98:99], v[120:121], v[30:31]
	s_sub_i32 s40, s9, 19
	v_fma_f64 v[30:31], -v[100:101], v[124:125], v[30:31]
	s_lshl_b32 s38, s38, 6
	s_add_i32 s39, s40, s12
	s_waitcnt lgkmcnt(0)
	v_mul_f64 v[102:103], v[36:37], v[30:31]
	v_or_b32_e32 v30, s38, v0
	s_lshl_b32 s39, s39, 3
	v_lshlrev_b32_e32 v46, 3, v30
	v_mov_b32_e32 v30, s39
	s_add_i32 s39, s40, s16
	s_lshl_b32 s39, s39, 3
	v_or_b32_e32 v32, s37, v0
	v_mov_b32_e32 v34, s39
	s_add_i32 s39, s40, s17
	v_lshlrev_b32_e32 v32, 3, v32
	s_lshl_b32 s39, s39, 3
	ds_write_b64 v32, v[100:101] offset:32768
	v_mov_b32_e32 v38, s39
	s_add_i32 s39, s40, s18
	ds_read2_b64 v[30:33], v30 offset1:1
	ds_read2_b64 v[34:37], v34 offset1:1
	s_lshl_b32 s39, s39, 3
	v_mov_b32_e32 v42, s39
	ds_read2_b64 v[38:41], v38 offset1:1
	ds_read2_b64 v[42:45], v42 offset1:1
	s_add_i32 s39, s40, s19
	s_waitcnt lgkmcnt(3)
	v_fma_f64 v[28:29], -v[68:69], v[32:33], v[28:29]
	s_lshl_b32 s39, s39, 3
	s_waitcnt lgkmcnt(2)
	v_fma_f64 v[28:29], -v[70:71], v[36:37], v[28:29]
	v_mov_b32_e32 v32, s39
	s_add_i32 s39, s40, s20
	s_waitcnt lgkmcnt(1)
	v_fma_f64 v[28:29], -v[72:73], v[40:41], v[28:29]
	s_lshl_b32 s39, s39, 3
	ds_write_b64 v46, v[102:103] offset:32768
	s_waitcnt lgkmcnt(1)
	v_fma_f64 v[28:29], -v[74:75], v[44:45], v[28:29]
	ds_read2_b64 v[44:47], v32 offset1:1
	v_mov_b32_e32 v32, s39
	s_add_i32 s39, s40, s21
	s_lshl_b32 s39, s39, 3
	ds_read2_b64 v[48:51], v32 offset1:1
	v_mov_b32_e32 v32, s39
	s_add_i32 s39, s40, s25
	s_lshl_b32 s39, s39, 3
	v_mov_b32_e32 v33, s39
	s_add_i32 s39, s40, s26
	s_lshl_b32 s39, s39, 3
	ds_read2_b64 v[52:55], v32 offset1:1
	ds_read2_b64 v[56:59], v33 offset1:1
	v_mov_b32_e32 v32, s39
	s_add_i32 s39, s40, s27
	s_lshl_b32 s39, s39, 3
	v_mov_b32_e32 v33, s39
	s_add_i32 s39, s40, s28
	s_lshl_b32 s39, s39, 3
	ds_read2_b64 v[60:63], v32 offset1:1
	ds_read2_b64 v[64:67], v33 offset1:1
	v_mov_b32_e32 v32, s39
	s_add_i32 s39, s40, s29
	s_lshl_b32 s39, s39, 3
	ds_read2_b64 v[106:109], v32 offset1:1
	v_mov_b32_e32 v32, s39
	s_add_i32 s39, s40, s33
	s_lshl_b32 s39, s39, 3
	s_waitcnt lgkmcnt(6)
	v_fma_f64 v[28:29], -v[76:77], v[46:47], v[28:29]
	ds_read2_b64 v[110:113], v32 offset1:1
	v_mov_b32_e32 v32, s39
	s_add_i32 s39, s40, s34
	s_waitcnt lgkmcnt(6)
	v_fma_f64 v[28:29], -v[78:79], v[50:51], v[28:29]
	s_lshl_b32 s39, s39, 3
	s_waitcnt lgkmcnt(5)
	v_fma_f64 v[28:29], -v[80:81], v[54:55], v[28:29]
	v_mov_b32_e32 v33, s39
	s_add_i32 s39, s40, s35
	v_fma_f64 v[26:27], -v[68:69], v[30:31], v[26:27]
	s_waitcnt lgkmcnt(4)
	v_fma_f64 v[28:29], -v[82:83], v[58:59], v[28:29]
	s_lshl_b32 s39, s39, 3
	v_fma_f64 v[26:27], -v[70:71], v[34:35], v[26:27]
	s_waitcnt lgkmcnt(3)
	v_fma_f64 v[28:29], -v[84:85], v[62:63], v[28:29]
	ds_read2_b64 v[114:117], v32 offset1:1
	ds_read2_b64 v[118:121], v33 offset1:1
	v_mov_b32_e32 v32, s39
	s_add_i32 s39, s40, s36
	v_fma_f64 v[26:27], -v[72:73], v[38:39], v[26:27]
	s_waitcnt lgkmcnt(4)
	v_fma_f64 v[28:29], -v[86:87], v[66:67], v[28:29]
	s_lshl_b32 s39, s39, 3
	v_fma_f64 v[26:27], -v[74:75], v[42:43], v[26:27]
	s_waitcnt lgkmcnt(3)
	v_fma_f64 v[28:29], -v[88:89], v[108:109], v[28:29]
	v_mov_b32_e32 v33, s39
	ds_read2_b64 v[122:125], v32 offset1:1
	ds_read2_b64 v[130:133], v33 offset1:1
	s_add_i32 s39, s40, s37
	v_fma_f64 v[26:27], -v[76:77], v[44:45], v[26:27]
	s_waitcnt lgkmcnt(4)
	v_fma_f64 v[28:29], -v[90:91], v[112:113], v[28:29]
	s_lshl_b32 s39, s39, 3
	v_fma_f64 v[26:27], -v[78:79], v[48:49], v[26:27]
	s_waitcnt lgkmcnt(3)
	v_fma_f64 v[28:29], -v[92:93], v[116:117], v[28:29]
	v_mov_b32_e32 v32, s39
	s_add_i32 s39, s40, s38
	v_fma_f64 v[26:27], -v[80:81], v[52:53], v[26:27]
	s_waitcnt lgkmcnt(2)
	v_fma_f64 v[28:29], -v[94:95], v[120:121], v[28:29]
	s_lshl_b32 s39, s39, 3
	v_fma_f64 v[26:27], -v[82:83], v[56:57], v[26:27]
	s_waitcnt lgkmcnt(1)
	v_fma_f64 v[28:29], -v[96:97], v[124:125], v[28:29]
	ds_read2_b64 v[124:127], v32 offset1:1
	v_mov_b32_e32 v32, s39
	s_add_i32 s39, s12, 0xfffffb80
	v_fma_f64 v[26:27], -v[84:85], v[60:61], v[26:27]
	s_add_i32 s41, s40, s39
	v_fma_f64 v[26:27], -v[86:87], v[64:65], v[26:27]
	s_lshl_b32 s41, s41, 3
	v_fma_f64 v[26:27], -v[88:89], v[106:107], v[26:27]
	s_waitcnt lgkmcnt(1)
	v_fma_f64 v[28:29], -v[98:99], v[132:133], v[28:29]
	ds_read2_b64 v[132:135], v32 offset1:1
	v_mov_b32_e32 v32, s41
	v_fma_f64 v[26:27], -v[90:91], v[110:111], v[26:27]
	ds_read2_b64 v[136:139], v32 offset1:1
	s_add_i32 s41, s13, 0xffffd968
	v_fma_f64 v[26:27], -v[92:93], v[114:115], v[26:27]
	v_mov_b32_e32 v32, s41
	v_fma_f64 v[26:27], -v[94:95], v[118:119], v[26:27]
	ds_read_b64 v[32:33], v32
	v_fma_f64 v[26:27], -v[96:97], v[122:123], v[26:27]
	s_waitcnt lgkmcnt(3)
	v_fma_f64 v[28:29], -v[100:101], v[126:127], v[28:29]
	v_fma_f64 v[26:27], -v[98:99], v[130:131], v[26:27]
	s_waitcnt lgkmcnt(2)
	v_fma_f64 v[28:29], -v[102:103], v[134:135], v[28:29]
	v_fma_f64 v[26:27], -v[100:101], v[124:125], v[26:27]
	s_waitcnt lgkmcnt(1)
	v_mul_f64 v[104:105], v[138:139], v[28:29]
	v_fma_f64 v[26:27], -v[102:103], v[132:133], v[26:27]
	v_fma_f64 v[26:27], -v[104:105], v[136:137], v[26:27]
	s_lshl_b32 s40, s40, 6
	s_sub_i32 s42, s9, 21
	s_waitcnt lgkmcnt(0)
	v_mul_f64 v[106:107], v[32:33], v[26:27]
	v_or_b32_e32 v26, s40, v0
	s_add_i32 s41, s42, s12
	v_or_b32_e32 v28, s39, v0
	v_lshlrev_b32_e32 v26, 3, v26
	s_lshl_b32 s41, s41, 3
	v_lshlrev_b32_e32 v28, 3, v28
	ds_write_b64 v26, v[106:107] offset:32768
	v_mov_b32_e32 v26, s41
	ds_write_b64 v28, v[104:105] offset:32768
	ds_read2_b64 v[26:29], v26 offset1:1
	s_add_i32 s41, s42, s16
	s_lshl_b32 s41, s41, 3
	v_mov_b32_e32 v30, s41
	ds_read2_b64 v[30:33], v30 offset1:1
	s_add_i32 s41, s42, s17
	s_lshl_b32 s41, s41, 3
	s_waitcnt lgkmcnt(1)
	v_fma_f64 v[24:25], -v[68:69], v[28:29], v[24:25]
	v_mov_b32_e32 v28, s41
	s_add_i32 s41, s42, s18
	s_lshl_b32 s41, s41, 3
	v_mov_b32_e32 v29, s41
	s_add_i32 s41, s42, s19
	s_lshl_b32 s41, s41, 3
	ds_read2_b64 v[34:37], v28 offset1:1
	ds_read2_b64 v[38:41], v29 offset1:1
	v_mov_b32_e32 v28, s41
	s_add_i32 s41, s42, s20
	s_lshl_b32 s41, s41, 3
	v_mov_b32_e32 v29, s41
	ds_read2_b64 v[42:45], v28 offset1:1
	ds_read2_b64 v[46:49], v29 offset1:1
	s_waitcnt lgkmcnt(4)
	v_fma_f64 v[24:25], -v[70:71], v[32:33], v[24:25]
	s_add_i32 s41, s42, s21
	s_waitcnt lgkmcnt(3)
	v_fma_f64 v[24:25], -v[72:73], v[36:37], v[24:25]
	s_lshl_b32 s41, s41, 3
	s_waitcnt lgkmcnt(2)
	v_fma_f64 v[24:25], -v[74:75], v[40:41], v[24:25]
	v_mov_b32_e32 v28, s41
	s_add_i32 s41, s42, s25
	s_waitcnt lgkmcnt(1)
	v_fma_f64 v[24:25], -v[76:77], v[44:45], v[24:25]
	s_lshl_b32 s41, s41, 3
	s_waitcnt lgkmcnt(0)
	v_fma_f64 v[24:25], -v[78:79], v[48:49], v[24:25]
	ds_read2_b64 v[48:51], v28 offset1:1
	v_mov_b32_e32 v28, s41
	s_add_i32 s41, s42, s26
	s_lshl_b32 s41, s41, 3
	ds_read2_b64 v[52:55], v28 offset1:1
	v_mov_b32_e32 v28, s41
	s_add_i32 s41, s42, s27
	s_lshl_b32 s41, s41, 3
	v_mov_b32_e32 v29, s41
	s_add_i32 s41, s42, s28
	s_lshl_b32 s41, s41, 3
	ds_read2_b64 v[56:59], v28 offset1:1
	ds_read2_b64 v[60:63], v29 offset1:1
	v_mov_b32_e32 v28, s41
	s_add_i32 s41, s42, s29
	s_lshl_b32 s41, s41, 3
	s_waitcnt lgkmcnt(3)
	v_fma_f64 v[24:25], -v[80:81], v[50:51], v[24:25]
	v_mov_b32_e32 v29, s41
	ds_read2_b64 v[64:67], v28 offset1:1
	ds_read2_b64 v[110:113], v29 offset1:1
	s_waitcnt lgkmcnt(4)
	v_fma_f64 v[24:25], -v[82:83], v[54:55], v[24:25]
	s_add_i32 s41, s42, s33
	s_waitcnt lgkmcnt(3)
	v_fma_f64 v[24:25], -v[84:85], v[58:59], v[24:25]
	s_lshl_b32 s41, s41, 3
	s_waitcnt lgkmcnt(2)
	v_fma_f64 v[24:25], -v[86:87], v[62:63], v[24:25]
	v_mov_b32_e32 v28, s41
	s_add_i32 s41, s42, s34
	s_waitcnt lgkmcnt(1)
	v_fma_f64 v[24:25], -v[88:89], v[66:67], v[24:25]
	s_lshl_b32 s41, s41, 3
	s_waitcnt lgkmcnt(0)
	v_fma_f64 v[24:25], -v[90:91], v[112:113], v[24:25]
	ds_read2_b64 v[112:115], v28 offset1:1
	v_mov_b32_e32 v28, s41
	s_add_i32 s41, s42, s35
	s_lshl_b32 s41, s41, 3
	ds_read2_b64 v[116:119], v28 offset1:1
	v_mov_b32_e32 v28, s41
	s_add_i32 s41, s42, s36
	s_lshl_b32 s41, s41, 3
	v_fma_f64 v[22:23], -v[68:69], v[26:27], v[22:23]
	v_mov_b32_e32 v29, s41
	s_add_i32 s41, s42, s37
	v_fma_f64 v[22:23], -v[70:71], v[30:31], v[22:23]
	s_lshl_b32 s41, s41, 3
	v_fma_f64 v[22:23], -v[72:73], v[34:35], v[22:23]
	ds_read2_b64 v[120:123], v28 offset1:1
	ds_read2_b64 v[124:127], v29 offset1:1
	v_mov_b32_e32 v28, s41
	s_add_i32 s41, s42, s38
	v_fma_f64 v[22:23], -v[74:75], v[38:39], v[22:23]
	s_lshl_b32 s41, s41, 3
	v_fma_f64 v[22:23], -v[76:77], v[42:43], v[22:23]
	s_waitcnt lgkmcnt(3)
	v_fma_f64 v[24:25], -v[92:93], v[114:115], v[24:25]
	v_mov_b32_e32 v29, s41
	ds_read2_b64 v[130:133], v28 offset1:1
	ds_read2_b64 v[134:137], v29 offset1:1
	v_fma_f64 v[22:23], -v[78:79], v[46:47], v[22:23]
	s_waitcnt lgkmcnt(4)
	v_fma_f64 v[24:25], -v[94:95], v[118:119], v[24:25]
	s_add_i32 s41, s42, s39
	v_fma_f64 v[22:23], -v[80:81], v[48:49], v[22:23]
	s_waitcnt lgkmcnt(3)
	v_fma_f64 v[24:25], -v[96:97], v[122:123], v[24:25]
	s_lshl_b32 s41, s41, 3
	v_fma_f64 v[22:23], -v[82:83], v[52:53], v[22:23]
	s_waitcnt lgkmcnt(2)
	v_fma_f64 v[24:25], -v[98:99], v[126:127], v[24:25]
	v_mov_b32_e32 v28, s41
	s_add_i32 s41, s42, s40
	v_fma_f64 v[22:23], -v[84:85], v[56:57], v[22:23]
	s_waitcnt lgkmcnt(1)
	v_fma_f64 v[24:25], -v[100:101], v[132:133], v[24:25]
	s_lshl_b32 s41, s41, 3
	v_fma_f64 v[22:23], -v[86:87], v[60:61], v[22:23]
	s_waitcnt lgkmcnt(0)
	v_fma_f64 v[24:25], -v[102:103], v[136:137], v[24:25]
	ds_read2_b64 v[136:139], v28 offset1:1
	v_mov_b32_e32 v28, s41
	s_add_i32 s41, s12, 0xfffffb00
	v_fma_f64 v[22:23], -v[88:89], v[64:65], v[22:23]
	s_add_i32 s43, s42, s41
	v_fma_f64 v[22:23], -v[90:91], v[110:111], v[22:23]
	s_lshl_b32 s43, s43, 3
	v_fma_f64 v[22:23], -v[92:93], v[112:113], v[22:23]
	ds_read2_b64 v[140:143], v28 offset1:1
	v_mov_b32_e32 v28, s43
	v_fma_f64 v[22:23], -v[94:95], v[116:117], v[22:23]
	ds_read2_b64 v[144:147], v28 offset1:1
	s_add_i32 s43, s13, 0xffffd558
	v_fma_f64 v[22:23], -v[96:97], v[120:121], v[22:23]
	v_mov_b32_e32 v28, s43
	v_fma_f64 v[22:23], -v[98:99], v[124:125], v[22:23]
	ds_read_b64 v[28:29], v28
	v_fma_f64 v[22:23], -v[100:101], v[130:131], v[22:23]
	s_waitcnt lgkmcnt(3)
	v_fma_f64 v[24:25], -v[104:105], v[138:139], v[24:25]
	v_fma_f64 v[22:23], -v[102:103], v[134:135], v[22:23]
	s_waitcnt lgkmcnt(2)
	v_fma_f64 v[24:25], -v[106:107], v[142:143], v[24:25]
	v_fma_f64 v[22:23], -v[104:105], v[136:137], v[22:23]
	s_sub_i32 s44, s9, 23
	s_waitcnt lgkmcnt(1)
	v_mul_f64 v[108:109], v[146:147], v[24:25]
	v_fma_f64 v[22:23], -v[106:107], v[140:141], v[22:23]
	s_add_i32 s43, s44, s12
	v_fma_f64 v[22:23], -v[108:109], v[144:145], v[22:23]
	s_lshl_b32 s43, s43, 3
	v_or_b32_e32 v24, s41, v0
	s_waitcnt lgkmcnt(0)
	v_mul_f64 v[110:111], v[28:29], v[22:23]
	v_mov_b32_e32 v22, s43
	s_add_i32 s43, s44, s16
	v_lshlrev_b32_e32 v24, 3, v24
	s_lshl_b32 s43, s43, 3
	ds_write_b64 v24, v[108:109] offset:32768
	v_mov_b32_e32 v26, s43
	ds_read2_b64 v[22:25], v22 offset1:1
	ds_read2_b64 v[26:29], v26 offset1:1
	s_add_i32 s43, s44, s17
	s_lshl_b32 s42, s42, 6
	s_lshl_b32 s43, s43, 3
	v_or_b32_e32 v30, s42, v0
	s_waitcnt lgkmcnt(1)
	v_fma_f64 v[20:21], -v[68:69], v[24:25], v[20:21]
	v_mov_b32_e32 v24, s43
	s_add_i32 s43, s44, s18
	v_lshlrev_b32_e32 v30, 3, v30
	s_lshl_b32 s43, s43, 3
	ds_write_b64 v30, v[110:111] offset:32768
	s_waitcnt lgkmcnt(1)
	v_fma_f64 v[20:21], -v[70:71], v[28:29], v[20:21]
	ds_read2_b64 v[28:31], v24 offset1:1
	v_mov_b32_e32 v24, s43
	s_add_i32 s43, s44, s19
	s_lshl_b32 s43, s43, 3
	ds_read2_b64 v[32:35], v24 offset1:1
	v_mov_b32_e32 v24, s43
	s_add_i32 s43, s44, s20
	s_lshl_b32 s43, s43, 3
	v_mov_b32_e32 v25, s43
	s_add_i32 s43, s44, s21
	s_lshl_b32 s43, s43, 3
	ds_read2_b64 v[36:39], v24 offset1:1
	ds_read2_b64 v[40:43], v25 offset1:1
	v_mov_b32_e32 v24, s43
	s_add_i32 s43, s44, s25
	s_lshl_b32 s43, s43, 3
	s_waitcnt lgkmcnt(3)
	v_fma_f64 v[20:21], -v[72:73], v[30:31], v[20:21]
	v_mov_b32_e32 v25, s43
	ds_read2_b64 v[44:47], v24 offset1:1
	ds_read2_b64 v[48:51], v25 offset1:1
	s_waitcnt lgkmcnt(4)
	v_fma_f64 v[20:21], -v[74:75], v[34:35], v[20:21]
	s_add_i32 s43, s44, s26
	s_waitcnt lgkmcnt(3)
	v_fma_f64 v[20:21], -v[76:77], v[38:39], v[20:21]
	s_lshl_b32 s43, s43, 3
	s_waitcnt lgkmcnt(2)
	v_fma_f64 v[20:21], -v[78:79], v[42:43], v[20:21]
	v_mov_b32_e32 v24, s43
	s_add_i32 s43, s44, s27
	s_waitcnt lgkmcnt(1)
	v_fma_f64 v[20:21], -v[80:81], v[46:47], v[20:21]
	s_lshl_b32 s43, s43, 3
	s_waitcnt lgkmcnt(0)
	v_fma_f64 v[20:21], -v[82:83], v[50:51], v[20:21]
	ds_read2_b64 v[50:53], v24 offset1:1
	v_mov_b32_e32 v24, s43
	s_add_i32 s43, s44, s28
	s_lshl_b32 s43, s43, 3
	ds_read2_b64 v[54:57], v24 offset1:1
	v_mov_b32_e32 v24, s43
	s_add_i32 s43, s44, s29
	s_lshl_b32 s43, s43, 3
	v_mov_b32_e32 v25, s43
	s_add_i32 s43, s44, s33
	s_lshl_b32 s43, s43, 3
	ds_read2_b64 v[58:61], v24 offset1:1
	ds_read2_b64 v[62:65], v25 offset1:1
	v_mov_b32_e32 v24, s43
	s_add_i32 s43, s44, s34
	s_lshl_b32 s43, s43, 3
	v_mov_b32_e32 v25, s43
	s_add_i32 s43, s44, s35
	s_waitcnt lgkmcnt(3)
	v_fma_f64 v[20:21], -v[84:85], v[52:53], v[20:21]
	ds_read2_b64 v[114:117], v24 offset1:1
	ds_read2_b64 v[118:121], v25 offset1:1
	s_lshl_b32 s43, s43, 3
	s_waitcnt lgkmcnt(4)
	v_fma_f64 v[20:21], -v[86:87], v[56:57], v[20:21]
	v_mov_b32_e32 v24, s43
	s_add_i32 s43, s44, s36
	s_waitcnt lgkmcnt(3)
	v_fma_f64 v[20:21], -v[88:89], v[60:61], v[20:21]
	s_lshl_b32 s43, s43, 3
	s_waitcnt lgkmcnt(2)
	v_fma_f64 v[20:21], -v[90:91], v[64:65], v[20:21]
	ds_read2_b64 v[64:67], v24 offset1:1
	v_mov_b32_e32 v24, s43
	s_add_i32 s43, s44, s37
	s_waitcnt lgkmcnt(2)
	v_fma_f64 v[20:21], -v[92:93], v[116:117], v[20:21]
	s_lshl_b32 s43, s43, 3
	v_fma_f64 v[18:19], -v[68:69], v[22:23], v[18:19]
	s_waitcnt lgkmcnt(1)
	v_fma_f64 v[20:21], -v[94:95], v[120:121], v[20:21]
	ds_read2_b64 v[120:123], v24 offset1:1
	v_mov_b32_e32 v24, s43
	s_add_i32 s43, s44, s38
	v_fma_f64 v[18:19], -v[70:71], v[26:27], v[18:19]
	s_lshl_b32 s43, s43, 3
	v_fma_f64 v[18:19], -v[72:73], v[28:29], v[18:19]
	v_mov_b32_e32 v25, s43
	s_add_i32 s43, s44, s39
	v_fma_f64 v[18:19], -v[74:75], v[32:33], v[18:19]
	s_lshl_b32 s43, s43, 3
	v_fma_f64 v[18:19], -v[76:77], v[36:37], v[18:19]
	ds_read2_b64 v[124:127], v24 offset1:1
	ds_read2_b64 v[130:133], v25 offset1:1
	v_mov_b32_e32 v24, s43
	s_add_i32 s43, s44, s40
	v_fma_f64 v[18:19], -v[78:79], v[40:41], v[18:19]
	s_lshl_b32 s43, s43, 3
	v_fma_f64 v[18:19], -v[80:81], v[44:45], v[18:19]
	s_waitcnt lgkmcnt(3)
	v_fma_f64 v[20:21], -v[96:97], v[66:67], v[20:21]
	v_mov_b32_e32 v25, s43
	ds_read2_b64 v[134:137], v24 offset1:1
	ds_read2_b64 v[138:141], v25 offset1:1
	v_fma_f64 v[18:19], -v[82:83], v[48:49], v[18:19]
	s_waitcnt lgkmcnt(4)
	v_fma_f64 v[20:21], -v[98:99], v[122:123], v[20:21]
	s_add_i32 s43, s44, s41
	v_fma_f64 v[18:19], -v[84:85], v[50:51], v[18:19]
	s_waitcnt lgkmcnt(3)
	v_fma_f64 v[20:21], -v[100:101], v[126:127], v[20:21]
	s_lshl_b32 s43, s43, 3
	v_fma_f64 v[18:19], -v[86:87], v[54:55], v[18:19]
	s_waitcnt lgkmcnt(2)
	v_fma_f64 v[20:21], -v[102:103], v[132:133], v[20:21]
	v_mov_b32_e32 v24, s43
	s_add_i32 s43, s44, s42
	v_fma_f64 v[18:19], -v[88:89], v[58:59], v[18:19]
	s_waitcnt lgkmcnt(1)
	v_fma_f64 v[20:21], -v[104:105], v[136:137], v[20:21]
	s_lshl_b32 s43, s43, 3
	v_fma_f64 v[18:19], -v[90:91], v[62:63], v[18:19]
	s_waitcnt lgkmcnt(0)
	v_fma_f64 v[20:21], -v[106:107], v[140:141], v[20:21]
	ds_read2_b64 v[140:143], v24 offset1:1
	v_mov_b32_e32 v24, s43
	s_add_i32 s43, s12, 0xfffffa80
	v_fma_f64 v[18:19], -v[92:93], v[114:115], v[18:19]
	s_add_i32 s45, s44, s43
	v_fma_f64 v[18:19], -v[94:95], v[118:119], v[18:19]
	s_lshl_b32 s45, s45, 3
	v_fma_f64 v[18:19], -v[96:97], v[64:65], v[18:19]
	ds_read2_b64 v[144:147], v24 offset1:1
	v_mov_b32_e32 v24, s45
	v_fma_f64 v[18:19], -v[98:99], v[120:121], v[18:19]
	ds_read2_b64 v[148:151], v24 offset1:1
	s_add_i32 s45, s13, 0xffffd148
	v_fma_f64 v[18:19], -v[100:101], v[124:125], v[18:19]
	v_mov_b32_e32 v24, s45
	v_fma_f64 v[18:19], -v[102:103], v[130:131], v[18:19]
	ds_read_b64 v[24:25], v24
	v_fma_f64 v[18:19], -v[104:105], v[134:135], v[18:19]
	s_waitcnt lgkmcnt(3)
	v_fma_f64 v[20:21], -v[108:109], v[142:143], v[20:21]
	v_fma_f64 v[18:19], -v[106:107], v[138:139], v[18:19]
	s_waitcnt lgkmcnt(2)
	v_fma_f64 v[20:21], -v[110:111], v[146:147], v[20:21]
	v_fma_f64 v[18:19], -v[108:109], v[140:141], v[18:19]
	s_waitcnt lgkmcnt(1)
	v_mul_f64 v[112:113], v[150:151], v[20:21]
	v_fma_f64 v[18:19], -v[110:111], v[144:145], v[18:19]
	s_sub_i32 s46, s9, 25
	v_fma_f64 v[18:19], -v[112:113], v[148:149], v[18:19]
	s_lshl_b32 s44, s44, 6
	s_add_i32 s45, s46, s12
	s_waitcnt lgkmcnt(0)
	v_mul_f64 v[114:115], v[24:25], v[18:19]
	v_or_b32_e32 v18, s44, v0
	s_lshl_b32 s45, s45, 3
	v_lshlrev_b32_e32 v34, 3, v18
	v_mov_b32_e32 v18, s45
	s_add_i32 s45, s46, s16
	s_lshl_b32 s45, s45, 3
	v_or_b32_e32 v20, s43, v0
	v_mov_b32_e32 v22, s45
	s_add_i32 s45, s46, s17
	v_lshlrev_b32_e32 v20, 3, v20
	s_lshl_b32 s45, s45, 3
	ds_write_b64 v20, v[112:113] offset:32768
	v_mov_b32_e32 v26, s45
	s_add_i32 s45, s46, s18
	ds_read2_b64 v[18:21], v18 offset1:1
	ds_read2_b64 v[22:25], v22 offset1:1
	s_lshl_b32 s45, s45, 3
	v_mov_b32_e32 v30, s45
	ds_read2_b64 v[26:29], v26 offset1:1
	ds_read2_b64 v[30:33], v30 offset1:1
	s_add_i32 s45, s46, s19
	s_waitcnt lgkmcnt(3)
	v_fma_f64 v[16:17], -v[68:69], v[20:21], v[16:17]
	s_lshl_b32 s45, s45, 3
	s_waitcnt lgkmcnt(2)
	v_fma_f64 v[16:17], -v[70:71], v[24:25], v[16:17]
	v_mov_b32_e32 v20, s45
	s_add_i32 s45, s46, s20
	s_waitcnt lgkmcnt(1)
	v_fma_f64 v[16:17], -v[72:73], v[28:29], v[16:17]
	s_lshl_b32 s45, s45, 3
	ds_write_b64 v34, v[114:115] offset:32768
	s_waitcnt lgkmcnt(1)
	v_fma_f64 v[16:17], -v[74:75], v[32:33], v[16:17]
	ds_read2_b64 v[32:35], v20 offset1:1
	v_mov_b32_e32 v20, s45
	s_add_i32 s45, s46, s21
	s_lshl_b32 s45, s45, 3
	ds_read2_b64 v[36:39], v20 offset1:1
	v_mov_b32_e32 v20, s45
	s_add_i32 s45, s46, s25
	s_lshl_b32 s45, s45, 3
	v_mov_b32_e32 v21, s45
	s_add_i32 s45, s46, s26
	s_lshl_b32 s45, s45, 3
	ds_read2_b64 v[40:43], v20 offset1:1
	ds_read2_b64 v[44:47], v21 offset1:1
	v_mov_b32_e32 v20, s45
	s_add_i32 s45, s46, s27
	s_lshl_b32 s45, s45, 3
	s_waitcnt lgkmcnt(3)
	v_fma_f64 v[16:17], -v[76:77], v[34:35], v[16:17]
	v_mov_b32_e32 v21, s45
	ds_read2_b64 v[48:51], v20 offset1:1
	ds_read2_b64 v[52:55], v21 offset1:1
	s_waitcnt lgkmcnt(4)
	v_fma_f64 v[16:17], -v[78:79], v[38:39], v[16:17]
	s_add_i32 s45, s46, s28
	s_waitcnt lgkmcnt(3)
	v_fma_f64 v[16:17], -v[80:81], v[42:43], v[16:17]
	s_lshl_b32 s45, s45, 3
	s_waitcnt lgkmcnt(2)
	v_fma_f64 v[16:17], -v[82:83], v[46:47], v[16:17]
	v_mov_b32_e32 v20, s45
	s_add_i32 s45, s46, s29
	s_waitcnt lgkmcnt(1)
	v_fma_f64 v[16:17], -v[84:85], v[50:51], v[16:17]
	s_lshl_b32 s45, s45, 3
	s_waitcnt lgkmcnt(0)
	v_fma_f64 v[16:17], -v[86:87], v[54:55], v[16:17]
	ds_read2_b64 v[54:57], v20 offset1:1
	v_mov_b32_e32 v20, s45
	s_add_i32 s45, s46, s33
	s_lshl_b32 s45, s45, 3
	ds_read2_b64 v[58:61], v20 offset1:1
	v_mov_b32_e32 v20, s45
	s_add_i32 s45, s46, s34
	s_lshl_b32 s45, s45, 3
	v_mov_b32_e32 v21, s45
	s_add_i32 s45, s46, s35
	s_lshl_b32 s45, s45, 3
	ds_read2_b64 v[62:65], v20 offset1:1
	ds_read2_b64 v[118:121], v21 offset1:1
	v_mov_b32_e32 v20, s45
	s_add_i32 s45, s46, s36
	s_lshl_b32 s45, s45, 3
	v_mov_b32_e32 v21, s45
	s_add_i32 s45, s46, s37
	s_lshl_b32 s45, s45, 3
	s_waitcnt lgkmcnt(3)
	v_fma_f64 v[16:17], -v[88:89], v[56:57], v[16:17]
	ds_read2_b64 v[122:125], v20 offset1:1
	ds_read2_b64 v[130:133], v21 offset1:1
	v_mov_b32_e32 v20, s45
	s_add_i32 s45, s46, s38
	s_waitcnt lgkmcnt(4)
	v_fma_f64 v[16:17], -v[90:91], v[60:61], v[16:17]
	s_lshl_b32 s45, s45, 3
	v_fma_f64 v[14:15], -v[68:69], v[18:19], v[14:15]
	s_waitcnt lgkmcnt(3)
	v_fma_f64 v[16:17], -v[92:93], v[64:65], v[16:17]
	ds_read2_b64 v[64:67], v20 offset1:1
	v_mov_b32_e32 v20, s45
	s_add_i32 s45, s46, s39
	v_fma_f64 v[14:15], -v[70:71], v[22:23], v[14:15]
	s_waitcnt lgkmcnt(3)
	v_fma_f64 v[16:17], -v[94:95], v[120:121], v[16:17]
	s_lshl_b32 s45, s45, 3
	v_fma_f64 v[14:15], -v[72:73], v[26:27], v[14:15]
	s_waitcnt lgkmcnt(2)
	v_fma_f64 v[16:17], -v[96:97], v[124:125], v[16:17]
	ds_read2_b64 v[124:127], v20 offset1:1
	v_mov_b32_e32 v20, s45
	s_add_i32 s45, s46, s40
	v_fma_f64 v[14:15], -v[74:75], v[30:31], v[14:15]
	s_lshl_b32 s45, s45, 3
	v_fma_f64 v[14:15], -v[76:77], v[32:33], v[14:15]
	v_mov_b32_e32 v21, s45
	s_add_i32 s45, s46, s41
	v_fma_f64 v[14:15], -v[78:79], v[36:37], v[14:15]
	s_lshl_b32 s45, s45, 3
	v_fma_f64 v[14:15], -v[80:81], v[40:41], v[14:15]
	s_waitcnt lgkmcnt(2)
	v_fma_f64 v[16:17], -v[98:99], v[132:133], v[16:17]
	ds_read2_b64 v[132:135], v20 offset1:1
	ds_read2_b64 v[136:139], v21 offset1:1
	v_mov_b32_e32 v20, s45
	s_add_i32 s45, s46, s42
	v_fma_f64 v[14:15], -v[82:83], v[44:45], v[14:15]
	s_lshl_b32 s45, s45, 3
	v_fma_f64 v[14:15], -v[84:85], v[48:49], v[14:15]
	s_waitcnt lgkmcnt(3)
	v_fma_f64 v[16:17], -v[100:101], v[66:67], v[16:17]
	v_mov_b32_e32 v21, s45
	ds_read2_b64 v[140:143], v20 offset1:1
	ds_read2_b64 v[144:147], v21 offset1:1
	v_fma_f64 v[14:15], -v[86:87], v[52:53], v[14:15]
	s_waitcnt lgkmcnt(4)
	v_fma_f64 v[16:17], -v[102:103], v[126:127], v[16:17]
	s_add_i32 s45, s46, s43
	v_fma_f64 v[14:15], -v[88:89], v[54:55], v[14:15]
	s_waitcnt lgkmcnt(3)
	v_fma_f64 v[16:17], -v[104:105], v[134:135], v[16:17]
	s_lshl_b32 s45, s45, 3
	v_fma_f64 v[14:15], -v[90:91], v[58:59], v[14:15]
	s_waitcnt lgkmcnt(2)
	v_fma_f64 v[16:17], -v[106:107], v[138:139], v[16:17]
	v_mov_b32_e32 v20, s45
	s_add_i32 s45, s46, s44
	v_fma_f64 v[14:15], -v[92:93], v[62:63], v[14:15]
	s_waitcnt lgkmcnt(1)
	v_fma_f64 v[16:17], -v[108:109], v[142:143], v[16:17]
	s_lshl_b32 s45, s45, 3
	v_fma_f64 v[14:15], -v[94:95], v[118:119], v[14:15]
	s_waitcnt lgkmcnt(0)
	v_fma_f64 v[16:17], -v[110:111], v[146:147], v[16:17]
	ds_read2_b64 v[146:149], v20 offset1:1
	v_mov_b32_e32 v20, s45
	s_add_i32 s45, s12, 0xfffffa00
	v_fma_f64 v[14:15], -v[96:97], v[122:123], v[14:15]
	s_add_i32 s47, s46, s45
	v_fma_f64 v[14:15], -v[98:99], v[130:131], v[14:15]
	s_lshl_b32 s47, s47, 3
	v_fma_f64 v[14:15], -v[100:101], v[64:65], v[14:15]
	ds_read2_b64 v[150:153], v20 offset1:1
	v_mov_b32_e32 v20, s47
	v_fma_f64 v[14:15], -v[102:103], v[124:125], v[14:15]
	ds_read2_b64 v[154:157], v20 offset1:1
	s_add_i32 s47, s13, 0xffffcd38
	v_fma_f64 v[14:15], -v[104:105], v[132:133], v[14:15]
	v_mov_b32_e32 v20, s47
	v_fma_f64 v[14:15], -v[106:107], v[136:137], v[14:15]
	ds_read_b64 v[20:21], v20
	v_fma_f64 v[14:15], -v[108:109], v[140:141], v[14:15]
	s_waitcnt lgkmcnt(3)
	v_fma_f64 v[16:17], -v[112:113], v[148:149], v[16:17]
	v_fma_f64 v[14:15], -v[110:111], v[144:145], v[14:15]
	s_waitcnt lgkmcnt(2)
	v_fma_f64 v[16:17], -v[114:115], v[152:153], v[16:17]
	v_fma_f64 v[14:15], -v[112:113], v[146:147], v[14:15]
	s_waitcnt lgkmcnt(1)
	v_mul_f64 v[116:117], v[156:157], v[16:17]
	v_fma_f64 v[14:15], -v[114:115], v[150:151], v[14:15]
	v_fma_f64 v[14:15], -v[116:117], v[154:155], v[14:15]
	s_lshl_b32 s46, s46, 6
	s_sub_i32 s48, s9, 27
	s_waitcnt lgkmcnt(0)
	v_mul_f64 v[118:119], v[20:21], v[14:15]
	v_or_b32_e32 v14, s46, v0
	s_add_i32 s47, s48, s12
	v_or_b32_e32 v16, s45, v0
	v_lshlrev_b32_e32 v14, 3, v14
	s_lshl_b32 s47, s47, 3
	v_lshlrev_b32_e32 v16, 3, v16
	ds_write_b64 v14, v[118:119] offset:32768
	v_mov_b32_e32 v14, s47
	ds_write_b64 v16, v[116:117] offset:32768
	ds_read2_b64 v[14:17], v14 offset1:1
	s_add_i32 s47, s48, s16
	s_lshl_b32 s47, s47, 3
	v_mov_b32_e32 v18, s47
	ds_read2_b64 v[18:21], v18 offset1:1
	s_add_i32 s47, s48, s17
	s_lshl_b32 s47, s47, 3
	s_waitcnt lgkmcnt(1)
	v_fma_f64 v[12:13], -v[68:69], v[16:17], v[12:13]
	v_mov_b32_e32 v16, s47
	s_add_i32 s47, s48, s18
	s_lshl_b32 s47, s47, 3
	v_mov_b32_e32 v17, s47
	s_add_i32 s47, s48, s19
	s_lshl_b32 s47, s47, 3
	ds_read2_b64 v[22:25], v16 offset1:1
	ds_read2_b64 v[26:29], v17 offset1:1
	v_mov_b32_e32 v16, s47
	s_add_i32 s47, s48, s20
	s_lshl_b32 s47, s47, 3
	v_mov_b32_e32 v17, s47
	ds_read2_b64 v[30:33], v16 offset1:1
	ds_read2_b64 v[34:37], v17 offset1:1
	s_waitcnt lgkmcnt(4)
	v_fma_f64 v[12:13], -v[70:71], v[20:21], v[12:13]
	s_add_i32 s47, s48, s21
	s_waitcnt lgkmcnt(3)
	v_fma_f64 v[12:13], -v[72:73], v[24:25], v[12:13]
	s_lshl_b32 s47, s47, 3
	s_waitcnt lgkmcnt(2)
	v_fma_f64 v[12:13], -v[74:75], v[28:29], v[12:13]
	v_mov_b32_e32 v16, s47
	s_add_i32 s47, s48, s25
	s_waitcnt lgkmcnt(1)
	v_fma_f64 v[12:13], -v[76:77], v[32:33], v[12:13]
	s_lshl_b32 s47, s47, 3
	s_waitcnt lgkmcnt(0)
	v_fma_f64 v[12:13], -v[78:79], v[36:37], v[12:13]
	ds_read2_b64 v[36:39], v16 offset1:1
	v_mov_b32_e32 v16, s47
	s_add_i32 s47, s48, s26
	s_lshl_b32 s47, s47, 3
	ds_read2_b64 v[40:43], v16 offset1:1
	v_mov_b32_e32 v16, s47
	s_add_i32 s47, s48, s27
	s_lshl_b32 s47, s47, 3
	v_mov_b32_e32 v17, s47
	s_add_i32 s47, s48, s28
	s_lshl_b32 s47, s47, 3
	ds_read2_b64 v[44:47], v16 offset1:1
	ds_read2_b64 v[48:51], v17 offset1:1
	v_mov_b32_e32 v16, s47
	s_add_i32 s47, s48, s29
	s_lshl_b32 s47, s47, 3
	s_waitcnt lgkmcnt(3)
	v_fma_f64 v[12:13], -v[80:81], v[38:39], v[12:13]
	v_mov_b32_e32 v17, s47
	ds_read2_b64 v[52:55], v16 offset1:1
	ds_read2_b64 v[56:59], v17 offset1:1
	s_waitcnt lgkmcnt(4)
	v_fma_f64 v[12:13], -v[82:83], v[42:43], v[12:13]
	s_add_i32 s47, s48, s33
	s_waitcnt lgkmcnt(3)
	v_fma_f64 v[12:13], -v[84:85], v[46:47], v[12:13]
	s_lshl_b32 s47, s47, 3
	s_waitcnt lgkmcnt(2)
	v_fma_f64 v[12:13], -v[86:87], v[50:51], v[12:13]
	v_mov_b32_e32 v16, s47
	s_add_i32 s47, s48, s34
	s_waitcnt lgkmcnt(1)
	v_fma_f64 v[12:13], -v[88:89], v[54:55], v[12:13]
	s_lshl_b32 s47, s47, 3
	s_waitcnt lgkmcnt(0)
	v_fma_f64 v[12:13], -v[90:91], v[58:59], v[12:13]
	ds_read2_b64 v[58:61], v16 offset1:1
	v_mov_b32_e32 v16, s47
	s_add_i32 s47, s48, s35
	s_lshl_b32 s47, s47, 3
	ds_read2_b64 v[62:65], v16 offset1:1
	v_mov_b32_e32 v16, s47
	s_add_i32 s47, s48, s36
	s_lshl_b32 s47, s47, 3
	v_mov_b32_e32 v17, s47
	s_add_i32 s47, s48, s37
	s_lshl_b32 s47, s47, 3
	ds_read2_b64 v[122:125], v16 offset1:1
	ds_read2_b64 v[130:133], v17 offset1:1
	v_mov_b32_e32 v16, s47
	s_add_i32 s47, s48, s38
	s_lshl_b32 s47, s47, 3
	v_mov_b32_e32 v17, s47
	s_add_i32 s47, s48, s39
	s_lshl_b32 s47, s47, 3
	v_fma_f64 v[10:11], -v[68:69], v[14:15], v[10:11]
	ds_read2_b64 v[134:137], v16 offset1:1
	ds_read2_b64 v[138:141], v17 offset1:1
	v_mov_b32_e32 v16, s47
	s_add_i32 s47, s48, s40
	v_fma_f64 v[10:11], -v[70:71], v[18:19], v[10:11]
	s_waitcnt lgkmcnt(5)
	v_fma_f64 v[12:13], -v[92:93], v[60:61], v[12:13]
	s_lshl_b32 s47, s47, 3
	v_fma_f64 v[10:11], -v[72:73], v[22:23], v[10:11]
	s_waitcnt lgkmcnt(4)
	v_fma_f64 v[12:13], -v[94:95], v[64:65], v[12:13]
	ds_read2_b64 v[64:67], v16 offset1:1
	v_mov_b32_e32 v16, s47
	s_add_i32 s47, s48, s41
	v_fma_f64 v[10:11], -v[74:75], v[26:27], v[10:11]
	s_lshl_b32 s47, s47, 3
	v_fma_f64 v[10:11], -v[76:77], v[30:31], v[10:11]
	s_waitcnt lgkmcnt(4)
	v_fma_f64 v[12:13], -v[96:97], v[124:125], v[12:13]
	ds_read2_b64 v[124:127], v16 offset1:1
	v_mov_b32_e32 v16, s47
	s_add_i32 s47, s48, s42
	v_fma_f64 v[10:11], -v[78:79], v[34:35], v[10:11]
	s_lshl_b32 s47, s47, 3
	v_fma_f64 v[10:11], -v[80:81], v[36:37], v[10:11]
	s_waitcnt lgkmcnt(4)
	v_fma_f64 v[12:13], -v[98:99], v[132:133], v[12:13]
	v_mov_b32_e32 v17, s47
	s_add_i32 s47, s48, s43
	v_fma_f64 v[10:11], -v[82:83], v[40:41], v[10:11]
	s_waitcnt lgkmcnt(3)
	v_fma_f64 v[12:13], -v[100:101], v[136:137], v[12:13]
	s_lshl_b32 s47, s47, 3
	v_fma_f64 v[10:11], -v[84:85], v[44:45], v[10:11]
	s_waitcnt lgkmcnt(2)
	v_fma_f64 v[12:13], -v[102:103], v[140:141], v[12:13]
	ds_read2_b64 v[140:143], v16 offset1:1
	ds_read2_b64 v[144:147], v17 offset1:1
	v_mov_b32_e32 v16, s47
	s_add_i32 s47, s48, s44
	v_fma_f64 v[10:11], -v[86:87], v[48:49], v[10:11]
	s_lshl_b32 s47, s47, 3
	v_fma_f64 v[10:11], -v[88:89], v[52:53], v[10:11]
	s_waitcnt lgkmcnt(3)
	v_fma_f64 v[12:13], -v[104:105], v[66:67], v[12:13]
	v_mov_b32_e32 v17, s47
	ds_read2_b64 v[148:151], v16 offset1:1
	ds_read2_b64 v[152:155], v17 offset1:1
	v_fma_f64 v[10:11], -v[90:91], v[56:57], v[10:11]
	s_waitcnt lgkmcnt(4)
	v_fma_f64 v[12:13], -v[106:107], v[126:127], v[12:13]
	s_add_i32 s47, s48, s45
	v_fma_f64 v[10:11], -v[92:93], v[58:59], v[10:11]
	s_waitcnt lgkmcnt(3)
	v_fma_f64 v[12:13], -v[108:109], v[142:143], v[12:13]
	s_lshl_b32 s47, s47, 3
	v_fma_f64 v[10:11], -v[94:95], v[62:63], v[10:11]
	s_waitcnt lgkmcnt(2)
	v_fma_f64 v[12:13], -v[110:111], v[146:147], v[12:13]
	v_mov_b32_e32 v16, s47
	s_add_i32 s47, s48, s46
	v_fma_f64 v[10:11], -v[96:97], v[122:123], v[10:11]
	s_waitcnt lgkmcnt(1)
	v_fma_f64 v[12:13], -v[112:113], v[150:151], v[12:13]
	s_lshl_b32 s47, s47, 3
	v_fma_f64 v[10:11], -v[98:99], v[130:131], v[10:11]
	s_waitcnt lgkmcnt(0)
	v_fma_f64 v[12:13], -v[114:115], v[154:155], v[12:13]
	ds_read2_b64 v[154:157], v16 offset1:1
	v_mov_b32_e32 v16, s47
	s_add_i32 s47, s12, 0xfffff980
	v_fma_f64 v[10:11], -v[100:101], v[134:135], v[10:11]
	s_add_i32 s49, s48, s47
	v_fma_f64 v[10:11], -v[102:103], v[138:139], v[10:11]
	s_lshl_b32 s49, s49, 3
	v_fma_f64 v[10:11], -v[104:105], v[64:65], v[10:11]
	ds_read2_b64 v[158:161], v16 offset1:1
	v_mov_b32_e32 v16, s49
	v_fma_f64 v[10:11], -v[106:107], v[124:125], v[10:11]
	ds_read2_b64 v[162:165], v16 offset1:1
	s_add_i32 s49, s13, 0xffffc928
	v_fma_f64 v[10:11], -v[108:109], v[140:141], v[10:11]
	v_mov_b32_e32 v16, s49
	v_fma_f64 v[10:11], -v[110:111], v[144:145], v[10:11]
	ds_read_b64 v[16:17], v16
	v_fma_f64 v[10:11], -v[112:113], v[148:149], v[10:11]
	s_waitcnt lgkmcnt(3)
	v_fma_f64 v[12:13], -v[116:117], v[156:157], v[12:13]
	v_fma_f64 v[10:11], -v[114:115], v[152:153], v[10:11]
	s_waitcnt lgkmcnt(2)
	v_fma_f64 v[12:13], -v[118:119], v[160:161], v[12:13]
	v_fma_f64 v[10:11], -v[116:117], v[154:155], v[10:11]
	s_sub_i32 s49, s9, 29
	s_waitcnt lgkmcnt(1)
	v_mul_f64 v[120:121], v[164:165], v[12:13]
	v_fma_f64 v[10:11], -v[118:119], v[158:159], v[10:11]
	s_add_i32 s50, s49, s12
	v_fma_f64 v[10:11], -v[120:121], v[162:163], v[10:11]
	s_lshl_b32 s50, s50, 3
	v_or_b32_e32 v12, s47, v0
	s_waitcnt lgkmcnt(0)
	v_mul_f64 v[122:123], v[16:17], v[10:11]
	v_mov_b32_e32 v10, s50
	s_add_i32 s50, s49, s16
	v_lshlrev_b32_e32 v12, 3, v12
	s_lshl_b32 s50, s50, 3
	ds_write_b64 v12, v[120:121] offset:32768
	v_mov_b32_e32 v14, s50
	ds_read2_b64 v[10:13], v10 offset1:1
	ds_read2_b64 v[14:17], v14 offset1:1
	s_add_i32 s50, s49, s17
	s_lshl_b32 s48, s48, 6
	s_lshl_b32 s50, s50, 3
	v_or_b32_e32 v18, s48, v0
	s_waitcnt lgkmcnt(1)
	v_fma_f64 v[8:9], -v[68:69], v[12:13], v[8:9]
	v_mov_b32_e32 v12, s50
	s_add_i32 s50, s49, s18
	v_lshlrev_b32_e32 v18, 3, v18
	s_lshl_b32 s50, s50, 3
	ds_write_b64 v18, v[122:123] offset:32768
	s_waitcnt lgkmcnt(1)
	v_fma_f64 v[8:9], -v[70:71], v[16:17], v[8:9]
	ds_read2_b64 v[16:19], v12 offset1:1
	v_mov_b32_e32 v12, s50
	s_add_i32 s50, s49, s19
	s_lshl_b32 s50, s50, 3
	ds_read2_b64 v[20:23], v12 offset1:1
	v_mov_b32_e32 v12, s50
	s_add_i32 s50, s49, s20
	s_lshl_b32 s50, s50, 3
	v_mov_b32_e32 v13, s50
	s_add_i32 s50, s49, s21
	s_lshl_b32 s50, s50, 3
	ds_read2_b64 v[24:27], v12 offset1:1
	ds_read2_b64 v[28:31], v13 offset1:1
	v_mov_b32_e32 v12, s50
	s_add_i32 s50, s49, s25
	s_lshl_b32 s50, s50, 3
	s_waitcnt lgkmcnt(3)
	v_fma_f64 v[8:9], -v[72:73], v[18:19], v[8:9]
	v_mov_b32_e32 v13, s50
	ds_read2_b64 v[32:35], v12 offset1:1
	ds_read2_b64 v[36:39], v13 offset1:1
	s_waitcnt lgkmcnt(4)
	v_fma_f64 v[8:9], -v[74:75], v[22:23], v[8:9]
	s_add_i32 s50, s49, s26
	s_waitcnt lgkmcnt(3)
	v_fma_f64 v[8:9], -v[76:77], v[26:27], v[8:9]
	s_lshl_b32 s50, s50, 3
	s_waitcnt lgkmcnt(2)
	v_fma_f64 v[8:9], -v[78:79], v[30:31], v[8:9]
	v_mov_b32_e32 v12, s50
	s_add_i32 s50, s49, s27
	s_waitcnt lgkmcnt(1)
	v_fma_f64 v[8:9], -v[80:81], v[34:35], v[8:9]
	s_lshl_b32 s50, s50, 3
	s_waitcnt lgkmcnt(0)
	v_fma_f64 v[8:9], -v[82:83], v[38:39], v[8:9]
	ds_read2_b64 v[38:41], v12 offset1:1
	v_mov_b32_e32 v12, s50
	s_add_i32 s50, s49, s28
	s_lshl_b32 s50, s50, 3
	ds_read2_b64 v[42:45], v12 offset1:1
	v_mov_b32_e32 v12, s50
	s_add_i32 s50, s49, s29
	s_lshl_b32 s50, s50, 3
	v_mov_b32_e32 v13, s50
	s_add_i32 s50, s49, s33
	s_lshl_b32 s50, s50, 3
	ds_read2_b64 v[46:49], v12 offset1:1
	ds_read2_b64 v[50:53], v13 offset1:1
	v_mov_b32_e32 v12, s50
	s_add_i32 s50, s49, s34
	s_lshl_b32 s50, s50, 3
	s_waitcnt lgkmcnt(3)
	v_fma_f64 v[8:9], -v[84:85], v[40:41], v[8:9]
	v_mov_b32_e32 v13, s50
	ds_read2_b64 v[54:57], v12 offset1:1
	ds_read2_b64 v[58:61], v13 offset1:1
	s_waitcnt lgkmcnt(4)
	v_fma_f64 v[8:9], -v[86:87], v[44:45], v[8:9]
	s_add_i32 s50, s49, s35
	s_waitcnt lgkmcnt(3)
	v_fma_f64 v[8:9], -v[88:89], v[48:49], v[8:9]
	s_lshl_b32 s50, s50, 3
	s_waitcnt lgkmcnt(2)
	v_fma_f64 v[8:9], -v[90:91], v[52:53], v[8:9]
	v_mov_b32_e32 v12, s50
	s_add_i32 s50, s49, s36
	s_waitcnt lgkmcnt(1)
	v_fma_f64 v[8:9], -v[92:93], v[56:57], v[8:9]
	s_lshl_b32 s50, s50, 3
	s_waitcnt lgkmcnt(0)
	v_fma_f64 v[8:9], -v[94:95], v[60:61], v[8:9]
	ds_read2_b64 v[60:63], v12 offset1:1
	v_mov_b32_e32 v12, s50
	s_add_i32 s50, s49, s37
	s_lshl_b32 s50, s50, 3
	ds_read2_b64 v[64:67], v12 offset1:1
	v_mov_b32_e32 v12, s50
	s_add_i32 s50, s49, s38
	s_lshl_b32 s50, s50, 3
	v_mov_b32_e32 v13, s50
	s_add_i32 s50, s49, s39
	s_lshl_b32 s50, s50, 3
	ds_read2_b64 v[130:133], v12 offset1:1
	ds_read2_b64 v[134:137], v13 offset1:1
	v_mov_b32_e32 v12, s50
	s_add_i32 s50, s49, s40
	s_lshl_b32 s50, s50, 3
	s_waitcnt lgkmcnt(3)
	v_fma_f64 v[8:9], -v[96:97], v[62:63], v[8:9]
	v_mov_b32_e32 v13, s50
	ds_read2_b64 v[138:141], v12 offset1:1
	ds_read2_b64 v[142:145], v13 offset1:1
	v_fma_f64 v[6:7], -v[68:69], v[10:11], v[6:7]
	s_waitcnt lgkmcnt(4)
	v_fma_f64 v[8:9], -v[98:99], v[66:67], v[8:9]
	s_add_i32 s50, s49, s41
	v_fma_f64 v[6:7], -v[70:71], v[14:15], v[6:7]
	s_waitcnt lgkmcnt(3)
	v_fma_f64 v[8:9], -v[100:101], v[132:133], v[8:9]
	s_lshl_b32 s50, s50, 3
	v_fma_f64 v[6:7], -v[72:73], v[16:17], v[6:7]
	s_waitcnt lgkmcnt(2)
	v_fma_f64 v[8:9], -v[102:103], v[136:137], v[8:9]
	v_mov_b32_e32 v12, s50
	s_add_i32 s50, s49, s42
	v_fma_f64 v[6:7], -v[74:75], v[20:21], v[6:7]
	s_waitcnt lgkmcnt(1)
	v_fma_f64 v[8:9], -v[104:105], v[140:141], v[8:9]
	s_lshl_b32 s50, s50, 3
	v_fma_f64 v[6:7], -v[76:77], v[24:25], v[6:7]
	s_waitcnt lgkmcnt(0)
	v_fma_f64 v[8:9], -v[106:107], v[144:145], v[8:9]
	ds_read2_b64 v[144:147], v12 offset1:1
	v_mov_b32_e32 v12, s50
	s_add_i32 s50, s49, s43
	v_fma_f64 v[6:7], -v[78:79], v[28:29], v[6:7]
	s_lshl_b32 s50, s50, 3
	v_fma_f64 v[6:7], -v[80:81], v[32:33], v[6:7]
	ds_read2_b64 v[148:151], v12 offset1:1
	v_mov_b32_e32 v12, s50
	s_add_i32 s50, s49, s44
	v_fma_f64 v[6:7], -v[82:83], v[36:37], v[6:7]
	s_lshl_b32 s50, s50, 3
	v_fma_f64 v[6:7], -v[84:85], v[38:39], v[6:7]
	v_mov_b32_e32 v13, s50
	s_add_i32 s50, s49, s45
	v_fma_f64 v[6:7], -v[86:87], v[42:43], v[6:7]
	s_lshl_b32 s50, s50, 3
	v_fma_f64 v[6:7], -v[88:89], v[46:47], v[6:7]
	ds_read2_b64 v[152:155], v12 offset1:1
	ds_read2_b64 v[156:159], v13 offset1:1
	v_mov_b32_e32 v12, s50
	s_add_i32 s50, s49, s46
	v_fma_f64 v[6:7], -v[90:91], v[50:51], v[6:7]
	s_lshl_b32 s50, s50, 3
	v_fma_f64 v[6:7], -v[92:93], v[54:55], v[6:7]
	s_waitcnt lgkmcnt(3)
	v_fma_f64 v[8:9], -v[108:109], v[146:147], v[8:9]
	v_mov_b32_e32 v13, s50
	ds_read2_b64 v[160:163], v12 offset1:1
	ds_read2_b64 v[164:167], v13 offset1:1
	v_fma_f64 v[6:7], -v[94:95], v[58:59], v[6:7]
	s_waitcnt lgkmcnt(4)
	v_fma_f64 v[8:9], -v[110:111], v[150:151], v[8:9]
	s_add_i32 s50, s49, s47
	v_fma_f64 v[6:7], -v[96:97], v[60:61], v[6:7]
	s_waitcnt lgkmcnt(3)
	v_fma_f64 v[8:9], -v[112:113], v[154:155], v[8:9]
	s_lshl_b32 s50, s50, 3
	v_fma_f64 v[6:7], -v[98:99], v[64:65], v[6:7]
	s_waitcnt lgkmcnt(2)
	v_fma_f64 v[8:9], -v[114:115], v[158:159], v[8:9]
	v_mov_b32_e32 v12, s50
	s_add_i32 s50, s49, s48
	v_fma_f64 v[6:7], -v[100:101], v[130:131], v[6:7]
	s_waitcnt lgkmcnt(1)
	v_fma_f64 v[8:9], -v[116:117], v[162:163], v[8:9]
	s_lshl_b32 s50, s50, 3
	v_fma_f64 v[6:7], -v[102:103], v[134:135], v[6:7]
	s_waitcnt lgkmcnt(0)
	v_fma_f64 v[8:9], -v[118:119], v[166:167], v[8:9]
	ds_read2_b64 v[166:169], v12 offset1:1
	v_mov_b32_e32 v12, s50
	s_add_i32 s50, s12, 0xfffff900
	v_fma_f64 v[6:7], -v[104:105], v[138:139], v[6:7]
	s_add_i32 s51, s49, s50
	v_fma_f64 v[6:7], -v[106:107], v[142:143], v[6:7]
	s_lshl_b32 s51, s51, 3
	v_fma_f64 v[6:7], -v[108:109], v[144:145], v[6:7]
	ds_read2_b64 v[170:173], v12 offset1:1
	v_mov_b32_e32 v12, s51
	v_fma_f64 v[6:7], -v[110:111], v[148:149], v[6:7]
	ds_read2_b64 v[174:177], v12 offset1:1
	s_add_i32 s51, s13, 0xffffc518
	v_fma_f64 v[6:7], -v[112:113], v[152:153], v[6:7]
	v_mov_b32_e32 v12, s51
	v_fma_f64 v[6:7], -v[114:115], v[156:157], v[6:7]
	ds_read_b64 v[12:13], v12
	v_fma_f64 v[6:7], -v[116:117], v[160:161], v[6:7]
	s_waitcnt lgkmcnt(3)
	v_fma_f64 v[8:9], -v[120:121], v[168:169], v[8:9]
	v_fma_f64 v[6:7], -v[118:119], v[164:165], v[6:7]
	s_lshl_b32 s51, s49, 6
	s_sub_i32 s49, s9, 31
	s_waitcnt lgkmcnt(2)
	v_fma_f64 v[8:9], -v[122:123], v[172:173], v[8:9]
	v_fma_f64 v[6:7], -v[120:121], v[166:167], v[6:7]
	s_add_i32 s16, s49, s16
	s_waitcnt lgkmcnt(1)
	v_mul_f64 v[124:125], v[176:177], v[8:9]
	v_fma_f64 v[6:7], -v[122:123], v[170:171], v[6:7]
	s_lshl_b32 s16, s16, 3
	v_or_b32_e32 v8, s50, v0
	v_fma_f64 v[6:7], -v[124:125], v[174:175], v[6:7]
	s_add_i32 s52, s49, s12
	v_mov_b32_e32 v10, s16
	s_add_i32 s16, s49, s17
	v_lshlrev_b32_e32 v8, 3, v8
	s_waitcnt lgkmcnt(0)
	v_mul_f64 v[126:127], v[12:13], v[6:7]
	v_or_b32_e32 v6, s51, v0
	s_lshl_b32 s52, s52, 3
	s_lshl_b32 s16, s16, 3
	ds_write_b64 v8, v[124:125] offset:32768
	v_lshlrev_b32_e32 v22, 3, v6
	v_mov_b32_e32 v6, s52
	v_mov_b32_e32 v14, s16
	s_add_i32 s16, s49, s18
	ds_read2_b64 v[6:9], v6 offset1:1
	ds_read2_b64 v[10:13], v10 offset1:1
	s_lshl_b32 s16, s16, 3
	v_mov_b32_e32 v18, s16
	ds_read2_b64 v[14:17], v14 offset1:1
	ds_read2_b64 v[18:21], v18 offset1:1
	s_add_i32 s16, s49, s19
	s_waitcnt lgkmcnt(3)
	v_fma_f64 v[4:5], -v[68:69], v[8:9], v[4:5]
	s_lshl_b32 s16, s16, 3
	s_waitcnt lgkmcnt(2)
	v_fma_f64 v[4:5], -v[70:71], v[12:13], v[4:5]
	v_mov_b32_e32 v8, s16
	s_add_i32 s16, s49, s20
	s_waitcnt lgkmcnt(1)
	v_fma_f64 v[4:5], -v[72:73], v[16:17], v[4:5]
	s_lshl_b32 s16, s16, 3
	ds_write_b64 v22, v[126:127] offset:32768
	s_waitcnt lgkmcnt(1)
	v_fma_f64 v[4:5], -v[74:75], v[20:21], v[4:5]
	ds_read2_b64 v[20:23], v8 offset1:1
	v_mov_b32_e32 v8, s16
	s_add_i32 s16, s49, s21
	s_lshl_b32 s16, s16, 3
	ds_read2_b64 v[24:27], v8 offset1:1
	v_mov_b32_e32 v8, s16
	s_add_i32 s16, s49, s25
	s_lshl_b32 s16, s16, 3
	v_mov_b32_e32 v9, s16
	s_add_i32 s16, s49, s26
	s_lshl_b32 s16, s16, 3
	ds_read2_b64 v[28:31], v8 offset1:1
	ds_read2_b64 v[32:35], v9 offset1:1
	v_mov_b32_e32 v8, s16
	s_add_i32 s16, s49, s27
	s_lshl_b32 s16, s16, 3
	s_waitcnt lgkmcnt(3)
	v_fma_f64 v[4:5], -v[76:77], v[22:23], v[4:5]
	v_mov_b32_e32 v9, s16
	ds_read2_b64 v[36:39], v8 offset1:1
	ds_read2_b64 v[40:43], v9 offset1:1
	s_waitcnt lgkmcnt(4)
	v_fma_f64 v[4:5], -v[78:79], v[26:27], v[4:5]
	s_add_i32 s16, s49, s28
	s_waitcnt lgkmcnt(3)
	v_fma_f64 v[4:5], -v[80:81], v[30:31], v[4:5]
	s_lshl_b32 s16, s16, 3
	s_waitcnt lgkmcnt(2)
	v_fma_f64 v[4:5], -v[82:83], v[34:35], v[4:5]
	v_mov_b32_e32 v8, s16
	s_add_i32 s16, s49, s29
	s_waitcnt lgkmcnt(1)
	v_fma_f64 v[4:5], -v[84:85], v[38:39], v[4:5]
	s_lshl_b32 s16, s16, 3
	s_waitcnt lgkmcnt(0)
	v_fma_f64 v[4:5], -v[86:87], v[42:43], v[4:5]
	ds_read2_b64 v[42:45], v8 offset1:1
	v_mov_b32_e32 v8, s16
	s_add_i32 s16, s49, s33
	s_lshl_b32 s16, s16, 3
	ds_read2_b64 v[46:49], v8 offset1:1
	v_mov_b32_e32 v8, s16
	s_add_i32 s16, s49, s34
	s_lshl_b32 s16, s16, 3
	v_mov_b32_e32 v9, s16
	s_add_i32 s16, s49, s35
	s_lshl_b32 s16, s16, 3
	ds_read2_b64 v[50:53], v8 offset1:1
	ds_read2_b64 v[54:57], v9 offset1:1
	v_mov_b32_e32 v8, s16
	s_add_i32 s16, s49, s36
	s_lshl_b32 s16, s16, 3
	s_waitcnt lgkmcnt(3)
	v_fma_f64 v[4:5], -v[88:89], v[44:45], v[4:5]
	v_mov_b32_e32 v9, s16
	ds_read2_b64 v[58:61], v8 offset1:1
	ds_read2_b64 v[62:65], v9 offset1:1
	s_waitcnt lgkmcnt(4)
	v_fma_f64 v[4:5], -v[90:91], v[48:49], v[4:5]
	s_add_i32 s16, s49, s37
	s_waitcnt lgkmcnt(3)
	v_fma_f64 v[4:5], -v[92:93], v[52:53], v[4:5]
	s_lshl_b32 s16, s16, 3
	s_waitcnt lgkmcnt(2)
	v_fma_f64 v[4:5], -v[94:95], v[56:57], v[4:5]
	v_mov_b32_e32 v8, s16
	s_add_i32 s16, s49, s38
	s_waitcnt lgkmcnt(1)
	v_fma_f64 v[4:5], -v[96:97], v[60:61], v[4:5]
	s_lshl_b32 s16, s16, 3
	s_waitcnt lgkmcnt(0)
	v_fma_f64 v[4:5], -v[98:99], v[64:65], v[4:5]
	ds_read2_b64 v[64:67], v8 offset1:1
	v_mov_b32_e32 v8, s16
	s_add_i32 s16, s49, s39
	s_lshl_b32 s16, s16, 3
	ds_read2_b64 v[130:133], v8 offset1:1
	v_mov_b32_e32 v8, s16
	s_add_i32 s16, s49, s40
	s_lshl_b32 s16, s16, 3
	v_mov_b32_e32 v9, s16
	s_add_i32 s16, s49, s41
	s_lshl_b32 s16, s16, 3
	v_fma_f64 v[2:3], -v[68:69], v[6:7], v[2:3]
	ds_read2_b64 v[134:137], v8 offset1:1
	ds_read2_b64 v[138:141], v9 offset1:1
	v_mov_b32_e32 v8, s16
	s_add_i32 s16, s49, s42
	v_fma_f64 v[2:3], -v[70:71], v[10:11], v[2:3]
	s_lshl_b32 s16, s16, 3
	v_fma_f64 v[2:3], -v[72:73], v[14:15], v[2:3]
	s_waitcnt lgkmcnt(3)
	v_fma_f64 v[4:5], -v[100:101], v[66:67], v[4:5]
	v_mov_b32_e32 v9, s16
	ds_read2_b64 v[142:145], v8 offset1:1
	ds_read2_b64 v[146:149], v9 offset1:1
	v_fma_f64 v[2:3], -v[74:75], v[18:19], v[2:3]
	s_waitcnt lgkmcnt(4)
	v_fma_f64 v[4:5], -v[102:103], v[132:133], v[4:5]
	s_add_i32 s16, s49, s43
	v_fma_f64 v[2:3], -v[76:77], v[20:21], v[2:3]
	s_waitcnt lgkmcnt(3)
	v_fma_f64 v[4:5], -v[104:105], v[136:137], v[4:5]
	s_lshl_b32 s16, s16, 3
	v_fma_f64 v[2:3], -v[78:79], v[24:25], v[2:3]
	s_waitcnt lgkmcnt(2)
	v_fma_f64 v[4:5], -v[106:107], v[140:141], v[4:5]
	v_mov_b32_e32 v8, s16
	s_add_i32 s16, s49, s44
	v_fma_f64 v[2:3], -v[80:81], v[28:29], v[2:3]
	s_waitcnt lgkmcnt(1)
	v_fma_f64 v[4:5], -v[108:109], v[144:145], v[4:5]
	s_lshl_b32 s16, s16, 3
	v_fma_f64 v[2:3], -v[82:83], v[32:33], v[2:3]
	s_waitcnt lgkmcnt(0)
	v_fma_f64 v[4:5], -v[110:111], v[148:149], v[4:5]
	ds_read2_b64 v[148:151], v8 offset1:1
	v_mov_b32_e32 v8, s16
	s_add_i32 s16, s49, s45
	v_fma_f64 v[2:3], -v[84:85], v[36:37], v[2:3]
	s_lshl_b32 s16, s16, 3
	v_fma_f64 v[2:3], -v[86:87], v[40:41], v[2:3]
	ds_read2_b64 v[152:155], v8 offset1:1
	v_mov_b32_e32 v8, s16
	s_add_i32 s16, s49, s46
	v_fma_f64 v[2:3], -v[88:89], v[42:43], v[2:3]
	s_lshl_b32 s16, s16, 3
	v_fma_f64 v[2:3], -v[90:91], v[46:47], v[2:3]
	v_mov_b32_e32 v9, s16
	s_add_i32 s16, s49, s47
	v_fma_f64 v[2:3], -v[92:93], v[50:51], v[2:3]
	s_lshl_b32 s16, s16, 3
	v_fma_f64 v[2:3], -v[94:95], v[54:55], v[2:3]
	ds_read2_b64 v[156:159], v8 offset1:1
	ds_read2_b64 v[160:163], v9 offset1:1
	v_mov_b32_e32 v8, s16
	s_add_i32 s16, s49, s48
	v_fma_f64 v[2:3], -v[96:97], v[58:59], v[2:3]
	s_lshl_b32 s16, s16, 3
	v_fma_f64 v[2:3], -v[98:99], v[62:63], v[2:3]
	s_waitcnt lgkmcnt(3)
	v_fma_f64 v[4:5], -v[112:113], v[150:151], v[4:5]
	v_mov_b32_e32 v9, s16
	ds_read2_b64 v[164:167], v8 offset1:1
	ds_read2_b64 v[168:171], v9 offset1:1
	v_fma_f64 v[2:3], -v[100:101], v[64:65], v[2:3]
	s_waitcnt lgkmcnt(4)
	v_fma_f64 v[4:5], -v[114:115], v[154:155], v[4:5]
	s_add_i32 s16, s49, s50
	v_fma_f64 v[2:3], -v[102:103], v[130:131], v[2:3]
	s_waitcnt lgkmcnt(3)
	v_fma_f64 v[4:5], -v[116:117], v[158:159], v[4:5]
	s_lshl_b32 s16, s16, 3
	v_fma_f64 v[2:3], -v[104:105], v[134:135], v[2:3]
	s_waitcnt lgkmcnt(2)
	v_fma_f64 v[4:5], -v[118:119], v[162:163], v[4:5]
	v_mov_b32_e32 v8, s16
	s_add_i32 s16, s49, s51
	v_fma_f64 v[2:3], -v[106:107], v[138:139], v[2:3]
	s_waitcnt lgkmcnt(1)
	v_fma_f64 v[4:5], -v[120:121], v[166:167], v[4:5]
	s_lshl_b32 s16, s16, 3
	s_addk_i32 s12, 0xf880
	v_fma_f64 v[2:3], -v[108:109], v[142:143], v[2:3]
	s_waitcnt lgkmcnt(0)
	v_fma_f64 v[4:5], -v[122:123], v[170:171], v[4:5]
	ds_read2_b64 v[170:173], v8 offset1:1
	v_mov_b32_e32 v8, s16
	s_add_i32 s16, s49, s12
	v_fma_f64 v[2:3], -v[110:111], v[146:147], v[2:3]
	s_lshl_b32 s16, s16, 3
	v_fma_f64 v[2:3], -v[112:113], v[148:149], v[2:3]
	ds_read2_b64 v[174:177], v8 offset1:1
	v_mov_b32_e32 v8, s16
	v_fma_f64 v[2:3], -v[114:115], v[152:153], v[2:3]
	ds_read2_b64 v[178:181], v8 offset1:1
	s_addk_i32 s13, 0xc108
	v_fma_f64 v[2:3], -v[116:117], v[156:157], v[2:3]
	v_mov_b32_e32 v8, s13
	v_fma_f64 v[2:3], -v[118:119], v[160:161], v[2:3]
	ds_read_b64 v[8:9], v8
	v_fma_f64 v[2:3], -v[120:121], v[164:165], v[2:3]
	s_waitcnt lgkmcnt(3)
	v_fma_f64 v[4:5], -v[124:125], v[172:173], v[4:5]
	v_fma_f64 v[2:3], -v[122:123], v[168:169], v[2:3]
	s_waitcnt lgkmcnt(2)
	v_fma_f64 v[4:5], -v[126:127], v[176:177], v[4:5]
	v_fma_f64 v[2:3], -v[124:125], v[170:171], v[2:3]
	s_waitcnt lgkmcnt(1)
	v_mul_f64 v[4:5], v[180:181], v[4:5]
	v_or_b32_e32 v12, s12, v0
	v_fma_f64 v[2:3], -v[126:127], v[174:175], v[2:3]
	v_lshlrev_b32_e32 v12, 3, v12
	v_fma_f64 v[2:3], -v[4:5], v[178:179], v[2:3]
	s_sub_i32 s12, s9, 32
	s_addk_i32 s8, 0xff00
	ds_write_b64 v12, v[4:5] offset:32768
	s_waitcnt lgkmcnt(1)
	v_mul_f64 v[2:3], v[8:9], v[2:3]
	v_lshl_or_b32 v4, s49, 9, v1
	s_cmp_gt_i32 s9, 62
	ds_write_b64 v4, v[2:3] offset:32768
	s_cbranch_scc0 .LBB107_58
; %bb.57:                               ;   in Loop: Header=BB107_54 Depth=1
	s_mov_b32 s9, s12
	s_branch .LBB107_54
.LBB107_58:
	s_cmp_gt_i32 s12, -1
	s_cbranch_scc0 .LBB107_79
; %bb.59:
	s_cmp_lt_u32 s12, 3
	s_cbranch_scc1 .LBB107_65
; %bb.60:
	s_lshl_b32 s9, s30, 9
	s_lshl_b32 s8, s12, 3
	s_add_i32 s8, s9, s8
	v_lshl_or_b32 v1, v0, 3, s9
	s_addk_i32 s8, 0xfde8
	v_add_u32_e32 v1, 0x7e00, v1
	v_lshlrev_b32_e32 v10, 3, v0
.LBB107_61:                             ; =>This Loop Header: Depth=1
                                        ;     Child Loop BB107_62 Depth 2
	s_lshl_b32 s9, s12, 6
	v_or_b32_e32 v2, s9, v0
	v_lshlrev_b32_e32 v11, 3, v2
	ds_read2st64_b64 v[6:9], v11 offset0:63 offset1:64
	ds_read2st64_b64 v[2:5], v11 offset0:61 offset1:62
	s_cmp_le_i32 s31, s12
	v_mov_b32_e32 v12, v1
	s_mov_b32 s13, s8
	s_mov_b32 s16, s31
	s_cbranch_scc1 .LBB107_63
.LBB107_62:                             ;   Parent Loop BB107_61 Depth=1
                                        ; =>  This Inner Loop Header: Depth=2
	v_mov_b32_e32 v13, s13
	ds_read_b64 v[22:23], v12
	ds_read2_b64 v[14:17], v13 offset0:2 offset1:3
	ds_read2_b64 v[18:21], v13 offset1:1
	s_add_i32 s16, s16, -1
	s_addk_i32 s13, 0xfe00
	v_add_u32_e32 v12, 0xfffffe00, v12
	s_cmp_gt_i32 s16, s12
	s_waitcnt lgkmcnt(1)
	v_fma_f64 v[8:9], -v[22:23], v[16:17], v[8:9]
	v_fma_f64 v[6:7], -v[22:23], v[14:15], v[6:7]
	s_waitcnt lgkmcnt(0)
	v_fma_f64 v[4:5], -v[22:23], v[20:21], v[4:5]
	v_fma_f64 v[2:3], -v[22:23], v[18:19], v[2:3]
	s_cbranch_scc1 .LBB107_62
.LBB107_63:                             ;   in Loop: Header=BB107_61 Depth=1
	s_add_i32 s13, s12, -1
	s_add_i32 s16, s13, s9
	s_lshl_b32 s16, s16, 3
	v_mov_b32_e32 v12, s16
	s_mul_i32 s16, s12, 0x208
	ds_read2_b64 v[12:15], v12 offset1:1
	s_add_i32 s17, s16, 0xfffffdf8
	v_mov_b32_e32 v16, s17
	ds_read_b64 v[16:17], v16
	s_lshl_b32 s13, s13, 6
	s_waitcnt lgkmcnt(1)
	v_mul_f64 v[20:21], v[14:15], v[8:9]
	v_fma_f64 v[6:7], -v[20:21], v[12:13], v[6:7]
	s_add_i32 s17, s12, -3
	s_waitcnt lgkmcnt(0)
	v_mul_f64 v[22:23], v[16:17], v[6:7]
	v_or_b32_e32 v6, s13, v0
	s_add_i32 s18, s17, s9
	v_add_u32_e32 v11, 0x8000, v11
	v_lshlrev_b32_e32 v6, 3, v6
	s_lshl_b32 s18, s18, 3
	ds_write_b64 v11, v[20:21]
	ds_write_b64 v6, v[22:23] offset:32768
	v_mov_b32_e32 v6, s18
	ds_read2_b64 v[6:9], v6 offset1:1
	s_add_i32 s13, s17, s13
	s_lshl_b32 s13, s13, 3
	s_addk_i32 s9, 0xff80
	v_mov_b32_e32 v11, s13
	ds_read2_b64 v[12:15], v11 offset1:1
	s_add_i32 s13, s17, s9
	s_lshl_b32 s13, s13, 3
	s_waitcnt lgkmcnt(1)
	v_fma_f64 v[4:5], -v[20:21], v[8:9], v[4:5]
	v_mov_b32_e32 v8, s13
	ds_read2_b64 v[16:19], v8 offset1:1
	s_add_i32 s13, s16, 0xfffff9e8
	v_mov_b32_e32 v8, s13
	ds_read_b64 v[8:9], v8
	s_waitcnt lgkmcnt(2)
	v_fma_f64 v[4:5], -v[22:23], v[14:15], v[4:5]
	v_fma_f64 v[2:3], -v[20:21], v[6:7], v[2:3]
	s_waitcnt lgkmcnt(1)
	v_mul_f64 v[4:5], v[18:19], v[4:5]
	v_or_b32_e32 v11, s9, v0
	v_fma_f64 v[2:3], -v[22:23], v[12:13], v[2:3]
	v_lshlrev_b32_e32 v11, 3, v11
	v_fma_f64 v[2:3], -v[4:5], v[16:17], v[2:3]
	s_add_i32 s9, s12, -4
	s_sub_i32 s8, s8, 32
	ds_write_b64 v11, v[4:5] offset:32768
	s_waitcnt lgkmcnt(1)
	v_mul_f64 v[2:3], v[8:9], v[2:3]
	v_lshl_or_b32 v4, s17, 9, v10
	s_cmp_gt_i32 s12, 6
	ds_write_b64 v4, v[2:3] offset:32768
	s_cbranch_scc0 .LBB107_66
; %bb.64:                               ;   in Loop: Header=BB107_61 Depth=1
	s_mov_b32 s12, s9
	s_branch .LBB107_61
.LBB107_65:
	s_mov_b32 s9, s12
.LBB107_66:
	s_cmp_lt_i32 s9, 0
	s_cbranch_scc1 .LBB107_79
; %bb.67:
	s_bitcmp1_b32 s9, 0
	s_cselect_b64 s[12:13], -1, 0
	s_and_b64 vcc, exec, s[12:13]
	s_mov_b32 s8, s9
	s_cbranch_vccnz .LBB107_72
; %bb.68:
	v_lshlrev_b32_e32 v1, 3, v0
	v_lshl_or_b32 v1, s9, 9, v1
	ds_read_b64 v[2:3], v1 offset:32768
	s_cmp_le_i32 s31, s9
	s_cbranch_scc1 .LBB107_71
; %bb.69:
	s_lshl_b32 s12, s30, 9
	s_lshl_b32 s8, s9, 3
	s_add_i32 s8, s12, s8
	v_lshl_or_b32 v4, v0, 3, s12
	s_addk_i32 s8, 0xfe00
	v_add_u32_e32 v4, 0x7e00, v4
	s_mov_b32 s12, s31
.LBB107_70:                             ; =>This Inner Loop Header: Depth=1
	v_mov_b32_e32 v5, s8
	ds_read_b64 v[6:7], v4
	ds_read_b64 v[8:9], v5
	s_add_i32 s12, s12, -1
	s_addk_i32 s8, 0xfe00
	v_add_u32_e32 v4, 0xfffffe00, v4
	s_cmp_gt_i32 s12, s9
	s_waitcnt lgkmcnt(0)
	v_fma_f64 v[2:3], -v[6:7], v[8:9], v[2:3]
	s_cbranch_scc1 .LBB107_70
.LBB107_71:
	s_mul_i32 s8, s9, 0x208
	v_mov_b32_e32 v4, s8
	ds_read_b64 v[4:5], v4
	v_add_u32_e32 v1, 0x8000, v1
	s_add_i32 s8, s9, -1
	s_waitcnt lgkmcnt(0)
	v_mul_f64 v[2:3], v[4:5], v[2:3]
	ds_write_b64 v1, v[2:3]
.LBB107_72:
	s_cmp_eq_u32 s9, 0
	s_cbranch_scc1 .LBB107_79
; %bb.73:
	s_lshl_b32 s12, s30, 9
	s_lshl_b32 s9, s8, 3
	s_add_i32 s13, s12, s9
	v_lshl_or_b32 v1, v0, 3, s12
	s_add_i32 s9, s13, 0xfffffe00
	v_add_u32_e32 v1, 0x7e00, v1
	s_add_i32 s12, s13, 0xfffffdf8
	v_lshlrev_b32_e32 v6, 3, v0
	s_branch .LBB107_75
.LBB107_74:                             ;   in Loop: Header=BB107_75 Depth=1
	s_addk_i32 s13, 0xfdf8
	v_mov_b32_e32 v5, s13
	ds_read_b64 v[8:9], v5
	s_add_i32 s13, s8, -2
	s_add_i32 s9, s9, -16
	;; [unrolled: 1-line block ×3, first 2 shown]
	v_add_u32_e32 v4, 0x8000, v7
	s_cmp_lt_i32 s8, 2
	s_waitcnt lgkmcnt(0)
	v_mul_f64 v[2:3], v[8:9], v[2:3]
	s_mov_b32 s8, s13
	ds_write_b64 v4, v[2:3]
	s_cbranch_scc1 .LBB107_79
.LBB107_75:                             ; =>This Loop Header: Depth=1
                                        ;     Child Loop BB107_76 Depth 2
                                        ;     Child Loop BB107_78 Depth 2
	v_lshl_or_b32 v2, s8, 9, v6
	ds_read_b64 v[4:5], v2 offset:32768
	s_cmp_le_i32 s31, s8
	v_mov_b32_e32 v3, v1
	s_mov_b32 s13, s9
	s_mov_b32 s16, s31
	s_cbranch_scc1 .LBB107_77
.LBB107_76:                             ;   Parent Loop BB107_75 Depth=1
                                        ; =>  This Inner Loop Header: Depth=2
	v_mov_b32_e32 v7, s13
	ds_read_b64 v[8:9], v3
	ds_read_b64 v[10:11], v7
	s_add_i32 s16, s16, -1
	s_addk_i32 s13, 0xfe00
	v_add_u32_e32 v3, 0xfffffe00, v3
	s_cmp_gt_i32 s16, s8
	s_waitcnt lgkmcnt(0)
	v_fma_f64 v[4:5], -v[8:9], v[10:11], v[4:5]
	s_cbranch_scc1 .LBB107_76
.LBB107_77:                             ;   in Loop: Header=BB107_75 Depth=1
	s_mul_i32 s13, s8, 0x208
	v_add_u32_e32 v8, 0x8000, v2
	v_mov_b32_e32 v2, s13
	s_lshl_b32 s16, s8, 9
	ds_read_b64 v[10:11], v2
	s_addk_i32 s16, 0xfe00
	v_lshl_or_b32 v7, v0, 3, s16
	ds_read_b64 v[2:3], v7 offset:32768
	s_cmp_lt_i32 s31, s8
	s_waitcnt lgkmcnt(1)
	v_mul_f64 v[4:5], v[10:11], v[4:5]
	ds_write_b64 v8, v[4:5]
	v_mov_b32_e32 v4, v1
	s_mov_b32 s16, s12
	s_mov_b32 s17, s30
	s_cbranch_scc1 .LBB107_74
.LBB107_78:                             ;   Parent Loop BB107_75 Depth=1
                                        ; =>  This Inner Loop Header: Depth=2
	v_mov_b32_e32 v5, s16
	ds_read_b64 v[8:9], v4
	ds_read_b64 v[10:11], v5
	s_add_i32 s17, s17, -1
	s_addk_i32 s16, 0xfe00
	v_add_u32_e32 v4, 0xfffffe00, v4
	s_cmp_gt_i32 s17, s8
	s_waitcnt lgkmcnt(0)
	v_fma_f64 v[2:3], -v[8:9], v[10:11], v[2:3]
	s_cbranch_scc1 .LBB107_78
	s_branch .LBB107_74
.LBB107_79:
	s_waitcnt lgkmcnt(0)
	; wave barrier
	s_waitcnt lgkmcnt(0)
	s_and_saveexec_b64 s[8:9], s[6:7]
	s_cbranch_execz .LBB107_86
; %bb.80:
	s_cmp_lt_i32 s10, 8
	s_mov_b32 s6, 0
	s_cbranch_scc1 .LBB107_83
; %bb.81:
	v_mad_i64_i32 v[2:3], s[6:7], s22, v0, 0
	v_lshlrev_b64 v[2:3], 3, v[2:3]
	v_mov_b32_e32 v4, s24
	v_add_co_u32_e32 v1, vcc, s11, v2
	v_addc_co_u32_e32 v2, vcc, v4, v3, vcc
	v_mov_b32_e32 v3, 0x8000
	s_lshl_b32 s6, s30, 3
	v_lshl_or_b32 v3, v0, 3, v3
	s_and_b32 s7, s6, 0x3c0
	s_mov_b32 s6, 0
	s_mov_b64 s[8:9], 0
.LBB107_82:                             ; =>This Inner Loop Header: Depth=1
	ds_read2st64_b64 v[4:7], v3 offset1:1
	ds_read2st64_b64 v[8:11], v3 offset0:2 offset1:3
	ds_read2st64_b64 v[12:15], v3 offset0:4 offset1:5
	;; [unrolled: 1-line block ×3, first 2 shown]
	s_add_i32 s6, s6, 8
	v_add_co_u32_e32 v20, vcc, s8, v1
	s_add_u32 s8, s8, 64
	v_mov_b32_e32 v21, s9
	s_addc_u32 s9, s9, 0
	v_add_u32_e32 v3, 0x1000, v3
	v_addc_co_u32_e32 v21, vcc, v2, v21, vcc
	s_cmp_lg_u32 s7, s8
	s_waitcnt lgkmcnt(3)
	global_store_dwordx4 v[20:21], v[4:7], off
	s_waitcnt lgkmcnt(2)
	global_store_dwordx4 v[20:21], v[8:11], off offset:16
	s_waitcnt lgkmcnt(1)
	global_store_dwordx4 v[20:21], v[12:15], off offset:32
	;; [unrolled: 2-line block ×3, first 2 shown]
	s_cbranch_scc1 .LBB107_82
.LBB107_83:
	s_and_b32 s8, s30, 7
	s_cmp_eq_u32 s8, 0
	s_mov_b32 s7, 0
	s_cbranch_scc1 .LBB107_86
; %bb.84:
	s_lshl_b64 s[10:11], s[14:15], 3
	v_lshlrev_b32_e32 v2, 3, v0
	v_mov_b32_e32 v0, s11
	v_add_co_u32_e32 v3, vcc, s10, v2
	s_lshl_b64 s[10:11], s[6:7], 3
	s_add_u32 s2, s2, s10
	s_addc_u32 s3, s3, s11
	s_add_u32 s2, s2, s4
	s_addc_u32 s3, s3, s5
	;; [unrolled: 2-line block ×3, first 2 shown]
	v_addc_co_u32_e32 v4, vcc, 0, v0, vcc
	v_pk_mov_b32 v[0:1], s[0:1], s[0:1] op_sel:[0,1]
	v_mad_u64_u32 v[0:1], s[0:1], v3, s22, v[0:1]
	v_mul_lo_u32 v3, v3, s23
	v_mul_lo_u32 v4, v4, s22
	v_lshl_or_b32 v2, s6, 9, v2
	v_add3_u32 v1, v4, v1, v3
	v_add_u32_e32 v2, 0x8000, v2
.LBB107_85:                             ; =>This Inner Loop Header: Depth=1
	ds_read_b64 v[4:5], v2
	s_add_i32 s8, s8, -1
	v_add_u32_e32 v2, 0x200, v2
	s_cmp_lg_u32 s8, 0
	s_waitcnt lgkmcnt(0)
	global_store_dwordx2 v[0:1], v[4:5], off
	v_add_co_u32_e32 v0, vcc, 8, v0
	v_addc_co_u32_e32 v1, vcc, 0, v1, vcc
	s_cbranch_scc1 .LBB107_85
.LBB107_86:
	s_endpgm
	.section	.rodata,"a",@progbits
	.p2align	6, 0x0
	.amdhsa_kernel _ZL38rocblas_trsm_small_left_device_sharedBILi64ELi32ELb0EddPKdPdEv13rocblas_fill_18rocblas_operation_17rocblas_diagonal_iiT3_T4_lilT5_lili
		.amdhsa_group_segment_fixed_size 65536
		.amdhsa_private_segment_fixed_size 0
		.amdhsa_kernarg_size 360
		.amdhsa_user_sgpr_count 6
		.amdhsa_user_sgpr_private_segment_buffer 1
		.amdhsa_user_sgpr_dispatch_ptr 0
		.amdhsa_user_sgpr_queue_ptr 0
		.amdhsa_user_sgpr_kernarg_segment_ptr 1
		.amdhsa_user_sgpr_dispatch_id 0
		.amdhsa_user_sgpr_flat_scratch_init 0
		.amdhsa_user_sgpr_kernarg_preload_length 0
		.amdhsa_user_sgpr_kernarg_preload_offset 0
		.amdhsa_user_sgpr_private_segment_size 0
		.amdhsa_uses_dynamic_stack 0
		.amdhsa_system_sgpr_private_segment_wavefront_offset 0
		.amdhsa_system_sgpr_workgroup_id_x 1
		.amdhsa_system_sgpr_workgroup_id_y 0
		.amdhsa_system_sgpr_workgroup_id_z 1
		.amdhsa_system_sgpr_workgroup_info 0
		.amdhsa_system_vgpr_workitem_id 0
		.amdhsa_next_free_vgpr 182
		.amdhsa_next_free_sgpr 53
		.amdhsa_accum_offset 184
		.amdhsa_reserve_vcc 1
		.amdhsa_reserve_flat_scratch 0
		.amdhsa_float_round_mode_32 0
		.amdhsa_float_round_mode_16_64 0
		.amdhsa_float_denorm_mode_32 3
		.amdhsa_float_denorm_mode_16_64 3
		.amdhsa_dx10_clamp 1
		.amdhsa_ieee_mode 1
		.amdhsa_fp16_overflow 0
		.amdhsa_tg_split 0
		.amdhsa_exception_fp_ieee_invalid_op 0
		.amdhsa_exception_fp_denorm_src 0
		.amdhsa_exception_fp_ieee_div_zero 0
		.amdhsa_exception_fp_ieee_overflow 0
		.amdhsa_exception_fp_ieee_underflow 0
		.amdhsa_exception_fp_ieee_inexact 0
		.amdhsa_exception_int_div_zero 0
	.end_amdhsa_kernel
	.section	.text._ZL38rocblas_trsm_small_left_device_sharedBILi64ELi32ELb0EddPKdPdEv13rocblas_fill_18rocblas_operation_17rocblas_diagonal_iiT3_T4_lilT5_lili,"axG",@progbits,_ZL38rocblas_trsm_small_left_device_sharedBILi64ELi32ELb0EddPKdPdEv13rocblas_fill_18rocblas_operation_17rocblas_diagonal_iiT3_T4_lilT5_lili,comdat
.Lfunc_end107:
	.size	_ZL38rocblas_trsm_small_left_device_sharedBILi64ELi32ELb0EddPKdPdEv13rocblas_fill_18rocblas_operation_17rocblas_diagonal_iiT3_T4_lilT5_lili, .Lfunc_end107-_ZL38rocblas_trsm_small_left_device_sharedBILi64ELi32ELb0EddPKdPdEv13rocblas_fill_18rocblas_operation_17rocblas_diagonal_iiT3_T4_lilT5_lili
                                        ; -- End function
	.section	.AMDGPU.csdata,"",@progbits
; Kernel info:
; codeLenInByte = 25708
; NumSgprs: 57
; NumVgprs: 182
; NumAgprs: 0
; TotalNumVgprs: 182
; ScratchSize: 0
; MemoryBound: 0
; FloatMode: 240
; IeeeMode: 1
; LDSByteSize: 65536 bytes/workgroup (compile time only)
; SGPRBlocks: 7
; VGPRBlocks: 22
; NumSGPRsForWavesPerEU: 57
; NumVGPRsForWavesPerEU: 182
; AccumOffset: 184
; Occupancy: 1
; WaveLimiterHint : 0
; COMPUTE_PGM_RSRC2:SCRATCH_EN: 0
; COMPUTE_PGM_RSRC2:USER_SGPR: 6
; COMPUTE_PGM_RSRC2:TRAP_HANDLER: 0
; COMPUTE_PGM_RSRC2:TGID_X_EN: 1
; COMPUTE_PGM_RSRC2:TGID_Y_EN: 0
; COMPUTE_PGM_RSRC2:TGID_Z_EN: 1
; COMPUTE_PGM_RSRC2:TIDIG_COMP_CNT: 0
; COMPUTE_PGM_RSRC3_GFX90A:ACCUM_OFFSET: 45
; COMPUTE_PGM_RSRC3_GFX90A:TG_SPLIT: 0
	.section	.text._ZL30rocblas_trsm_small_left_deviceILi64ELi32ELb0EddPKdPdEv13rocblas_fill_18rocblas_operation_17rocblas_diagonal_iiT3_T4_lilT5_lili,"axG",@progbits,_ZL30rocblas_trsm_small_left_deviceILi64ELi32ELb0EddPKdPdEv13rocblas_fill_18rocblas_operation_17rocblas_diagonal_iiT3_T4_lilT5_lili,comdat
	.globl	_ZL30rocblas_trsm_small_left_deviceILi64ELi32ELb0EddPKdPdEv13rocblas_fill_18rocblas_operation_17rocblas_diagonal_iiT3_T4_lilT5_lili ; -- Begin function _ZL30rocblas_trsm_small_left_deviceILi64ELi32ELb0EddPKdPdEv13rocblas_fill_18rocblas_operation_17rocblas_diagonal_iiT3_T4_lilT5_lili
	.p2align	8
	.type	_ZL30rocblas_trsm_small_left_deviceILi64ELi32ELb0EddPKdPdEv13rocblas_fill_18rocblas_operation_17rocblas_diagonal_iiT3_T4_lilT5_lili,@function
_ZL30rocblas_trsm_small_left_deviceILi64ELi32ELb0EddPKdPdEv13rocblas_fill_18rocblas_operation_17rocblas_diagonal_iiT3_T4_lilT5_lili: ; @_ZL30rocblas_trsm_small_left_deviceILi64ELi32ELb0EddPKdPdEv13rocblas_fill_18rocblas_operation_17rocblas_diagonal_iiT3_T4_lilT5_lili
; %bb.0:
	s_load_dwordx4 s[12:15], s[4:5], 0x4
	s_load_dwordx4 s[0:3], s[4:5], 0x18
	s_load_dwordx2 s[22:23], s[4:5], 0x28
	s_load_dwordx4 s[8:11], s[4:5], 0x38
	s_load_dwordx2 s[18:19], s[4:5], 0x48
	s_waitcnt lgkmcnt(0)
	s_min_i32 s33, s14, 64
	s_mov_b32 s17, 0
	s_add_i32 s16, s33, -1
	v_cmp_gt_i32_e32 vcc, s33, v0
	s_and_saveexec_b64 s[20:21], vcc
	s_cbranch_execz .LBB108_10
; %bb.1:
	s_load_dword s24, s[4:5], 0x30
	s_mul_i32 s9, s7, s9
	s_mul_hi_u32 s25, s7, s8
	s_add_i32 s9, s25, s9
	s_mul_i32 s8, s7, s8
	s_waitcnt lgkmcnt(0)
	s_ashr_i32 s25, s24, 31
	s_cmp_lt_u32 s16, 3
	v_lshlrev_b32_e32 v1, 3, v0
	s_cbranch_scc1 .LBB108_4
; %bb.2:
	s_lshl_b64 s[26:27], s[8:9], 3
	s_add_u32 s17, s2, s26
	s_addc_u32 s28, s3, s27
	s_lshl_b64 s[26:27], s[22:23], 3
	s_add_u32 s17, s17, s26
	s_addc_u32 s26, s28, s27
	v_mov_b32_e32 v3, s26
	v_add_co_u32_e32 v2, vcc, s17, v1
	s_mul_hi_i32 s36, s24, 24
	s_lshl_b64 s[26:27], s[24:25], 5
	s_lshl_b64 s[28:29], s[24:25], 4
	s_lshl_b64 s[30:31], s[24:25], 3
	v_addc_co_u32_e32 v3, vcc, 0, v3, vcc
	s_and_b32 s17, s33, -4
	s_mul_i32 s34, s24, 24
	s_mov_b32 s35, 0
	v_mov_b32_e32 v4, s31
	v_mov_b32_e32 v5, s29
	;; [unrolled: 1-line block ×5, first 2 shown]
.LBB108_3:                              ; =>This Inner Loop Header: Depth=1
	v_add_co_u32_e32 v12, vcc, s30, v2
	v_addc_co_u32_e32 v13, vcc, v3, v4, vcc
	v_add_co_u32_e32 v14, vcc, s28, v2
	v_addc_co_u32_e32 v15, vcc, v3, v5, vcc
	v_add_co_u32_e32 v16, vcc, s34, v2
	global_load_dwordx2 v[10:11], v[2:3], off
	v_addc_co_u32_e32 v17, vcc, v3, v6, vcc
	global_load_dwordx2 v[18:19], v[12:13], off
	global_load_dwordx2 v[20:21], v[14:15], off
	;; [unrolled: 1-line block ×3, first 2 shown]
	s_add_i32 s35, s35, 4
	v_add_co_u32_e32 v2, vcc, s26, v2
	v_addc_co_u32_e32 v3, vcc, v3, v7, vcc
	s_cmp_eq_u32 s17, s35
	s_waitcnt vmcnt(2)
	ds_write2st64_b64 v8, v[10:11], v[18:19] offset1:1
	s_waitcnt vmcnt(0)
	ds_write2st64_b64 v8, v[20:21], v[22:23] offset0:2 offset1:3
	v_add_u32_e32 v8, 0x800, v8
	s_cbranch_scc0 .LBB108_3
.LBB108_4:
	s_and_b32 s26, s33, 3
	s_cmp_eq_u32 s26, 0
	s_cbranch_scc1 .LBB108_7
; %bb.5:
	s_mul_i32 s27, s25, s17
	s_mul_hi_u32 s28, s24, s17
	s_add_i32 s29, s28, s27
	s_mul_i32 s28, s24, s17
	s_lshl_b64 s[8:9], s[8:9], 3
	s_lshl_b64 s[28:29], s[28:29], 3
	v_lshl_or_b32 v4, s17, 9, v1
	s_add_u32 s17, s8, s28
	s_addc_u32 s27, s9, s29
	s_lshl_b64 s[8:9], s[22:23], 3
	s_add_u32 s8, s17, s8
	s_addc_u32 s9, s27, s9
	s_add_u32 s2, s2, s8
	s_addc_u32 s3, s3, s9
	v_mov_b32_e32 v3, s3
	v_add_co_u32_e32 v2, vcc, s2, v1
	s_lshl_b64 s[2:3], s[24:25], 3
	v_addc_co_u32_e32 v3, vcc, 0, v3, vcc
	v_mov_b32_e32 v1, s3
.LBB108_6:                              ; =>This Inner Loop Header: Depth=1
	global_load_dwordx2 v[6:7], v[2:3], off
	v_add_co_u32_e32 v2, vcc, s2, v2
	s_add_i32 s26, s26, -1
	v_addc_co_u32_e32 v3, vcc, v3, v1, vcc
	s_cmp_lg_u32 s26, 0
	s_waitcnt vmcnt(0)
	ds_write_b64 v4, v[6:7]
	v_add_u32_e32 v4, 0x200, v4
	s_cbranch_scc1 .LBB108_6
.LBB108_7:
	v_mul_u32_u24_e32 v1, 0x41, v0
	v_mov_b32_e32 v2, 0
	s_cmpk_lg_i32 s13, 0x84
	v_lshlrev_b32_e32 v1, 3, v1
	v_mov_b32_e32 v3, 0x3ff00000
	s_cbranch_scc0 .LBB108_9
; %bb.8:
	ds_read_b64 v[2:3], v1
	s_waitcnt lgkmcnt(0)
	v_div_scale_f64 v[4:5], s[2:3], v[2:3], v[2:3], 1.0
	v_rcp_f64_e32 v[6:7], v[4:5]
	v_div_scale_f64 v[8:9], vcc, 1.0, v[2:3], 1.0
	v_fma_f64 v[10:11], -v[4:5], v[6:7], 1.0
	v_fmac_f64_e32 v[6:7], v[6:7], v[10:11]
	v_fma_f64 v[10:11], -v[4:5], v[6:7], 1.0
	v_fmac_f64_e32 v[6:7], v[6:7], v[10:11]
	v_mul_f64 v[10:11], v[8:9], v[6:7]
	v_fma_f64 v[4:5], -v[4:5], v[10:11], v[8:9]
	v_div_fmas_f64 v[4:5], v[4:5], v[6:7], v[10:11]
	v_div_fixup_f64 v[2:3], v[4:5], v[2:3], 1.0
.LBB108_9:
	ds_write_b64 v1, v[2:3]
.LBB108_10:
	s_or_b64 exec, exec, s[20:21]
	s_load_dword s2, s[4:5], 0x68
	s_lshl_b32 s8, s6, 6
	s_sub_i32 s3, s15, s8
	s_waitcnt lgkmcnt(0)
	; wave barrier
	s_waitcnt lgkmcnt(0)
	s_add_i32 s2, s2, -1
	s_cmp_ge_u32 s6, s2
	s_cselect_b32 s2, s3, 64
	v_cmp_gt_i32_e32 vcc, s2, v0
	s_and_saveexec_b64 s[2:3], vcc
	s_cbranch_execz .LBB108_77
; %bb.11:
	s_load_dwordx2 s[2:3], s[4:5], 0x58
	s_load_dword s6, s[4:5], 0x50
	v_add_u32_e32 v0, s8, v0
	s_waitcnt lgkmcnt(0)
	s_mul_i32 s3, s7, s3
	s_mul_hi_u32 s4, s7, s2
	s_mul_i32 s2, s7, s2
	s_add_i32 s3, s4, s3
	s_lshl_b64 s[2:3], s[2:3], 3
	s_add_u32 s7, s10, s2
	s_addc_u32 s9, s11, s3
	s_lshl_b64 s[4:5], s[18:19], 3
	s_add_u32 s13, s7, s4
	v_mad_i64_i32 v[0:1], s[6:7], s6, v0, 0
	s_addc_u32 s9, s9, s5
	v_lshlrev_b64 v[124:125], 3, v[0:1]
	v_mov_b32_e32 v0, s9
	v_add_co_u32_e32 v122, vcc, s13, v124
	v_addc_co_u32_e32 v123, vcc, v0, v125, vcc
	s_cmpk_eq_i32 s12, 0x6f
	s_mov_b64 s[6:7], -1
	s_cbranch_scc1 .LBB108_45
; %bb.12:
	s_cmp_lt_i32 s14, 32
	s_mov_b32 s8, 0
	s_cbranch_scc1 .LBB108_19
; %bb.13:
	s_mov_b32 s7, 0
	s_mov_b32 s6, 0
	;; [unrolled: 1-line block ×3, first 2 shown]
.LBB108_14:                             ; =>This Loop Header: Depth=1
                                        ;     Child Loop BB108_16 Depth 2
	s_lshl_b64 s[12:13], s[6:7], 3
	v_mov_b32_e32 v0, s13
	v_add_co_u32_e32 v60, vcc, s12, v122
	v_addc_co_u32_e32 v61, vcc, v123, v0, vcc
	global_load_dwordx4 v[0:3], v[60:61], off
	global_load_dwordx4 v[4:7], v[60:61], off offset:16
	global_load_dwordx4 v[8:11], v[60:61], off offset:32
	;; [unrolled: 1-line block ×15, first 2 shown]
	s_cmp_eq_u32 s6, 0
	s_waitcnt vmcnt(15)
	v_mul_f64 v[0:1], v[0:1], s[0:1]
	v_mul_f64 v[2:3], v[2:3], s[0:1]
	s_waitcnt vmcnt(14)
	v_mul_f64 v[4:5], v[4:5], s[0:1]
	v_mul_f64 v[6:7], v[6:7], s[0:1]
	;; [unrolled: 3-line block ×16, first 2 shown]
	s_cbranch_scc1 .LBB108_17
; %bb.15:                               ;   in Loop: Header=BB108_14 Depth=1
	s_mov_b32 s8, 0
	v_pk_mov_b32 v[66:67], v[122:123], v[122:123] op_sel:[0,1]
	s_mov_b32 s12, s9
.LBB108_16:                             ;   Parent Loop BB108_14 Depth=1
                                        ; =>  This Inner Loop Header: Depth=2
	global_load_dwordx2 v[120:121], v[66:67], off
	v_mov_b32_e32 v134, s12
	ds_read2st64_b64 v[68:71], v134 offset1:1
	ds_read2st64_b64 v[72:75], v134 offset0:2 offset1:3
	ds_read2st64_b64 v[76:79], v134 offset0:4 offset1:5
	;; [unrolled: 1-line block ×15, first 2 shown]
	s_add_i32 s8, s8, 1
	s_add_i32 s12, s12, 8
	v_add_co_u32_e32 v66, vcc, 8, v66
	v_addc_co_u32_e32 v67, vcc, 0, v67, vcc
	s_cmp_lt_u32 s8, s6
	s_waitcnt vmcnt(0) lgkmcnt(14)
	v_fma_f64 v[0:1], -v[120:121], v[68:69], v[0:1]
	v_fma_f64 v[2:3], -v[120:121], v[70:71], v[2:3]
	;; [unrolled: 1-line block ×4, first 2 shown]
	s_waitcnt lgkmcnt(13)
	v_fma_f64 v[8:9], -v[120:121], v[76:77], v[8:9]
	v_fma_f64 v[10:11], -v[120:121], v[78:79], v[10:11]
	s_waitcnt lgkmcnt(12)
	v_fma_f64 v[12:13], -v[120:121], v[80:81], v[12:13]
	v_fma_f64 v[14:15], -v[120:121], v[82:83], v[14:15]
	;; [unrolled: 3-line block ×14, first 2 shown]
	s_cbranch_scc1 .LBB108_16
.LBB108_17:                             ;   in Loop: Header=BB108_14 Depth=1
	s_mul_i32 s8, s6, 0x208
	v_mov_b32_e32 v67, s8
	s_lshl_b32 s8, s6, 6
	s_add_i32 s8, s6, s8
	s_lshl_b32 s8, s8, 3
	ds_read2_b64 v[68:71], v67 offset1:130
	v_mov_b32_e32 v66, s8
	ds_read_b128 v[72:75], v66 offset:512
	ds_read_b128 v[76:79], v66 offset:1024
	s_or_b32 s8, s6, 16
	s_waitcnt lgkmcnt(2)
	v_mul_f64 v[0:1], v[68:69], v[0:1]
	s_lshl_b32 s12, s8, 6
	s_waitcnt lgkmcnt(1)
	v_fma_f64 v[2:3], -v[0:1], v[72:73], v[2:3]
	v_mul_f64 v[2:3], v[74:75], v[2:3]
	ds_read_b128 v[72:75], v66 offset:1536
	s_waitcnt lgkmcnt(1)
	v_fma_f64 v[4:5], -v[0:1], v[76:77], v[4:5]
	v_fma_f64 v[4:5], -v[2:3], v[78:79], v[4:5]
	ds_read_b128 v[76:79], v66 offset:1552
	v_mul_f64 v[4:5], v[70:71], v[4:5]
	ds_read_b128 v[68:71], v66 offset:2048
	s_waitcnt lgkmcnt(2)
	v_fma_f64 v[6:7], -v[0:1], v[72:73], v[6:7]
	v_fma_f64 v[6:7], -v[2:3], v[74:75], v[6:7]
	ds_read_b128 v[72:75], v66 offset:2064
	s_waitcnt lgkmcnt(2)
	v_fma_f64 v[6:7], -v[4:5], v[76:77], v[6:7]
	v_mul_f64 v[6:7], v[78:79], v[6:7]
	global_store_dwordx4 v[60:61], v[0:3], off
	global_store_dwordx4 v[60:61], v[4:7], off offset:16
	s_waitcnt lgkmcnt(1)
	v_fma_f64 v[8:9], -v[0:1], v[68:69], v[8:9]
	v_add_u32_e32 v68, 0x800, v67
	v_fma_f64 v[8:9], -v[2:3], v[70:71], v[8:9]
	ds_read2_b64 v[68:71], v68 offset0:4 offset1:134
	ds_read_b128 v[76:79], v66 offset:2560
	s_waitcnt lgkmcnt(2)
	v_fma_f64 v[8:9], -v[4:5], v[72:73], v[8:9]
	v_fma_f64 v[8:9], -v[6:7], v[74:75], v[8:9]
	ds_read_b128 v[72:75], v66 offset:2576
	ds_read_b128 v[80:83], v66 offset:2592
	s_waitcnt lgkmcnt(2)
	v_fma_f64 v[10:11], -v[0:1], v[76:77], v[10:11]
	v_fma_f64 v[10:11], -v[2:3], v[78:79], v[10:11]
	v_mul_f64 v[8:9], v[68:69], v[8:9]
	s_waitcnt lgkmcnt(1)
	v_fma_f64 v[10:11], -v[4:5], v[72:73], v[10:11]
	v_fma_f64 v[10:11], -v[6:7], v[74:75], v[10:11]
	ds_read_b128 v[72:75], v66 offset:3072
	ds_read_b128 v[76:79], v66 offset:3088
	s_waitcnt lgkmcnt(2)
	v_fma_f64 v[10:11], -v[8:9], v[80:81], v[10:11]
	v_mul_f64 v[10:11], v[82:83], v[10:11]
	ds_read_b128 v[80:83], v66 offset:3104
	s_waitcnt lgkmcnt(2)
	v_fma_f64 v[12:13], -v[0:1], v[72:73], v[12:13]
	v_fma_f64 v[12:13], -v[2:3], v[74:75], v[12:13]
	ds_read_b128 v[72:75], v66 offset:3584
	s_waitcnt lgkmcnt(2)
	v_fma_f64 v[12:13], -v[4:5], v[76:77], v[12:13]
	v_fma_f64 v[12:13], -v[6:7], v[78:79], v[12:13]
	ds_read_b128 v[76:79], v66 offset:3600
	s_waitcnt lgkmcnt(2)
	v_fma_f64 v[12:13], -v[8:9], v[80:81], v[12:13]
	global_store_dwordx4 v[60:61], v[8:11], off offset:32
	v_fma_f64 v[12:13], -v[10:11], v[82:83], v[12:13]
	s_waitcnt lgkmcnt(1)
	v_fma_f64 v[14:15], -v[0:1], v[72:73], v[14:15]
	v_add_u32_e32 v72, 0xc00, v66
	v_mul_f64 v[12:13], v[70:71], v[12:13]
	v_fma_f64 v[14:15], -v[2:3], v[74:75], v[14:15]
	ds_read_b128 v[68:71], v66 offset:3616
	ds_read2_b64 v[72:75], v72 offset0:70 offset1:200
	s_waitcnt lgkmcnt(2)
	v_fma_f64 v[14:15], -v[4:5], v[76:77], v[14:15]
	v_add_u32_e32 v76, 0xc00, v67
	v_fma_f64 v[14:15], -v[6:7], v[78:79], v[14:15]
	ds_read2_b64 v[76:79], v76 offset0:71 offset1:136
	ds_read_b128 v[80:83], v66 offset:4096
	s_waitcnt lgkmcnt(3)
	v_fma_f64 v[14:15], -v[8:9], v[68:69], v[14:15]
	v_fma_f64 v[14:15], -v[10:11], v[70:71], v[14:15]
	ds_read_b128 v[68:71], v66 offset:4112
	ds_read_b128 v[84:87], v66 offset:4128
	s_waitcnt lgkmcnt(2)
	v_fma_f64 v[16:17], -v[0:1], v[80:81], v[16:17]
	v_fma_f64 v[16:17], -v[2:3], v[82:83], v[16:17]
	ds_read_b128 v[80:83], v66 offset:4144
	s_waitcnt lgkmcnt(2)
	v_fma_f64 v[16:17], -v[4:5], v[68:69], v[16:17]
	v_fma_f64 v[16:17], -v[6:7], v[70:71], v[16:17]
	;; [unrolled: 4-line block ×3, first 2 shown]
	v_fma_f64 v[16:17], -v[10:11], v[86:87], v[16:17]
	v_mul_f64 v[14:15], v[76:77], v[14:15]
	s_waitcnt lgkmcnt(1)
	v_fma_f64 v[16:17], -v[12:13], v[80:81], v[16:17]
	v_fma_f64 v[16:17], -v[14:15], v[82:83], v[16:17]
	ds_read_b128 v[80:83], v66 offset:4624
	v_mul_f64 v[16:17], v[78:79], v[16:17]
	ds_read_b128 v[76:79], v66 offset:4640
	s_waitcnt lgkmcnt(2)
	v_fma_f64 v[18:19], -v[0:1], v[68:69], v[18:19]
	v_fma_f64 v[18:19], -v[2:3], v[70:71], v[18:19]
	ds_read_b128 v[68:71], v66 offset:4656
	s_waitcnt lgkmcnt(2)
	v_fma_f64 v[18:19], -v[4:5], v[80:81], v[18:19]
	v_fma_f64 v[18:19], -v[6:7], v[82:83], v[18:19]
	global_store_dwordx4 v[60:61], v[12:15], off offset:48
	s_waitcnt lgkmcnt(1)
	v_fma_f64 v[18:19], -v[8:9], v[76:77], v[18:19]
	v_add_u32_e32 v72, 0x1000, v67
	v_fma_f64 v[18:19], -v[10:11], v[78:79], v[18:19]
	ds_read2_b64 v[76:79], v72 offset0:73 offset1:138
	ds_read_b128 v[80:83], v66 offset:5120
	s_waitcnt lgkmcnt(2)
	v_fma_f64 v[18:19], -v[12:13], v[68:69], v[18:19]
	v_fma_f64 v[18:19], -v[14:15], v[70:71], v[18:19]
	ds_read_b128 v[68:71], v66 offset:5136
	v_fma_f64 v[18:19], -v[16:17], v[74:75], v[18:19]
	ds_read_b128 v[72:75], v66 offset:5152
	s_waitcnt lgkmcnt(2)
	v_fma_f64 v[20:21], -v[0:1], v[80:81], v[20:21]
	v_fma_f64 v[20:21], -v[2:3], v[82:83], v[20:21]
	ds_read_b128 v[80:83], v66 offset:5168
	s_waitcnt lgkmcnt(2)
	v_fma_f64 v[20:21], -v[4:5], v[68:69], v[20:21]
	;; [unrolled: 4-line block ×3, first 2 shown]
	v_fma_f64 v[20:21], -v[10:11], v[74:75], v[20:21]
	s_waitcnt lgkmcnt(1)
	v_fma_f64 v[20:21], -v[12:13], v[80:81], v[20:21]
	v_fma_f64 v[20:21], -v[14:15], v[82:83], v[20:21]
	ds_read_b128 v[72:75], v66 offset:5632
	v_mul_f64 v[18:19], v[76:77], v[18:19]
	s_waitcnt lgkmcnt(1)
	v_fma_f64 v[20:21], -v[16:17], v[68:69], v[20:21]
	v_fma_f64 v[20:21], -v[18:19], v[70:71], v[20:21]
	ds_read_b128 v[68:71], v66 offset:5648
	v_mul_f64 v[20:21], v[78:79], v[20:21]
	ds_read_b128 v[76:79], v66 offset:5664
	s_waitcnt lgkmcnt(2)
	v_fma_f64 v[22:23], -v[0:1], v[72:73], v[22:23]
	v_fma_f64 v[22:23], -v[2:3], v[74:75], v[22:23]
	ds_read_b128 v[72:75], v66 offset:5680
	s_waitcnt lgkmcnt(2)
	v_fma_f64 v[22:23], -v[4:5], v[68:69], v[22:23]
	v_fma_f64 v[22:23], -v[6:7], v[70:71], v[22:23]
	s_waitcnt lgkmcnt(1)
	v_fma_f64 v[22:23], -v[8:9], v[76:77], v[22:23]
	v_fma_f64 v[22:23], -v[10:11], v[78:79], v[22:23]
	global_store_dwordx4 v[60:61], v[16:19], off offset:64
	s_waitcnt lgkmcnt(0)
	v_fma_f64 v[22:23], -v[12:13], v[72:73], v[22:23]
	v_add_u32_e32 v72, 0x1400, v66
	v_fma_f64 v[22:23], -v[14:15], v[74:75], v[22:23]
	ds_read_b128 v[68:71], v66 offset:5696
	ds_read2_b64 v[72:75], v72 offset0:74 offset1:204
	v_add_u32_e32 v76, 0x1400, v67
	ds_read2_b64 v[76:79], v76 offset0:75 offset1:140
	ds_read_b128 v[80:83], v66 offset:6144
	ds_read_b128 v[84:87], v66 offset:6176
	s_waitcnt lgkmcnt(4)
	v_fma_f64 v[22:23], -v[16:17], v[68:69], v[22:23]
	v_fma_f64 v[22:23], -v[18:19], v[70:71], v[22:23]
	ds_read_b128 v[68:71], v66 offset:6160
	s_waitcnt lgkmcnt(2)
	v_fma_f64 v[24:25], -v[0:1], v[80:81], v[24:25]
	v_fma_f64 v[24:25], -v[2:3], v[82:83], v[24:25]
	ds_read_b128 v[80:83], v66 offset:6192
	v_fma_f64 v[22:23], -v[20:21], v[72:73], v[22:23]
	s_waitcnt lgkmcnt(1)
	v_fma_f64 v[24:25], -v[4:5], v[68:69], v[24:25]
	v_fma_f64 v[24:25], -v[6:7], v[70:71], v[24:25]
	ds_read_b128 v[68:71], v66 offset:6208
	v_fma_f64 v[24:25], -v[8:9], v[84:85], v[24:25]
	v_fma_f64 v[24:25], -v[10:11], v[86:87], v[24:25]
	s_waitcnt lgkmcnt(1)
	v_fma_f64 v[24:25], -v[12:13], v[80:81], v[24:25]
	v_fma_f64 v[24:25], -v[14:15], v[82:83], v[24:25]
	s_waitcnt lgkmcnt(0)
	v_fma_f64 v[24:25], -v[16:17], v[68:69], v[24:25]
	ds_read_b128 v[84:87], v66 offset:6224
	v_fma_f64 v[24:25], -v[18:19], v[70:71], v[24:25]
	ds_read_b128 v[68:71], v66 offset:6656
	ds_read_b128 v[80:83], v66 offset:6672
	v_mul_f64 v[22:23], v[76:77], v[22:23]
	s_waitcnt lgkmcnt(2)
	v_fma_f64 v[24:25], -v[20:21], v[84:85], v[24:25]
	v_fma_f64 v[24:25], -v[22:23], v[86:87], v[24:25]
	s_waitcnt lgkmcnt(1)
	v_fma_f64 v[26:27], -v[0:1], v[68:69], v[26:27]
	v_fma_f64 v[26:27], -v[2:3], v[70:71], v[26:27]
	ds_read_b128 v[68:71], v66 offset:6688
	v_mul_f64 v[24:25], v[78:79], v[24:25]
	ds_read_b128 v[76:79], v66 offset:6704
	s_waitcnt lgkmcnt(2)
	v_fma_f64 v[26:27], -v[4:5], v[80:81], v[26:27]
	v_fma_f64 v[26:27], -v[6:7], v[82:83], v[26:27]
	ds_read_b128 v[80:83], v66 offset:6720
	s_waitcnt lgkmcnt(2)
	v_fma_f64 v[26:27], -v[8:9], v[68:69], v[26:27]
	v_fma_f64 v[26:27], -v[10:11], v[70:71], v[26:27]
	;; [unrolled: 4-line block ×3, first 2 shown]
	global_store_dwordx4 v[60:61], v[20:23], off offset:80
	s_waitcnt lgkmcnt(1)
	v_fma_f64 v[26:27], -v[16:17], v[80:81], v[26:27]
	v_add_u32_e32 v67, 0x1800, v67
	v_fma_f64 v[26:27], -v[18:19], v[82:83], v[26:27]
	ds_read2_b64 v[76:79], v67 offset0:77 offset1:142
	ds_read_b128 v[80:83], v66 offset:7168
	s_waitcnt lgkmcnt(2)
	v_fma_f64 v[26:27], -v[20:21], v[68:69], v[26:27]
	v_fma_f64 v[26:27], -v[22:23], v[70:71], v[26:27]
	ds_read_b128 v[68:71], v66 offset:7184
	v_fma_f64 v[26:27], -v[24:25], v[74:75], v[26:27]
	ds_read_b128 v[72:75], v66 offset:7200
	s_waitcnt lgkmcnt(2)
	v_fma_f64 v[28:29], -v[0:1], v[80:81], v[28:29]
	v_fma_f64 v[28:29], -v[2:3], v[82:83], v[28:29]
	ds_read_b128 v[80:83], v66 offset:7216
	s_waitcnt lgkmcnt(2)
	v_fma_f64 v[28:29], -v[4:5], v[68:69], v[28:29]
	;; [unrolled: 4-line block ×5, first 2 shown]
	v_fma_f64 v[28:29], -v[18:19], v[70:71], v[28:29]
	s_waitcnt lgkmcnt(1)
	v_fma_f64 v[28:29], -v[20:21], v[72:73], v[28:29]
	ds_read_b128 v[68:71], v66 offset:7680
	v_fma_f64 v[28:29], -v[22:23], v[74:75], v[28:29]
	ds_read_b128 v[72:75], v66 offset:7696
	v_mul_f64 v[26:27], v[76:77], v[26:27]
	s_waitcnt lgkmcnt(2)
	v_fma_f64 v[28:29], -v[24:25], v[80:81], v[28:29]
	v_fma_f64 v[28:29], -v[26:27], v[82:83], v[28:29]
	v_mul_f64 v[28:29], v[78:79], v[28:29]
	ds_read_b128 v[76:79], v66 offset:7712
	s_waitcnt lgkmcnt(2)
	v_fma_f64 v[30:31], -v[0:1], v[68:69], v[30:31]
	v_fma_f64 v[30:31], -v[2:3], v[70:71], v[30:31]
	ds_read_b128 v[68:71], v66 offset:7728
	s_waitcnt lgkmcnt(2)
	v_fma_f64 v[30:31], -v[4:5], v[72:73], v[30:31]
	v_fma_f64 v[30:31], -v[6:7], v[74:75], v[30:31]
	s_waitcnt lgkmcnt(1)
	v_fma_f64 v[30:31], -v[8:9], v[76:77], v[30:31]
	ds_read_b128 v[72:75], v66 offset:7744
	v_fma_f64 v[30:31], -v[10:11], v[78:79], v[30:31]
	s_waitcnt lgkmcnt(1)
	v_fma_f64 v[30:31], -v[12:13], v[68:69], v[30:31]
	v_fma_f64 v[30:31], -v[14:15], v[70:71], v[30:31]
	ds_read_b128 v[68:71], v66 offset:7760
	ds_read_b128 v[76:79], v66 offset:7776
	s_waitcnt lgkmcnt(2)
	v_fma_f64 v[30:31], -v[16:17], v[72:73], v[30:31]
	v_fma_f64 v[30:31], -v[18:19], v[74:75], v[30:31]
	ds_read_b128 v[72:75], v66 offset:7792
	s_waitcnt lgkmcnt(2)
	v_fma_f64 v[30:31], -v[20:21], v[68:69], v[30:31]
	s_add_i32 s12, s12, s6
	v_fma_f64 v[30:31], -v[22:23], v[70:71], v[30:31]
	s_lshl_b32 s12, s12, 3
	s_waitcnt lgkmcnt(1)
	v_fma_f64 v[30:31], -v[24:25], v[76:77], v[30:31]
	v_mov_b32_e32 v67, s12
	v_fma_f64 v[30:31], -v[26:27], v[78:79], v[30:31]
	ds_read_b128 v[68:71], v67
	s_waitcnt lgkmcnt(1)
	v_fma_f64 v[30:31], -v[28:29], v[72:73], v[30:31]
	v_mul_f64 v[30:31], v[74:75], v[30:31]
	global_store_dwordx4 v[60:61], v[24:27], off offset:96
	global_store_dwordx4 v[60:61], v[28:31], off offset:112
	ds_read_b128 v[72:75], v67 offset:16
	ds_read_b128 v[76:79], v67 offset:32
	;; [unrolled: 1-line block ×3, first 2 shown]
	s_waitcnt lgkmcnt(3)
	v_fma_f64 v[32:33], -v[0:1], v[68:69], v[32:33]
	v_fma_f64 v[32:33], -v[2:3], v[70:71], v[32:33]
	s_waitcnt lgkmcnt(2)
	v_fma_f64 v[32:33], -v[4:5], v[72:73], v[32:33]
	v_fma_f64 v[32:33], -v[6:7], v[74:75], v[32:33]
	ds_read_b128 v[68:71], v67 offset:64
	ds_read_b128 v[72:75], v67 offset:80
	s_waitcnt lgkmcnt(3)
	v_fma_f64 v[32:33], -v[8:9], v[76:77], v[32:33]
	v_fma_f64 v[32:33], -v[10:11], v[78:79], v[32:33]
	s_waitcnt lgkmcnt(2)
	v_fma_f64 v[32:33], -v[12:13], v[80:81], v[32:33]
	v_fma_f64 v[32:33], -v[14:15], v[82:83], v[32:33]
	ds_read_b128 v[76:79], v67 offset:96
	s_waitcnt lgkmcnt(2)
	v_fma_f64 v[32:33], -v[16:17], v[68:69], v[32:33]
	v_fma_f64 v[32:33], -v[18:19], v[70:71], v[32:33]
	ds_read_b128 v[68:71], v67 offset:112
	s_mulk_i32 s8, 0x208
	s_waitcnt lgkmcnt(2)
	v_fma_f64 v[32:33], -v[20:21], v[72:73], v[32:33]
	v_mov_b32_e32 v67, s8
	s_or_b32 s8, s6, 18
	v_fma_f64 v[32:33], -v[22:23], v[74:75], v[32:33]
	s_lshl_b32 s12, s8, 6
	s_waitcnt lgkmcnt(1)
	v_fma_f64 v[32:33], -v[24:25], v[76:77], v[32:33]
	s_add_i32 s12, s12, s6
	v_fma_f64 v[32:33], -v[26:27], v[78:79], v[32:33]
	s_lshl_b32 s12, s12, 3
	s_waitcnt lgkmcnt(0)
	v_fma_f64 v[32:33], -v[28:29], v[68:69], v[32:33]
	ds_read_b64 v[76:77], v67
	v_mov_b32_e32 v67, s12
	v_fma_f64 v[32:33], -v[30:31], v[70:71], v[32:33]
	ds_read_b128 v[68:71], v67
	ds_read_b128 v[72:75], v66 offset:8704
	s_mulk_i32 s8, 0x208
	s_waitcnt lgkmcnt(2)
	v_mul_f64 v[32:33], v[76:77], v[32:33]
	ds_read_b128 v[76:79], v66 offset:8720
	ds_read_b128 v[80:83], v66 offset:8736
	ds_read_b128 v[84:87], v66 offset:8752
	s_waitcnt lgkmcnt(4)
	v_fma_f64 v[36:37], -v[0:1], v[68:69], v[36:37]
	s_waitcnt lgkmcnt(3)
	v_fma_f64 v[34:35], -v[0:1], v[72:73], v[34:35]
	v_fma_f64 v[34:35], -v[2:3], v[74:75], v[34:35]
	s_waitcnt lgkmcnt(2)
	v_fma_f64 v[34:35], -v[4:5], v[76:77], v[34:35]
	v_fma_f64 v[34:35], -v[6:7], v[78:79], v[34:35]
	ds_read_b128 v[72:75], v66 offset:8768
	ds_read_b128 v[76:79], v66 offset:8784
	s_waitcnt lgkmcnt(3)
	v_fma_f64 v[34:35], -v[8:9], v[80:81], v[34:35]
	v_fma_f64 v[34:35], -v[10:11], v[82:83], v[34:35]
	s_waitcnt lgkmcnt(2)
	v_fma_f64 v[34:35], -v[12:13], v[84:85], v[34:35]
	v_fma_f64 v[34:35], -v[14:15], v[86:87], v[34:35]
	ds_read_b128 v[80:83], v66 offset:8800
	s_waitcnt lgkmcnt(2)
	v_fma_f64 v[34:35], -v[16:17], v[72:73], v[34:35]
	v_fma_f64 v[34:35], -v[18:19], v[74:75], v[34:35]
	ds_read_b128 v[72:75], v66 offset:8816
	;; [unrolled: 4-line block ×3, first 2 shown]
	s_waitcnt lgkmcnt(2)
	v_fma_f64 v[34:35], -v[24:25], v[80:81], v[34:35]
	v_fma_f64 v[34:35], -v[26:27], v[82:83], v[34:35]
	s_waitcnt lgkmcnt(1)
	v_fma_f64 v[34:35], -v[28:29], v[72:73], v[34:35]
	v_fma_f64 v[34:35], -v[30:31], v[74:75], v[34:35]
	ds_read_b128 v[72:75], v66 offset:9728
	s_waitcnt lgkmcnt(1)
	v_fma_f64 v[34:35], -v[32:33], v[76:77], v[34:35]
	v_mul_f64 v[34:35], v[78:79], v[34:35]
	ds_read_b128 v[76:79], v67 offset:16
	ds_read_b128 v[80:83], v67 offset:32
	v_fma_f64 v[36:37], -v[2:3], v[70:71], v[36:37]
	ds_read_b128 v[68:71], v67 offset:48
	global_store_dwordx4 v[60:61], v[32:35], off offset:128
	s_waitcnt lgkmcnt(2)
	v_fma_f64 v[36:37], -v[4:5], v[76:77], v[36:37]
	v_fma_f64 v[36:37], -v[6:7], v[78:79], v[36:37]
	ds_read_b128 v[76:79], v67 offset:64
	s_waitcnt lgkmcnt(2)
	v_fma_f64 v[36:37], -v[8:9], v[80:81], v[36:37]
	v_fma_f64 v[36:37], -v[10:11], v[82:83], v[36:37]
	ds_read_b128 v[80:83], v67 offset:80
	;; [unrolled: 4-line block ×5, first 2 shown]
	s_waitcnt lgkmcnt(2)
	v_fma_f64 v[36:37], -v[24:25], v[68:69], v[36:37]
	v_fma_f64 v[36:37], -v[26:27], v[70:71], v[36:37]
	s_waitcnt lgkmcnt(1)
	v_fma_f64 v[36:37], -v[28:29], v[76:77], v[36:37]
	v_mov_b32_e32 v67, s8
	s_or_b32 s8, s6, 20
	v_fma_f64 v[36:37], -v[30:31], v[78:79], v[36:37]
	s_lshl_b32 s12, s8, 6
	s_waitcnt lgkmcnt(0)
	v_fma_f64 v[36:37], -v[32:33], v[80:81], v[36:37]
	s_add_i32 s12, s12, s6
	ds_read_b64 v[80:81], v67
	s_lshl_b32 s12, s12, 3
	v_mov_b32_e32 v67, s12
	ds_read_b128 v[68:71], v67
	ds_read_b128 v[76:79], v66 offset:9744
	v_fma_f64 v[36:37], -v[34:35], v[82:83], v[36:37]
	s_waitcnt lgkmcnt(2)
	v_mul_f64 v[36:37], v[80:81], v[36:37]
	ds_read_b128 v[80:83], v66 offset:9760
	v_fma_f64 v[38:39], -v[0:1], v[72:73], v[38:39]
	v_fma_f64 v[38:39], -v[2:3], v[74:75], v[38:39]
	ds_read_b128 v[72:75], v66 offset:9776
	s_waitcnt lgkmcnt(2)
	v_fma_f64 v[38:39], -v[4:5], v[76:77], v[38:39]
	v_fma_f64 v[38:39], -v[6:7], v[78:79], v[38:39]
	ds_read_b128 v[76:79], v66 offset:9792
	s_waitcnt lgkmcnt(2)
	;; [unrolled: 4-line block ×7, first 2 shown]
	v_fma_f64 v[38:39], -v[28:29], v[76:77], v[38:39]
	v_fma_f64 v[38:39], -v[30:31], v[78:79], v[38:39]
	s_waitcnt lgkmcnt(1)
	v_fma_f64 v[38:39], -v[32:33], v[80:81], v[38:39]
	v_fma_f64 v[38:39], -v[34:35], v[82:83], v[38:39]
	s_waitcnt lgkmcnt(0)
	v_fma_f64 v[38:39], -v[36:37], v[72:73], v[38:39]
	v_mul_f64 v[38:39], v[74:75], v[38:39]
	ds_read_b128 v[72:75], v67 offset:16
	ds_read_b128 v[80:83], v67 offset:32
	v_fma_f64 v[40:41], -v[0:1], v[68:69], v[40:41]
	v_fma_f64 v[40:41], -v[2:3], v[70:71], v[40:41]
	ds_read_b128 v[68:71], v67 offset:48
	s_waitcnt lgkmcnt(2)
	v_fma_f64 v[40:41], -v[4:5], v[72:73], v[40:41]
	v_fma_f64 v[40:41], -v[6:7], v[74:75], v[40:41]
	ds_read_b128 v[72:75], v67 offset:64
	s_waitcnt lgkmcnt(2)
	;; [unrolled: 4-line block ×7, first 2 shown]
	v_fma_f64 v[40:41], -v[28:29], v[72:73], v[40:41]
	s_mulk_i32 s8, 0x208
	v_fma_f64 v[40:41], -v[30:31], v[74:75], v[40:41]
	v_mov_b32_e32 v67, s8
	s_waitcnt lgkmcnt(1)
	v_fma_f64 v[40:41], -v[32:33], v[80:81], v[40:41]
	ds_read_b64 v[72:73], v67
	ds_read_b128 v[76:79], v66 offset:10752
	v_fma_f64 v[40:41], -v[34:35], v[82:83], v[40:41]
	s_waitcnt lgkmcnt(2)
	v_fma_f64 v[40:41], -v[36:37], v[68:69], v[40:41]
	v_fma_f64 v[40:41], -v[38:39], v[70:71], v[40:41]
	ds_read_b128 v[68:71], v66 offset:10768
	s_waitcnt lgkmcnt(2)
	v_mul_f64 v[40:41], v[72:73], v[40:41]
	ds_read_b128 v[72:75], v66 offset:10784
	s_waitcnt lgkmcnt(2)
	v_fma_f64 v[42:43], -v[0:1], v[76:77], v[42:43]
	v_fma_f64 v[42:43], -v[2:3], v[78:79], v[42:43]
	ds_read_b128 v[76:79], v66 offset:10800
	s_waitcnt lgkmcnt(2)
	v_fma_f64 v[42:43], -v[4:5], v[68:69], v[42:43]
	v_fma_f64 v[42:43], -v[6:7], v[70:71], v[42:43]
	;; [unrolled: 4-line block ×8, first 2 shown]
	ds_read_b128 v[68:71], v66 offset:10912
	s_waitcnt lgkmcnt(2)
	v_fma_f64 v[42:43], -v[32:33], v[72:73], v[42:43]
	s_or_b32 s8, s6, 22
	v_fma_f64 v[42:43], -v[34:35], v[74:75], v[42:43]
	s_lshl_b32 s12, s8, 6
	s_waitcnt lgkmcnt(1)
	v_fma_f64 v[42:43], -v[36:37], v[76:77], v[42:43]
	s_add_i32 s12, s12, s6
	v_fma_f64 v[42:43], -v[38:39], v[78:79], v[42:43]
	s_lshl_b32 s12, s12, 3
	s_waitcnt lgkmcnt(0)
	v_fma_f64 v[42:43], -v[40:41], v[68:69], v[42:43]
	v_mov_b32_e32 v67, s12
	v_mul_f64 v[42:43], v[70:71], v[42:43]
	ds_read_b128 v[68:71], v67
	global_store_dwordx4 v[60:61], v[36:39], off offset:144
	global_store_dwordx4 v[60:61], v[40:43], off offset:160
	ds_read_b128 v[72:75], v67 offset:16
	ds_read_b128 v[76:79], v67 offset:32
	;; [unrolled: 1-line block ×3, first 2 shown]
	s_mulk_i32 s8, 0x208
	s_waitcnt lgkmcnt(3)
	v_fma_f64 v[44:45], -v[0:1], v[68:69], v[44:45]
	v_fma_f64 v[44:45], -v[2:3], v[70:71], v[44:45]
	s_waitcnt lgkmcnt(2)
	v_fma_f64 v[44:45], -v[4:5], v[72:73], v[44:45]
	v_fma_f64 v[44:45], -v[6:7], v[74:75], v[44:45]
	ds_read_b128 v[68:71], v67 offset:64
	ds_read_b128 v[72:75], v67 offset:80
	s_waitcnt lgkmcnt(3)
	v_fma_f64 v[44:45], -v[8:9], v[76:77], v[44:45]
	v_fma_f64 v[44:45], -v[10:11], v[78:79], v[44:45]
	s_waitcnt lgkmcnt(2)
	v_fma_f64 v[44:45], -v[12:13], v[80:81], v[44:45]
	v_fma_f64 v[44:45], -v[14:15], v[82:83], v[44:45]
	ds_read_b128 v[76:79], v67 offset:96
	s_waitcnt lgkmcnt(2)
	v_fma_f64 v[44:45], -v[16:17], v[68:69], v[44:45]
	v_fma_f64 v[44:45], -v[18:19], v[70:71], v[44:45]
	ds_read_b128 v[68:71], v67 offset:112
	;; [unrolled: 4-line block ×5, first 2 shown]
	s_waitcnt lgkmcnt(2)
	v_fma_f64 v[44:45], -v[32:33], v[72:73], v[44:45]
	v_fma_f64 v[44:45], -v[34:35], v[74:75], v[44:45]
	s_waitcnt lgkmcnt(1)
	v_fma_f64 v[44:45], -v[36:37], v[76:77], v[44:45]
	v_mov_b32_e32 v67, s8
	v_fma_f64 v[44:45], -v[38:39], v[78:79], v[44:45]
	ds_read_b64 v[72:73], v67
	s_waitcnt lgkmcnt(1)
	v_fma_f64 v[44:45], -v[40:41], v[68:69], v[44:45]
	v_fma_f64 v[44:45], -v[42:43], v[70:71], v[44:45]
	ds_read_b128 v[68:71], v66 offset:11776
	s_or_b32 s8, s6, 24
	s_waitcnt lgkmcnt(1)
	v_mul_f64 v[44:45], v[72:73], v[44:45]
	ds_read_b128 v[72:75], v66 offset:11792
	ds_read_b128 v[76:79], v66 offset:11808
	;; [unrolled: 1-line block ×3, first 2 shown]
	s_lshl_b32 s12, s8, 6
	s_waitcnt lgkmcnt(3)
	v_fma_f64 v[46:47], -v[0:1], v[68:69], v[46:47]
	v_fma_f64 v[46:47], -v[2:3], v[70:71], v[46:47]
	s_waitcnt lgkmcnt(2)
	v_fma_f64 v[46:47], -v[4:5], v[72:73], v[46:47]
	v_fma_f64 v[46:47], -v[6:7], v[74:75], v[46:47]
	ds_read_b128 v[68:71], v66 offset:11840
	ds_read_b128 v[72:75], v66 offset:11856
	s_waitcnt lgkmcnt(3)
	v_fma_f64 v[46:47], -v[8:9], v[76:77], v[46:47]
	v_fma_f64 v[46:47], -v[10:11], v[78:79], v[46:47]
	s_waitcnt lgkmcnt(2)
	v_fma_f64 v[46:47], -v[12:13], v[80:81], v[46:47]
	v_fma_f64 v[46:47], -v[14:15], v[82:83], v[46:47]
	ds_read_b128 v[76:79], v66 offset:11872
	s_waitcnt lgkmcnt(2)
	v_fma_f64 v[46:47], -v[16:17], v[68:69], v[46:47]
	v_fma_f64 v[46:47], -v[18:19], v[70:71], v[46:47]
	ds_read_b128 v[68:71], v66 offset:11888
	s_waitcnt lgkmcnt(2)
	v_fma_f64 v[46:47], -v[20:21], v[72:73], v[46:47]
	v_fma_f64 v[46:47], -v[22:23], v[74:75], v[46:47]
	s_waitcnt lgkmcnt(1)
	v_fma_f64 v[46:47], -v[24:25], v[76:77], v[46:47]
	ds_read_b128 v[72:75], v66 offset:11904
	v_fma_f64 v[46:47], -v[26:27], v[78:79], v[46:47]
	s_waitcnt lgkmcnt(1)
	v_fma_f64 v[46:47], -v[28:29], v[68:69], v[46:47]
	v_fma_f64 v[46:47], -v[30:31], v[70:71], v[46:47]
	ds_read_b128 v[68:71], v66 offset:11920
	ds_read_b128 v[76:79], v66 offset:11936
	s_waitcnt lgkmcnt(2)
	v_fma_f64 v[46:47], -v[32:33], v[72:73], v[46:47]
	v_fma_f64 v[46:47], -v[34:35], v[74:75], v[46:47]
	ds_read_b128 v[72:75], v66 offset:11952
	s_waitcnt lgkmcnt(2)
	v_fma_f64 v[46:47], -v[36:37], v[68:69], v[46:47]
	s_add_i32 s12, s12, s6
	v_fma_f64 v[46:47], -v[38:39], v[70:71], v[46:47]
	s_lshl_b32 s12, s12, 3
	s_waitcnt lgkmcnt(1)
	v_fma_f64 v[46:47], -v[40:41], v[76:77], v[46:47]
	v_mov_b32_e32 v67, s12
	v_fma_f64 v[46:47], -v[42:43], v[78:79], v[46:47]
	ds_read_b128 v[68:71], v67
	s_waitcnt lgkmcnt(1)
	v_fma_f64 v[46:47], -v[44:45], v[72:73], v[46:47]
	v_mul_f64 v[46:47], v[74:75], v[46:47]
	global_store_dwordx4 v[60:61], v[44:47], off offset:176
	ds_read_b128 v[72:75], v67 offset:16
	ds_read_b128 v[76:79], v67 offset:32
	;; [unrolled: 1-line block ×3, first 2 shown]
	s_waitcnt lgkmcnt(3)
	v_fma_f64 v[48:49], -v[0:1], v[68:69], v[48:49]
	v_fma_f64 v[48:49], -v[2:3], v[70:71], v[48:49]
	s_waitcnt lgkmcnt(2)
	v_fma_f64 v[48:49], -v[4:5], v[72:73], v[48:49]
	v_fma_f64 v[48:49], -v[6:7], v[74:75], v[48:49]
	ds_read_b128 v[68:71], v67 offset:64
	ds_read_b128 v[72:75], v67 offset:80
	s_waitcnt lgkmcnt(3)
	v_fma_f64 v[48:49], -v[8:9], v[76:77], v[48:49]
	v_fma_f64 v[48:49], -v[10:11], v[78:79], v[48:49]
	s_waitcnt lgkmcnt(2)
	v_fma_f64 v[48:49], -v[12:13], v[80:81], v[48:49]
	v_fma_f64 v[48:49], -v[14:15], v[82:83], v[48:49]
	ds_read_b128 v[76:79], v67 offset:96
	s_waitcnt lgkmcnt(2)
	v_fma_f64 v[48:49], -v[16:17], v[68:69], v[48:49]
	v_fma_f64 v[48:49], -v[18:19], v[70:71], v[48:49]
	ds_read_b128 v[68:71], v67 offset:112
	s_waitcnt lgkmcnt(2)
	v_fma_f64 v[48:49], -v[20:21], v[72:73], v[48:49]
	v_fma_f64 v[48:49], -v[22:23], v[74:75], v[48:49]
	s_waitcnt lgkmcnt(1)
	v_fma_f64 v[48:49], -v[24:25], v[76:77], v[48:49]
	ds_read_b128 v[72:75], v67 offset:128
	v_fma_f64 v[48:49], -v[26:27], v[78:79], v[48:49]
	s_waitcnt lgkmcnt(1)
	v_fma_f64 v[48:49], -v[28:29], v[68:69], v[48:49]
	v_fma_f64 v[48:49], -v[30:31], v[70:71], v[48:49]
	ds_read_b128 v[68:71], v67 offset:144
	ds_read_b128 v[76:79], v67 offset:160
	s_waitcnt lgkmcnt(2)
	v_fma_f64 v[48:49], -v[32:33], v[72:73], v[48:49]
	v_fma_f64 v[48:49], -v[34:35], v[74:75], v[48:49]
	ds_read_b128 v[72:75], v67 offset:176
	s_mulk_i32 s8, 0x208
	s_waitcnt lgkmcnt(2)
	v_fma_f64 v[48:49], -v[36:37], v[68:69], v[48:49]
	v_mov_b32_e32 v67, s8
	s_or_b32 s8, s6, 26
	v_fma_f64 v[48:49], -v[38:39], v[70:71], v[48:49]
	s_lshl_b32 s12, s8, 6
	s_waitcnt lgkmcnt(1)
	v_fma_f64 v[48:49], -v[40:41], v[76:77], v[48:49]
	s_add_i32 s12, s12, s6
	v_fma_f64 v[48:49], -v[42:43], v[78:79], v[48:49]
	s_lshl_b32 s12, s12, 3
	s_waitcnt lgkmcnt(0)
	v_fma_f64 v[48:49], -v[44:45], v[72:73], v[48:49]
	ds_read_b64 v[76:77], v67
	v_mov_b32_e32 v67, s12
	v_fma_f64 v[48:49], -v[46:47], v[74:75], v[48:49]
	ds_read_b128 v[68:71], v67
	ds_read_b128 v[72:75], v66 offset:12800
	s_mulk_i32 s8, 0x208
	s_waitcnt lgkmcnt(2)
	v_mul_f64 v[48:49], v[76:77], v[48:49]
	ds_read_b128 v[76:79], v66 offset:12816
	ds_read_b128 v[80:83], v66 offset:12832
	;; [unrolled: 1-line block ×3, first 2 shown]
	s_waitcnt lgkmcnt(4)
	v_fma_f64 v[52:53], -v[0:1], v[68:69], v[52:53]
	s_waitcnt lgkmcnt(3)
	v_fma_f64 v[50:51], -v[0:1], v[72:73], v[50:51]
	v_fma_f64 v[50:51], -v[2:3], v[74:75], v[50:51]
	s_waitcnt lgkmcnt(2)
	v_fma_f64 v[50:51], -v[4:5], v[76:77], v[50:51]
	v_fma_f64 v[50:51], -v[6:7], v[78:79], v[50:51]
	ds_read_b128 v[72:75], v66 offset:12864
	ds_read_b128 v[76:79], v66 offset:12880
	s_waitcnt lgkmcnt(3)
	v_fma_f64 v[50:51], -v[8:9], v[80:81], v[50:51]
	v_fma_f64 v[50:51], -v[10:11], v[82:83], v[50:51]
	s_waitcnt lgkmcnt(2)
	v_fma_f64 v[50:51], -v[12:13], v[84:85], v[50:51]
	v_fma_f64 v[50:51], -v[14:15], v[86:87], v[50:51]
	ds_read_b128 v[80:83], v66 offset:12896
	s_waitcnt lgkmcnt(2)
	v_fma_f64 v[50:51], -v[16:17], v[72:73], v[50:51]
	v_fma_f64 v[50:51], -v[18:19], v[74:75], v[50:51]
	ds_read_b128 v[72:75], v66 offset:12912
	;; [unrolled: 4-line block ×9, first 2 shown]
	s_waitcnt lgkmcnt(2)
	v_fma_f64 v[50:51], -v[48:49], v[80:81], v[50:51]
	v_mul_f64 v[50:51], v[82:83], v[50:51]
	ds_read_b128 v[80:83], v67 offset:32
	v_fma_f64 v[52:53], -v[2:3], v[70:71], v[52:53]
	ds_read_b128 v[68:71], v67 offset:48
	s_waitcnt lgkmcnt(2)
	v_fma_f64 v[52:53], -v[4:5], v[76:77], v[52:53]
	v_fma_f64 v[52:53], -v[6:7], v[78:79], v[52:53]
	ds_read_b128 v[76:79], v67 offset:64
	s_waitcnt lgkmcnt(2)
	v_fma_f64 v[52:53], -v[8:9], v[80:81], v[52:53]
	;; [unrolled: 4-line block ×10, first 2 shown]
	v_mov_b32_e32 v67, s8
	s_or_b32 s8, s6, 28
	v_fma_f64 v[52:53], -v[42:43], v[78:79], v[52:53]
	s_lshl_b32 s12, s8, 6
	s_waitcnt lgkmcnt(1)
	v_fma_f64 v[52:53], -v[44:45], v[80:81], v[52:53]
	s_add_i32 s12, s12, s6
	ds_read_b64 v[80:81], v67
	v_fma_f64 v[52:53], -v[46:47], v[82:83], v[52:53]
	s_lshl_b32 s12, s12, 3
	global_store_dwordx4 v[60:61], v[48:51], off offset:192
	s_waitcnt lgkmcnt(1)
	v_fma_f64 v[52:53], -v[48:49], v[68:69], v[52:53]
	v_mov_b32_e32 v67, s12
	v_fma_f64 v[52:53], -v[50:51], v[70:71], v[52:53]
	ds_read_b128 v[68:71], v67
	ds_read_b128 v[76:79], v66 offset:13840
	s_waitcnt lgkmcnt(2)
	v_mul_f64 v[52:53], v[80:81], v[52:53]
	ds_read_b128 v[80:83], v66 offset:13856
	v_fma_f64 v[54:55], -v[0:1], v[72:73], v[54:55]
	v_fma_f64 v[54:55], -v[2:3], v[74:75], v[54:55]
	ds_read_b128 v[72:75], v66 offset:13872
	s_waitcnt lgkmcnt(2)
	v_fma_f64 v[54:55], -v[4:5], v[76:77], v[54:55]
	v_fma_f64 v[54:55], -v[6:7], v[78:79], v[54:55]
	ds_read_b128 v[76:79], v66 offset:13888
	s_waitcnt lgkmcnt(2)
	;; [unrolled: 4-line block ×11, first 2 shown]
	v_fma_f64 v[54:55], -v[44:45], v[80:81], v[54:55]
	v_fma_f64 v[54:55], -v[46:47], v[82:83], v[54:55]
	s_waitcnt lgkmcnt(1)
	v_fma_f64 v[54:55], -v[48:49], v[72:73], v[54:55]
	v_fma_f64 v[54:55], -v[50:51], v[74:75], v[54:55]
	s_waitcnt lgkmcnt(0)
	v_fma_f64 v[54:55], -v[52:53], v[76:77], v[54:55]
	v_mul_f64 v[54:55], v[78:79], v[54:55]
	ds_read_b128 v[76:79], v67 offset:16
	ds_read_b128 v[80:83], v67 offset:32
	v_fma_f64 v[56:57], -v[0:1], v[68:69], v[56:57]
	v_fma_f64 v[56:57], -v[2:3], v[70:71], v[56:57]
	ds_read_b128 v[68:71], v67 offset:48
	s_waitcnt lgkmcnt(2)
	v_fma_f64 v[56:57], -v[4:5], v[76:77], v[56:57]
	v_fma_f64 v[56:57], -v[6:7], v[78:79], v[56:57]
	ds_read_b128 v[76:79], v67 offset:64
	s_waitcnt lgkmcnt(2)
	;; [unrolled: 4-line block ×11, first 2 shown]
	v_fma_f64 v[56:57], -v[44:45], v[80:81], v[56:57]
	ds_read_b128 v[72:75], v66 offset:14848
	v_fma_f64 v[56:57], -v[46:47], v[82:83], v[56:57]
	s_waitcnt lgkmcnt(2)
	v_fma_f64 v[56:57], -v[48:49], v[68:69], v[56:57]
	v_fma_f64 v[56:57], -v[50:51], v[70:71], v[56:57]
	ds_read_b128 v[68:71], v66 offset:14864
	s_waitcnt lgkmcnt(2)
	v_fma_f64 v[56:57], -v[52:53], v[76:77], v[56:57]
	v_fma_f64 v[56:57], -v[54:55], v[78:79], v[56:57]
	ds_read_b128 v[76:79], v66 offset:14880
	;; [unrolled: 4-line block ×11, first 2 shown]
	s_waitcnt lgkmcnt(2)
	v_fma_f64 v[58:59], -v[36:37], v[72:73], v[58:59]
	v_fma_f64 v[58:59], -v[38:39], v[74:75], v[58:59]
	s_waitcnt lgkmcnt(1)
	v_fma_f64 v[58:59], -v[40:41], v[68:69], v[58:59]
	v_fma_f64 v[58:59], -v[42:43], v[70:71], v[58:59]
	ds_read_b128 v[68:71], v66 offset:15040
	ds_read_b128 v[72:75], v66 offset:15056
	s_mulk_i32 s8, 0x208
	v_mov_b32_e32 v67, s8
	ds_read_b64 v[80:81], v67
	s_waitcnt lgkmcnt(3)
	v_fma_f64 v[58:59], -v[44:45], v[76:77], v[58:59]
	s_or_b32 s8, s6, 30
	v_fma_f64 v[58:59], -v[46:47], v[78:79], v[58:59]
	ds_read_b128 v[76:79], v66 offset:15072
	s_lshl_b32 s12, s8, 6
	s_waitcnt lgkmcnt(3)
	v_fma_f64 v[58:59], -v[48:49], v[68:69], v[58:59]
	s_add_i32 s12, s12, s6
	v_fma_f64 v[58:59], -v[50:51], v[70:71], v[58:59]
	s_lshl_b32 s12, s12, 3
	s_waitcnt lgkmcnt(2)
	v_fma_f64 v[58:59], -v[52:53], v[72:73], v[58:59]
	v_mov_b32_e32 v67, s12
	s_waitcnt lgkmcnt(1)
	v_mul_f64 v[56:57], v[80:81], v[56:57]
	v_fma_f64 v[58:59], -v[54:55], v[74:75], v[58:59]
	ds_read_b128 v[68:71], v67
	s_waitcnt lgkmcnt(1)
	v_fma_f64 v[58:59], -v[56:57], v[76:77], v[58:59]
	v_mul_f64 v[58:59], v[78:79], v[58:59]
	global_store_dwordx4 v[60:61], v[52:55], off offset:208
	global_store_dwordx4 v[60:61], v[56:59], off offset:224
	ds_read_b128 v[72:75], v67 offset:16
	ds_read_b128 v[76:79], v67 offset:32
	;; [unrolled: 1-line block ×3, first 2 shown]
	s_waitcnt lgkmcnt(3)
	v_fma_f64 v[64:65], -v[0:1], v[68:69], v[64:65]
	v_fma_f64 v[64:65], -v[2:3], v[70:71], v[64:65]
	s_waitcnt lgkmcnt(2)
	v_fma_f64 v[64:65], -v[4:5], v[72:73], v[64:65]
	v_fma_f64 v[64:65], -v[6:7], v[74:75], v[64:65]
	ds_read_b128 v[68:71], v67 offset:64
	ds_read_b128 v[72:75], v67 offset:80
	s_waitcnt lgkmcnt(3)
	v_fma_f64 v[64:65], -v[8:9], v[76:77], v[64:65]
	v_fma_f64 v[64:65], -v[10:11], v[78:79], v[64:65]
	s_waitcnt lgkmcnt(2)
	v_fma_f64 v[64:65], -v[12:13], v[80:81], v[64:65]
	v_fma_f64 v[64:65], -v[14:15], v[82:83], v[64:65]
	ds_read_b128 v[76:79], v67 offset:96
	s_waitcnt lgkmcnt(2)
	v_fma_f64 v[64:65], -v[16:17], v[68:69], v[64:65]
	v_fma_f64 v[64:65], -v[18:19], v[70:71], v[64:65]
	ds_read_b128 v[68:71], v67 offset:112
	;; [unrolled: 4-line block ×8, first 2 shown]
	s_waitcnt lgkmcnt(2)
	v_fma_f64 v[64:65], -v[44:45], v[72:73], v[64:65]
	v_fma_f64 v[64:65], -v[46:47], v[74:75], v[64:65]
	s_waitcnt lgkmcnt(1)
	v_fma_f64 v[64:65], -v[48:49], v[76:77], v[64:65]
	ds_read_b128 v[72:75], v67 offset:224
	s_mulk_i32 s8, 0x208
	v_fma_f64 v[64:65], -v[50:51], v[78:79], v[64:65]
	v_mov_b32_e32 v67, s8
	s_waitcnt lgkmcnt(1)
	v_fma_f64 v[64:65], -v[52:53], v[68:69], v[64:65]
	ds_read_b64 v[76:77], v67
	v_fma_f64 v[64:65], -v[54:55], v[70:71], v[64:65]
	ds_read_b128 v[68:71], v66 offset:15872
	s_waitcnt lgkmcnt(2)
	v_fma_f64 v[64:65], -v[56:57], v[72:73], v[64:65]
	v_fma_f64 v[64:65], -v[58:59], v[74:75], v[64:65]
	s_waitcnt lgkmcnt(1)
	v_mul_f64 v[64:65], v[76:77], v[64:65]
	ds_read_b128 v[72:75], v66 offset:15888
	ds_read_b128 v[76:79], v66 offset:15904
	;; [unrolled: 1-line block ×3, first 2 shown]
	s_waitcnt lgkmcnt(3)
	v_fma_f64 v[0:1], -v[0:1], v[68:69], v[62:63]
	v_fma_f64 v[0:1], -v[2:3], v[70:71], v[0:1]
	s_waitcnt lgkmcnt(2)
	v_fma_f64 v[0:1], -v[4:5], v[72:73], v[0:1]
	v_fma_f64 v[0:1], -v[6:7], v[74:75], v[0:1]
	s_waitcnt lgkmcnt(1)
	v_fma_f64 v[4:5], -v[8:9], v[76:77], v[0:1]
	ds_read_b128 v[0:3], v66 offset:15936
	v_fma_f64 v[4:5], -v[10:11], v[78:79], v[4:5]
	s_waitcnt lgkmcnt(1)
	v_fma_f64 v[8:9], -v[12:13], v[80:81], v[4:5]
	ds_read_b128 v[4:7], v66 offset:15952
	;; [unrolled: 4-line block ×9, first 2 shown]
	v_fma_f64 v[0:1], -v[42:43], v[2:3], v[0:1]
	s_waitcnt lgkmcnt(1)
	v_fma_f64 v[0:1], -v[44:45], v[4:5], v[0:1]
	v_fma_f64 v[4:5], -v[46:47], v[6:7], v[0:1]
	ds_read_b128 v[0:3], v66 offset:16080
	s_waitcnt lgkmcnt(1)
	v_fma_f64 v[8:9], -v[48:49], v[8:9], v[4:5]
	ds_read_b128 v[4:7], v66 offset:16096
	v_fma_f64 v[12:13], -v[50:51], v[10:11], v[8:9]
	ds_read_b128 v[8:11], v66 offset:16112
	s_waitcnt lgkmcnt(2)
	v_fma_f64 v[0:1], -v[52:53], v[0:1], v[12:13]
	v_fma_f64 v[0:1], -v[54:55], v[2:3], v[0:1]
	s_waitcnt lgkmcnt(1)
	v_fma_f64 v[0:1], -v[56:57], v[4:5], v[0:1]
	v_fma_f64 v[0:1], -v[58:59], v[6:7], v[0:1]
	s_waitcnt lgkmcnt(0)
	v_fma_f64 v[0:1], -v[64:65], v[8:9], v[0:1]
	s_add_i32 s8, s6, 32
	s_add_i32 s6, s6, 63
	s_addk_i32 s9, 0x4000
	v_mul_f64 v[66:67], v[10:11], v[0:1]
	s_cmp_lt_i32 s6, s33
	global_store_dwordx4 v[60:61], v[64:67], off offset:240
	s_cbranch_scc0 .LBB108_19
; %bb.18:                               ;   in Loop: Header=BB108_14 Depth=1
	s_mov_b32 s6, s8
	s_branch .LBB108_14
.LBB108_19:
	s_cmp_lt_i32 s8, s33
	s_cbranch_scc0 .LBB108_44
; %bb.20:
	s_add_i32 s6, s8, 3
	s_cmp_ge_i32 s6, s33
	s_cbranch_scc1 .LBB108_32
; %bb.21:
	s_add_i32 s12, s8, -1
	s_lshl_b32 s13, s8, 9
	s_and_b32 s15, s8, -4
	s_add_u32 s6, s10, s4
	s_addc_u32 s7, s11, s5
	s_add_u32 s6, s6, s2
	s_addc_u32 s7, s7, s3
	v_mov_b32_e32 v0, s7
	v_add_co_u32_e32 v14, vcc, s6, v124
	v_addc_co_u32_e32 v15, vcc, v0, v125, vcc
	v_add_co_u32_e32 v0, vcc, 16, v14
	v_addc_co_u32_e32 v1, vcc, 0, v15, vcc
	s_and_b32 s17, s8, 3
	s_mov_b32 s7, 0
	s_mov_b32 s18, 0
.LBB108_22:                             ; =>This Loop Header: Depth=1
                                        ;     Child Loop BB108_25 Depth 2
                                        ;     Child Loop BB108_29 Depth 2
	s_ashr_i32 s9, s8, 31
	s_lshl_b64 s[20:21], s[8:9], 3
	v_mov_b32_e32 v3, s21
	v_add_co_u32_e32 v2, vcc, s20, v122
	v_addc_co_u32_e32 v3, vcc, v123, v3, vcc
	global_load_dwordx4 v[4:7], v[2:3], off
	global_load_dwordx4 v[16:19], v[2:3], off offset:16
	s_cmp_eq_u32 s8, 0
	s_waitcnt vmcnt(1)
	v_mul_f64 v[10:11], v[4:5], s[0:1]
	v_mul_f64 v[8:9], v[6:7], s[0:1]
	s_waitcnt vmcnt(0)
	v_mul_f64 v[6:7], v[16:17], s[0:1]
	v_mul_f64 v[4:5], v[18:19], s[0:1]
	s_cbranch_scc1 .LBB108_30
; %bb.23:                               ;   in Loop: Header=BB108_22 Depth=1
	s_lshl_b32 s6, s18, 2
	s_add_i32 s6, s12, s6
	s_cmp_lt_u32 s6, 3
	s_cbranch_scc1 .LBB108_27
; %bb.24:                               ;   in Loop: Header=BB108_22 Depth=1
	s_mov_b32 s6, 0
	v_pk_mov_b32 v[12:13], v[0:1], v[0:1] op_sel:[0,1]
	s_mov_b32 s9, s13
.LBB108_25:                             ;   Parent Loop BB108_22 Depth=1
                                        ; =>  This Inner Loop Header: Depth=2
	global_load_dwordx4 v[16:19], v[12:13], off offset:-16
	global_load_dwordx4 v[20:23], v[12:13], off
	v_mov_b32_e32 v52, s9
	ds_read_b128 v[24:27], v52
	ds_read_b128 v[28:31], v52 offset:16
	ds_read_b128 v[32:35], v52 offset:512
	;; [unrolled: 1-line block ×7, first 2 shown]
	s_add_i32 s6, s6, 4
	s_add_i32 s9, s9, 32
	v_add_co_u32_e32 v12, vcc, 32, v12
	v_addc_co_u32_e32 v13, vcc, 0, v13, vcc
	s_cmp_lg_u32 s15, s6
	s_waitcnt vmcnt(1) lgkmcnt(7)
	v_fma_f64 v[10:11], -v[16:17], v[24:25], v[10:11]
	s_waitcnt lgkmcnt(5)
	v_fma_f64 v[8:9], -v[16:17], v[32:33], v[8:9]
	s_waitcnt lgkmcnt(3)
	;; [unrolled: 2-line block ×3, first 2 shown]
	v_fma_f64 v[4:5], -v[16:17], v[48:49], v[4:5]
	v_fma_f64 v[10:11], -v[18:19], v[26:27], v[10:11]
	;; [unrolled: 1-line block ×5, first 2 shown]
	s_waitcnt vmcnt(0)
	v_fma_f64 v[10:11], -v[20:21], v[28:29], v[10:11]
	v_fma_f64 v[8:9], -v[20:21], v[36:37], v[8:9]
	;; [unrolled: 1-line block ×3, first 2 shown]
	s_waitcnt lgkmcnt(0)
	v_fma_f64 v[4:5], -v[20:21], v[52:53], v[4:5]
	v_fma_f64 v[10:11], -v[22:23], v[30:31], v[10:11]
	;; [unrolled: 1-line block ×5, first 2 shown]
	s_cbranch_scc1 .LBB108_25
; %bb.26:                               ;   in Loop: Header=BB108_22 Depth=1
	s_mov_b32 s6, s15
	s_and_b32 s9, s8, 3
	s_cmp_eq_u32 s9, 0
	s_cbranch_scc0 .LBB108_28
	s_branch .LBB108_30
.LBB108_27:                             ;   in Loop: Header=BB108_22 Depth=1
	s_mov_b32 s6, 0
	s_and_b32 s9, s8, 3
	s_cmp_eq_u32 s9, 0
	s_cbranch_scc1 .LBB108_30
.LBB108_28:                             ;   in Loop: Header=BB108_22 Depth=1
	s_lshl_b64 s[20:21], s[6:7], 3
	v_mov_b32_e32 v13, s21
	v_add_co_u32_e32 v12, vcc, s20, v14
	s_lshl_b32 s9, s6, 3
	v_addc_co_u32_e32 v13, vcc, v15, v13, vcc
	s_mov_b32 s6, s17
.LBB108_29:                             ;   Parent Loop BB108_22 Depth=1
                                        ; =>  This Inner Loop Header: Depth=2
	global_load_dwordx2 v[24:25], v[12:13], off
	s_add_i32 s19, s13, s9
	v_mov_b32_e32 v20, s19
	ds_read2st64_b64 v[16:19], v20 offset1:1
	ds_read2st64_b64 v[20:23], v20 offset0:2 offset1:3
	s_add_i32 s9, s9, 8
	v_add_co_u32_e32 v12, vcc, 8, v12
	s_add_i32 s6, s6, -1
	v_addc_co_u32_e32 v13, vcc, 0, v13, vcc
	s_cmp_lg_u32 s6, 0
	s_waitcnt vmcnt(0) lgkmcnt(1)
	v_fma_f64 v[10:11], -v[24:25], v[16:17], v[10:11]
	v_fma_f64 v[8:9], -v[24:25], v[18:19], v[8:9]
	s_waitcnt lgkmcnt(0)
	v_fma_f64 v[6:7], -v[24:25], v[20:21], v[6:7]
	v_fma_f64 v[4:5], -v[24:25], v[22:23], v[4:5]
	s_cbranch_scc1 .LBB108_29
.LBB108_30:                             ;   in Loop: Header=BB108_22 Depth=1
	s_mul_i32 s6, s8, 0x208
	v_mov_b32_e32 v12, s6
	s_lshl_b32 s6, s8, 6
	s_add_i32 s6, s6, s8
	s_lshl_b32 s6, s6, 3
	ds_read2_b64 v[16:19], v12 offset1:130
	v_mov_b32_e32 v28, s6
	ds_read2_b64 v[20:23], v28 offset0:64 offset1:65
	ds_read2_b64 v[24:27], v28 offset0:128 offset1:129
	s_add_i32 s6, s8, 4
	s_waitcnt lgkmcnt(2)
	v_mul_f64 v[10:11], v[16:17], v[10:11]
	s_add_i32 s8, s8, 7
	s_waitcnt lgkmcnt(1)
	v_fma_f64 v[8:9], -v[10:11], v[20:21], v[8:9]
	v_mul_f64 v[12:13], v[22:23], v[8:9]
	ds_read2_b64 v[20:23], v28 offset0:192 offset1:193
	s_waitcnt lgkmcnt(1)
	v_fma_f64 v[16:17], -v[10:11], v[24:25], v[6:7]
	ds_read2_b64 v[6:9], v28 offset0:194 offset1:195
	v_fma_f64 v[16:17], -v[12:13], v[26:27], v[16:17]
	v_mul_f64 v[16:17], v[18:19], v[16:17]
	s_waitcnt lgkmcnt(1)
	v_fma_f64 v[4:5], -v[10:11], v[20:21], v[4:5]
	v_fma_f64 v[4:5], -v[12:13], v[22:23], v[4:5]
	s_waitcnt lgkmcnt(0)
	v_fma_f64 v[4:5], -v[16:17], v[6:7], v[4:5]
	s_add_i32 s18, s18, 1
	s_addk_i32 s13, 0x800
	s_add_i32 s15, s15, 4
	v_mul_f64 v[18:19], v[8:9], v[4:5]
	s_cmp_lt_i32 s8, s33
	global_store_dwordx4 v[2:3], v[10:13], off
	global_store_dwordx4 v[2:3], v[16:19], off offset:16
	s_cbranch_scc0 .LBB108_33
; %bb.31:                               ;   in Loop: Header=BB108_22 Depth=1
	s_mov_b32 s8, s6
	s_branch .LBB108_22
.LBB108_32:
	s_mov_b32 s6, s8
.LBB108_33:
	s_cmp_ge_i32 s6, s33
	s_cbranch_scc1 .LBB108_44
; %bb.34:
	s_add_i32 s12, s6, -1
	s_lshl_b32 s13, s6, 9
	s_add_u32 s7, s10, s4
	s_addc_u32 s8, s11, s5
	s_add_u32 s7, s7, s2
	s_addc_u32 s8, s8, s3
	v_mov_b32_e32 v0, s8
	v_add_co_u32_e32 v8, vcc, s7, v124
	v_addc_co_u32_e32 v9, vcc, v0, v125, vcc
	v_add_co_u32_e32 v0, vcc, 56, v8
	v_addc_co_u32_e32 v1, vcc, 0, v9, vcc
	s_mov_b32 s9, 0
	s_mov_b32 s17, s6
	;; [unrolled: 1-line block ×3, first 2 shown]
	s_branch .LBB108_36
.LBB108_35:                             ;   in Loop: Header=BB108_36 Depth=1
	s_mul_i32 s7, s6, 0x208
	v_mov_b32_e32 v6, s7
	ds_read_b64 v[6:7], v6
	s_add_i32 s6, s6, 1
	s_add_i32 s15, s15, 1
	s_addk_i32 s13, 0x200
	v_add_u16_e64 v10, s17, 1
	s_waitcnt lgkmcnt(0)
	v_mul_f64 v[4:5], v[6:7], v[4:5]
	s_cmp_ge_i32 s6, s33
	v_readfirstlane_b32 s17, v10
	global_store_dwordx2 v[2:3], v[4:5], off
	s_cbranch_scc1 .LBB108_44
.LBB108_36:                             ; =>This Loop Header: Depth=1
                                        ;     Child Loop BB108_39 Depth 2
                                        ;     Child Loop BB108_43 Depth 2
	s_ashr_i32 s7, s6, 31
	s_lshl_b64 s[18:19], s[6:7], 3
	v_mov_b32_e32 v3, s19
	v_add_co_u32_e32 v2, vcc, s18, v122
	v_addc_co_u32_e32 v3, vcc, v123, v3, vcc
	global_load_dwordx2 v[4:5], v[2:3], off
	s_cmp_eq_u32 s6, 0
	s_waitcnt vmcnt(0)
	v_mul_f64 v[4:5], v[4:5], s[0:1]
	s_cbranch_scc1 .LBB108_35
; %bb.37:                               ;   in Loop: Header=BB108_36 Depth=1
	s_add_i32 s7, s12, s15
	s_cmp_lt_u32 s7, 7
	s_cbranch_scc1 .LBB108_41
; %bb.38:                               ;   in Loop: Header=BB108_36 Depth=1
	s_and_b32 s8, s6, -8
	s_mov_b32 s7, 0
	v_pk_mov_b32 v[6:7], v[0:1], v[0:1] op_sel:[0,1]
	s_mov_b32 s18, s13
.LBB108_39:                             ;   Parent Loop BB108_36 Depth=1
                                        ; =>  This Inner Loop Header: Depth=2
	global_load_dwordx4 v[10:13], v[6:7], off offset:-56
	global_load_dwordx4 v[14:17], v[6:7], off offset:-40
	;; [unrolled: 1-line block ×4, first 2 shown]
	v_mov_b32_e32 v38, s18
	ds_read_b128 v[26:29], v38
	ds_read_b128 v[30:33], v38 offset:16
	ds_read_b128 v[34:37], v38 offset:32
	ds_read_b128 v[38:41], v38 offset:48
	s_add_i32 s7, s7, 8
	s_add_i32 s18, s18, 64
	v_add_co_u32_e32 v6, vcc, 64, v6
	v_addc_co_u32_e32 v7, vcc, 0, v7, vcc
	s_cmp_lg_u32 s8, s7
	s_waitcnt vmcnt(3) lgkmcnt(3)
	v_fma_f64 v[4:5], -v[10:11], v[26:27], v[4:5]
	v_fma_f64 v[4:5], -v[12:13], v[28:29], v[4:5]
	s_waitcnt vmcnt(2) lgkmcnt(2)
	v_fma_f64 v[4:5], -v[14:15], v[30:31], v[4:5]
	v_fma_f64 v[4:5], -v[16:17], v[32:33], v[4:5]
	;; [unrolled: 3-line block ×4, first 2 shown]
	s_cbranch_scc1 .LBB108_39
; %bb.40:                               ;   in Loop: Header=BB108_36 Depth=1
	s_and_b32 s7, s6, 7
	s_cmp_eq_u32 s7, 0
	s_cbranch_scc0 .LBB108_42
	s_branch .LBB108_35
.LBB108_41:                             ;   in Loop: Header=BB108_36 Depth=1
	s_mov_b32 s8, 0
	s_and_b32 s7, s6, 7
	s_cmp_eq_u32 s7, 0
	s_cbranch_scc1 .LBB108_35
.LBB108_42:                             ;   in Loop: Header=BB108_36 Depth=1
	s_lshl_b64 s[20:21], s[8:9], 3
	v_mov_b32_e32 v7, s21
	v_add_co_u32_e32 v6, vcc, s20, v8
	s_and_b32 s7, s17, 7
	s_lshl_b32 s18, s8, 3
	v_addc_co_u32_e32 v7, vcc, v9, v7, vcc
.LBB108_43:                             ;   Parent Loop BB108_36 Depth=1
                                        ; =>  This Inner Loop Header: Depth=2
	global_load_dwordx2 v[10:11], v[6:7], off
	s_add_i32 s8, s13, s18
	v_mov_b32_e32 v12, s8
	ds_read_b64 v[12:13], v12
	s_add_i32 s18, s18, 8
	v_add_co_u32_e32 v6, vcc, 8, v6
	s_add_i32 s7, s7, -1
	v_addc_co_u32_e32 v7, vcc, 0, v7, vcc
	s_cmp_lg_u32 s7, 0
	s_waitcnt vmcnt(0) lgkmcnt(0)
	v_fma_f64 v[4:5], -v[10:11], v[12:13], v[4:5]
	s_cbranch_scc1 .LBB108_43
	s_branch .LBB108_35
.LBB108_44:
	s_mov_b64 s[6:7], 0
.LBB108_45:
	s_and_b64 vcc, exec, s[6:7]
	s_cbranch_vccz .LBB108_77
; %bb.46:
	s_cmp_gt_i32 s14, 31
	s_mov_b32 s8, s16
	s_cbranch_scc0 .LBB108_52
; %bb.47:
	s_mul_i32 s6, s33, 0x208
	s_ashr_i32 s17, s16, 31
	s_add_i32 s9, s6, 0xfffffd00
	s_lshl_b64 s[6:7], s[16:17], 3
	s_add_u32 s6, s10, s6
	s_addc_u32 s7, s11, s7
	s_add_u32 s6, s6, s4
	s_addc_u32 s7, s7, s5
	;; [unrolled: 2-line block ×3, first 2 shown]
	v_mov_b32_e32 v0, s7
	v_add_co_u32_e32 v126, vcc, s6, v124
	v_addc_co_u32_e32 v127, vcc, v0, v125, vcc
	s_mov_b32 s6, s16
.LBB108_48:                             ; =>This Loop Header: Depth=1
                                        ;     Child Loop BB108_49 Depth 2
	s_ashr_i32 s7, s6, 31
	s_lshl_b64 s[12:13], s[6:7], 3
	v_mov_b32_e32 v0, s13
	v_add_co_u32_e32 v128, vcc, s12, v122
	v_addc_co_u32_e32 v129, vcc, v123, v0, vcc
	global_load_dwordx4 v[4:7], v[128:129], off offset:-8
	global_load_dwordx4 v[8:11], v[128:129], off offset:-24
	;; [unrolled: 1-line block ×16, first 2 shown]
	v_pk_mov_b32 v[2:3], v[126:127], v[126:127] op_sel:[0,1]
	s_mov_b32 s7, s9
	s_cmp_le_i32 s16, s6
	s_mov_b32 s8, s16
	s_waitcnt vmcnt(15)
	v_mul_f64 v[0:1], v[6:7], s[0:1]
	v_mul_f64 v[36:37], v[4:5], s[0:1]
	s_waitcnt vmcnt(14)
	v_mul_f64 v[6:7], v[10:11], s[0:1]
	v_mul_f64 v[4:5], v[8:9], s[0:1]
	;; [unrolled: 3-line block ×16, first 2 shown]
	s_cbranch_scc1 .LBB108_50
.LBB108_49:                             ;   Parent Loop BB108_48 Depth=1
                                        ; =>  This Inner Loop Header: Depth=2
	global_load_dwordx2 v[50:51], v[2:3], off
	v_mov_b32_e32 v62, s7
	ds_read2_b64 v[38:41], v62 offset0:30 offset1:31
	ds_read2_b64 v[42:45], v62 offset0:28 offset1:29
	;; [unrolled: 1-line block ×15, first 2 shown]
	ds_read2_b64 v[144:147], v62 offset1:1
	s_add_i32 s8, s8, -1
	s_addk_i32 s7, 0xfe00
	v_add_co_u32_e32 v2, vcc, -8, v2
	v_addc_co_u32_e32 v3, vcc, -1, v3, vcc
	s_cmp_gt_i32 s8, s6
	s_waitcnt vmcnt(0) lgkmcnt(14)
	v_fma_f64 v[0:1], -v[50:51], v[40:41], v[0:1]
	v_fma_f64 v[36:37], -v[50:51], v[38:39], v[36:37]
	;; [unrolled: 1-line block ×4, first 2 shown]
	s_waitcnt lgkmcnt(13)
	v_fma_f64 v[10:11], -v[50:51], v[48:49], v[10:11]
	v_fma_f64 v[8:9], -v[50:51], v[46:47], v[8:9]
	s_waitcnt lgkmcnt(12)
	v_fma_f64 v[14:15], -v[50:51], v[60:61], v[14:15]
	v_fma_f64 v[12:13], -v[50:51], v[58:59], v[12:13]
	;; [unrolled: 3-line block ×14, first 2 shown]
	s_cbranch_scc1 .LBB108_49
.LBB108_50:                             ;   in Loop: Header=BB108_48 Depth=1
	s_add_i32 s12, s6, -1
	s_lshl_b32 s8, s6, 6
	s_add_i32 s7, s12, s8
	s_lshl_b32 s7, s7, 3
	v_mov_b32_e32 v2, s7
	ds_read2_b64 v[38:41], v2 offset1:1
	s_mul_i32 s7, s6, 0x208
	s_add_i32 s13, s7, 0xfffffdf8
	s_add_i32 s14, s6, -3
	v_mov_b32_e32 v2, s13
	s_add_i32 s13, s14, s8
	ds_read_b64 v[42:43], v2
	s_waitcnt lgkmcnt(1)
	v_mul_f64 v[2:3], v[40:41], v[0:1]
	s_lshl_b32 s13, s13, 3
	v_fma_f64 v[0:1], -v[2:3], v[38:39], v[36:37]
	v_mov_b32_e32 v36, s13
	s_lshl_b32 s12, s12, 6
	ds_read2_b64 v[36:39], v36 offset1:1
	s_add_i32 s13, s14, s12
	s_lshl_b32 s13, s13, 3
	v_mov_b32_e32 v40, s13
	s_add_i32 s13, s8, 0xffffff80
	s_add_i32 s15, s14, s13
	s_lshl_b32 s15, s15, 3
	s_waitcnt lgkmcnt(1)
	v_mul_f64 v[0:1], v[42:43], v[0:1]
	ds_read2_b64 v[40:43], v40 offset1:1
	s_waitcnt lgkmcnt(1)
	v_fma_f64 v[6:7], -v[2:3], v[38:39], v[6:7]
	v_mov_b32_e32 v38, s15
	s_add_i32 s15, s7, 0xfffff9e8
	s_add_i32 s17, s6, -5
	ds_read2_b64 v[44:47], v38 offset1:1
	v_mov_b32_e32 v38, s15
	s_add_i32 s15, s17, s8
	s_lshl_b32 s15, s15, 3
	v_fma_f64 v[4:5], -v[2:3], v[36:37], v[4:5]
	v_mov_b32_e32 v36, s15
	s_add_i32 s15, s17, s12
	s_lshl_b32 s15, s15, 3
	global_store_dwordx4 v[128:129], v[0:3], off offset:-8
	s_waitcnt lgkmcnt(1)
	v_fma_f64 v[4:5], -v[0:1], v[40:41], v[4:5]
	v_mov_b32_e32 v40, s15
	v_fma_f64 v[6:7], -v[0:1], v[42:43], v[6:7]
	ds_read_b64 v[48:49], v38
	ds_read2_b64 v[36:39], v36 offset1:1
	ds_read2_b64 v[40:43], v40 offset1:1
	s_add_i32 s15, s17, s13
	s_lshl_b32 s15, s15, 3
	s_waitcnt lgkmcnt(3)
	v_mul_f64 v[6:7], v[46:47], v[6:7]
	s_waitcnt lgkmcnt(1)
	v_fma_f64 v[10:11], -v[2:3], v[38:39], v[10:11]
	v_mov_b32_e32 v38, s15
	s_lshl_b32 s15, s14, 6
	s_add_i32 s14, s17, s15
	s_lshl_b32 s14, s14, 3
	v_fma_f64 v[4:5], -v[6:7], v[44:45], v[4:5]
	s_waitcnt lgkmcnt(0)
	v_fma_f64 v[10:11], -v[0:1], v[42:43], v[10:11]
	ds_read2_b64 v[42:45], v38 offset1:1
	v_mov_b32_e32 v38, s14
	s_add_i32 s14, s8, 0xffffff00
	s_add_i32 s18, s17, s14
	s_lshl_b32 s18, s18, 3
	v_mul_f64 v[4:5], v[48:49], v[4:5]
	ds_read2_b64 v[46:49], v38 offset1:1
	v_mov_b32_e32 v38, s18
	s_add_i32 s18, s7, 0xfffff5d8
	s_add_i32 s19, s6, -7
	ds_read2_b64 v[58:61], v38 offset1:1
	v_mov_b32_e32 v38, s18
	s_add_i32 s18, s19, s8
	s_lshl_b32 s18, s18, 3
	v_fma_f64 v[8:9], -v[2:3], v[36:37], v[8:9]
	v_mov_b32_e32 v36, s18
	s_add_i32 s18, s19, s12
	s_lshl_b32 s18, s18, 3
	global_store_dwordx4 v[128:129], v[4:7], off offset:-24
	v_fma_f64 v[8:9], -v[0:1], v[40:41], v[8:9]
	v_mov_b32_e32 v40, s18
	s_waitcnt lgkmcnt(2)
	v_fma_f64 v[10:11], -v[6:7], v[44:45], v[10:11]
	ds_read_b64 v[44:45], v38
	v_fma_f64 v[8:9], -v[6:7], v[42:43], v[8:9]
	ds_read2_b64 v[36:39], v36 offset1:1
	ds_read2_b64 v[40:43], v40 offset1:1
	s_add_i32 s18, s19, s13
	s_waitcnt lgkmcnt(4)
	v_fma_f64 v[10:11], -v[4:5], v[48:49], v[10:11]
	s_lshl_b32 s18, s18, 3
	s_waitcnt lgkmcnt(3)
	v_mul_f64 v[10:11], v[60:61], v[10:11]
	v_fma_f64 v[8:9], -v[4:5], v[46:47], v[8:9]
	s_waitcnt lgkmcnt(1)
	v_fma_f64 v[14:15], -v[2:3], v[38:39], v[14:15]
	v_mov_b32_e32 v38, s18
	s_add_i32 s18, s19, s15
	v_fma_f64 v[8:9], -v[10:11], v[58:59], v[8:9]
	s_lshl_b32 s18, s18, 3
	v_mul_f64 v[8:9], v[44:45], v[8:9]
	v_mov_b32_e32 v39, s18
	s_add_i32 s18, s19, s14
	global_store_dwordx4 v[128:129], v[8:11], off offset:-40
	s_lshl_b32 s18, s18, 3
	s_lshl_b32 s17, s17, 6
	s_waitcnt lgkmcnt(0)
	v_fma_f64 v[14:15], -v[0:1], v[42:43], v[14:15]
	ds_read2_b64 v[42:45], v38 offset1:1
	ds_read2_b64 v[46:49], v39 offset1:1
	v_mov_b32_e32 v38, s18
	s_add_i32 s18, s19, s17
	s_lshl_b32 s18, s18, 3
	v_mov_b32_e32 v39, s18
	s_add_i32 s18, s7, 0xfffff3d0
	ds_read2_b64 v[58:61], v38 offset1:1
	ds_read2_b64 v[68:71], v39 offset1:1
	v_mov_b32_e32 v38, s18
	s_add_i32 s18, s8, 0xfffffe80
	s_add_i32 s20, s19, s18
	ds_read_b64 v[38:39], v38
	s_lshl_b32 s20, s20, 3
	s_waitcnt lgkmcnt(4)
	v_fma_f64 v[14:15], -v[6:7], v[44:45], v[14:15]
	v_fma_f64 v[12:13], -v[2:3], v[36:37], v[12:13]
	v_mov_b32_e32 v36, s20
	s_waitcnt lgkmcnt(3)
	v_fma_f64 v[14:15], -v[4:5], v[48:49], v[14:15]
	v_fma_f64 v[12:13], -v[0:1], v[40:41], v[12:13]
	ds_read_b64 v[36:37], v36
	s_waitcnt lgkmcnt(3)
	v_fma_f64 v[14:15], -v[10:11], v[60:61], v[14:15]
	v_fma_f64 v[12:13], -v[6:7], v[42:43], v[12:13]
	s_waitcnt lgkmcnt(2)
	v_fma_f64 v[14:15], -v[8:9], v[70:71], v[14:15]
	s_add_i32 s20, s7, 0xfffff1c8
	v_fma_f64 v[12:13], -v[4:5], v[46:47], v[12:13]
	s_add_i32 s21, s6, -9
	s_waitcnt lgkmcnt(1)
	v_mul_f64 v[14:15], v[38:39], v[14:15]
	v_mov_b32_e32 v38, s20
	v_fma_f64 v[12:13], -v[10:11], v[58:59], v[12:13]
	s_add_i32 s20, s21, s8
	ds_read_b64 v[38:39], v38
	v_fma_f64 v[12:13], -v[8:9], v[68:69], v[12:13]
	s_lshl_b32 s20, s20, 3
	s_waitcnt lgkmcnt(1)
	v_fma_f64 v[12:13], -v[14:15], v[36:37], v[12:13]
	v_mov_b32_e32 v36, s20
	s_add_i32 s20, s21, s12
	s_lshl_b32 s20, s20, 3
	v_mov_b32_e32 v40, s20
	s_add_i32 s20, s21, s13
	s_lshl_b32 s20, s20, 3
	s_waitcnt lgkmcnt(0)
	v_mul_f64 v[12:13], v[38:39], v[12:13]
	ds_read2_b64 v[36:39], v36 offset1:1
	ds_read2_b64 v[40:43], v40 offset1:1
	v_mov_b32_e32 v44, s20
	s_add_i32 s20, s21, s15
	s_lshl_b32 s20, s20, 3
	v_mov_b32_e32 v48, s20
	s_add_i32 s20, s21, s14
	s_lshl_b32 s20, s20, 3
	s_waitcnt lgkmcnt(1)
	v_fma_f64 v[18:19], -v[2:3], v[38:39], v[18:19]
	v_mov_b32_e32 v38, s20
	s_add_i32 s20, s21, s17
	s_lshl_b32 s20, s20, 3
	v_mov_b32_e32 v39, s20
	s_add_i32 s20, s21, s18
	ds_read2_b64 v[44:47], v44 offset1:1
	ds_read2_b64 v[48:51], v48 offset1:1
	global_store_dwordx4 v[128:129], v[12:15], off offset:-56
	s_lshl_b32 s20, s20, 3
	s_lshl_b32 s19, s19, 6
	ds_read2_b64 v[58:61], v38 offset1:1
	ds_read2_b64 v[68:71], v39 offset1:1
	v_mov_b32_e32 v38, s20
	s_add_i32 s20, s21, s19
	s_lshl_b32 s20, s20, 3
	s_waitcnt lgkmcnt(4)
	v_fma_f64 v[18:19], -v[0:1], v[42:43], v[18:19]
	v_mov_b32_e32 v39, s20
	s_add_i32 s20, s7, 0xffffefc0
	s_waitcnt lgkmcnt(3)
	v_fma_f64 v[18:19], -v[6:7], v[46:47], v[18:19]
	ds_read2_b64 v[78:81], v38 offset1:1
	ds_read2_b64 v[82:85], v39 offset1:1
	v_mov_b32_e32 v38, s20
	s_waitcnt lgkmcnt(4)
	v_fma_f64 v[18:19], -v[4:5], v[50:51], v[18:19]
	ds_read_b64 v[38:39], v38
	s_waitcnt lgkmcnt(4)
	v_fma_f64 v[18:19], -v[10:11], v[60:61], v[18:19]
	s_add_i32 s20, s8, 0xfffffe00
	s_waitcnt lgkmcnt(3)
	v_fma_f64 v[18:19], -v[8:9], v[70:71], v[18:19]
	v_fma_f64 v[16:17], -v[2:3], v[36:37], v[16:17]
	s_add_i32 s22, s21, s20
	s_waitcnt lgkmcnt(2)
	v_fma_f64 v[18:19], -v[14:15], v[80:81], v[18:19]
	v_fma_f64 v[16:17], -v[0:1], v[40:41], v[16:17]
	s_lshl_b32 s22, s22, 3
	s_waitcnt lgkmcnt(1)
	v_fma_f64 v[18:19], -v[12:13], v[84:85], v[18:19]
	v_fma_f64 v[16:17], -v[6:7], v[44:45], v[16:17]
	v_mov_b32_e32 v36, s22
	s_add_i32 s22, s7, 0xffffedb8
	s_waitcnt lgkmcnt(0)
	v_mul_f64 v[18:19], v[38:39], v[18:19]
	v_fma_f64 v[16:17], -v[4:5], v[48:49], v[16:17]
	ds_read_b64 v[36:37], v36
	v_mov_b32_e32 v38, s22
	v_fma_f64 v[16:17], -v[10:11], v[58:59], v[16:17]
	ds_read_b64 v[38:39], v38
	v_fma_f64 v[16:17], -v[8:9], v[68:69], v[16:17]
	s_add_i32 s23, s6, -11
	v_fma_f64 v[16:17], -v[14:15], v[78:79], v[16:17]
	s_add_i32 s22, s23, s8
	v_fma_f64 v[16:17], -v[12:13], v[82:83], v[16:17]
	s_lshl_b32 s22, s22, 3
	s_waitcnt lgkmcnt(1)
	v_fma_f64 v[16:17], -v[18:19], v[36:37], v[16:17]
	v_mov_b32_e32 v36, s22
	s_waitcnt lgkmcnt(0)
	v_mul_f64 v[16:17], v[38:39], v[16:17]
	ds_read2_b64 v[36:39], v36 offset1:1
	s_add_i32 s22, s23, s12
	s_lshl_b32 s22, s22, 3
	v_mov_b32_e32 v40, s22
	ds_read2_b64 v[40:43], v40 offset1:1
	s_add_i32 s22, s23, s13
	s_lshl_b32 s22, s22, 3
	s_waitcnt lgkmcnt(1)
	v_fma_f64 v[22:23], -v[2:3], v[38:39], v[22:23]
	v_mov_b32_e32 v38, s22
	s_add_i32 s22, s23, s15
	s_lshl_b32 s22, s22, 3
	v_mov_b32_e32 v39, s22
	s_add_i32 s22, s23, s14
	global_store_dwordx4 v[128:129], v[16:19], off offset:-72
	s_lshl_b32 s22, s22, 3
	ds_read2_b64 v[44:47], v38 offset1:1
	ds_read2_b64 v[48:51], v39 offset1:1
	v_mov_b32_e32 v38, s22
	s_add_i32 s22, s23, s17
	s_lshl_b32 s22, s22, 3
	v_mov_b32_e32 v39, s22
	s_add_i32 s22, s23, s18
	ds_read2_b64 v[58:61], v38 offset1:1
	ds_read2_b64 v[68:71], v39 offset1:1
	s_lshl_b32 s22, s22, 3
	s_waitcnt lgkmcnt(4)
	v_fma_f64 v[22:23], -v[0:1], v[42:43], v[22:23]
	v_mov_b32_e32 v38, s22
	s_add_i32 s22, s23, s19
	s_waitcnt lgkmcnt(3)
	v_fma_f64 v[22:23], -v[6:7], v[46:47], v[22:23]
	s_lshl_b32 s22, s22, 3
	s_waitcnt lgkmcnt(2)
	v_fma_f64 v[22:23], -v[4:5], v[50:51], v[22:23]
	v_mov_b32_e32 v39, s22
	s_add_i32 s22, s23, s20
	s_waitcnt lgkmcnt(1)
	v_fma_f64 v[22:23], -v[10:11], v[60:61], v[22:23]
	s_lshl_b32 s22, s22, 3
	s_lshl_b32 s21, s21, 6
	s_waitcnt lgkmcnt(0)
	v_fma_f64 v[22:23], -v[8:9], v[70:71], v[22:23]
	ds_read2_b64 v[60:63], v38 offset1:1
	ds_read2_b64 v[70:73], v39 offset1:1
	v_mov_b32_e32 v38, s22
	s_add_i32 s22, s23, s21
	s_lshl_b32 s22, s22, 3
	v_mov_b32_e32 v39, s22
	s_add_i32 s22, s7, 0xffffebb0
	ds_read2_b64 v[78:81], v38 offset1:1
	ds_read2_b64 v[82:85], v39 offset1:1
	v_mov_b32_e32 v38, s22
	ds_read_b64 v[38:39], v38
	v_fma_f64 v[20:21], -v[2:3], v[36:37], v[20:21]
	s_waitcnt lgkmcnt(4)
	v_fma_f64 v[22:23], -v[14:15], v[62:63], v[22:23]
	v_fma_f64 v[20:21], -v[0:1], v[40:41], v[20:21]
	s_add_i32 s22, s8, 0xfffffd80
	s_waitcnt lgkmcnt(3)
	v_fma_f64 v[22:23], -v[12:13], v[72:73], v[22:23]
	v_fma_f64 v[20:21], -v[6:7], v[44:45], v[20:21]
	s_add_i32 s24, s23, s22
	s_waitcnt lgkmcnt(2)
	v_fma_f64 v[22:23], -v[18:19], v[80:81], v[22:23]
	v_fma_f64 v[20:21], -v[4:5], v[48:49], v[20:21]
	s_lshl_b32 s24, s24, 3
	s_waitcnt lgkmcnt(1)
	v_fma_f64 v[22:23], -v[16:17], v[84:85], v[22:23]
	v_fma_f64 v[20:21], -v[10:11], v[58:59], v[20:21]
	v_mov_b32_e32 v36, s24
	s_add_i32 s24, s7, 0xffffe9a8
	s_waitcnt lgkmcnt(0)
	v_mul_f64 v[22:23], v[38:39], v[22:23]
	v_fma_f64 v[20:21], -v[8:9], v[68:69], v[20:21]
	v_mov_b32_e32 v38, s24
	v_fma_f64 v[20:21], -v[14:15], v[60:61], v[20:21]
	ds_read_b64 v[36:37], v36
	ds_read_b64 v[38:39], v38
	v_fma_f64 v[20:21], -v[12:13], v[70:71], v[20:21]
	s_add_i32 s25, s6, -13
	v_fma_f64 v[20:21], -v[18:19], v[78:79], v[20:21]
	s_add_i32 s24, s25, s8
	v_fma_f64 v[20:21], -v[16:17], v[82:83], v[20:21]
	s_lshl_b32 s24, s24, 3
	s_waitcnt lgkmcnt(1)
	v_fma_f64 v[20:21], -v[22:23], v[36:37], v[20:21]
	v_mov_b32_e32 v36, s24
	s_add_i32 s24, s25, s12
	s_lshl_b32 s24, s24, 3
	v_mov_b32_e32 v40, s24
	s_add_i32 s24, s25, s13
	s_lshl_b32 s24, s24, 3
	s_waitcnt lgkmcnt(0)
	v_mul_f64 v[20:21], v[38:39], v[20:21]
	ds_read2_b64 v[36:39], v36 offset1:1
	ds_read2_b64 v[40:43], v40 offset1:1
	v_mov_b32_e32 v44, s24
	s_add_i32 s24, s25, s15
	s_lshl_b32 s24, s24, 3
	v_mov_b32_e32 v48, s24
	s_add_i32 s24, s25, s14
	s_lshl_b32 s24, s24, 3
	s_waitcnt lgkmcnt(1)
	v_fma_f64 v[26:27], -v[2:3], v[38:39], v[26:27]
	v_mov_b32_e32 v38, s24
	s_add_i32 s24, s25, s17
	s_lshl_b32 s24, s24, 3
	ds_read2_b64 v[44:47], v44 offset1:1
	ds_read2_b64 v[48:51], v48 offset1:1
	;; [unrolled: 1-line block ×3, first 2 shown]
	v_mov_b32_e32 v38, s24
	s_add_i32 s24, s25, s18
	s_lshl_b32 s24, s24, 3
	ds_read2_b64 v[68:71], v38 offset1:1
	v_mov_b32_e32 v38, s24
	s_add_i32 s24, s25, s19
	s_waitcnt lgkmcnt(4)
	v_fma_f64 v[26:27], -v[0:1], v[42:43], v[26:27]
	s_lshl_b32 s24, s24, 3
	s_waitcnt lgkmcnt(3)
	v_fma_f64 v[26:27], -v[6:7], v[46:47], v[26:27]
	v_mov_b32_e32 v39, s24
	s_add_i32 s24, s25, s20
	global_store_dwordx4 v[128:129], v[20:23], off offset:-88
	s_waitcnt lgkmcnt(2)
	v_fma_f64 v[26:27], -v[4:5], v[50:51], v[26:27]
	s_lshl_b32 s24, s24, 3
	s_waitcnt lgkmcnt(1)
	v_fma_f64 v[26:27], -v[10:11], v[60:61], v[26:27]
	ds_read2_b64 v[60:63], v38 offset1:1
	ds_read2_b64 v[78:81], v39 offset1:1
	v_mov_b32_e32 v38, s24
	s_add_i32 s24, s25, s21
	s_lshl_b32 s24, s24, 3
	v_mov_b32_e32 v39, s24
	s_add_i32 s24, s25, s22
	s_lshl_b32 s24, s24, 3
	s_lshl_b32 s23, s23, 6
	ds_read2_b64 v[82:85], v38 offset1:1
	ds_read2_b64 v[90:93], v39 offset1:1
	v_mov_b32_e32 v38, s24
	s_add_i32 s24, s25, s23
	v_fma_f64 v[24:25], -v[2:3], v[36:37], v[24:25]
	s_waitcnt lgkmcnt(4)
	v_fma_f64 v[26:27], -v[8:9], v[70:71], v[26:27]
	s_lshl_b32 s24, s24, 3
	v_fma_f64 v[24:25], -v[0:1], v[40:41], v[24:25]
	s_waitcnt lgkmcnt(3)
	v_fma_f64 v[26:27], -v[14:15], v[62:63], v[26:27]
	ds_read2_b64 v[70:73], v38 offset1:1
	v_mov_b32_e32 v38, s24
	s_add_i32 s24, s8, 0xfffffd00
	v_fma_f64 v[24:25], -v[6:7], v[44:45], v[24:25]
	s_waitcnt lgkmcnt(3)
	v_fma_f64 v[26:27], -v[12:13], v[80:81], v[26:27]
	s_add_i32 s26, s25, s24
	v_fma_f64 v[24:25], -v[4:5], v[48:49], v[24:25]
	s_waitcnt lgkmcnt(2)
	v_fma_f64 v[26:27], -v[18:19], v[84:85], v[26:27]
	s_lshl_b32 s26, s26, 3
	v_fma_f64 v[24:25], -v[10:11], v[58:59], v[24:25]
	s_waitcnt lgkmcnt(1)
	v_fma_f64 v[26:27], -v[16:17], v[92:93], v[26:27]
	ds_read2_b64 v[92:95], v38 offset1:1
	v_mov_b32_e32 v38, s26
	v_fma_f64 v[24:25], -v[8:9], v[68:69], v[24:25]
	ds_read2_b64 v[96:99], v38 offset1:1
	s_add_i32 s26, s7, 0xffffe598
	v_fma_f64 v[24:25], -v[14:15], v[60:61], v[24:25]
	v_mov_b32_e32 v38, s26
	v_fma_f64 v[24:25], -v[12:13], v[78:79], v[24:25]
	ds_read_b64 v[38:39], v38
	v_fma_f64 v[24:25], -v[18:19], v[82:83], v[24:25]
	s_waitcnt lgkmcnt(3)
	v_fma_f64 v[26:27], -v[22:23], v[72:73], v[26:27]
	v_fma_f64 v[24:25], -v[16:17], v[90:91], v[24:25]
	s_add_i32 s27, s6, -15
	s_waitcnt lgkmcnt(2)
	v_fma_f64 v[26:27], -v[20:21], v[94:95], v[26:27]
	v_fma_f64 v[24:25], -v[22:23], v[70:71], v[24:25]
	s_add_i32 s26, s27, s8
	s_waitcnt lgkmcnt(1)
	v_mul_f64 v[26:27], v[98:99], v[26:27]
	v_fma_f64 v[24:25], -v[20:21], v[92:93], v[24:25]
	s_lshl_b32 s26, s26, 3
	v_fma_f64 v[24:25], -v[26:27], v[96:97], v[24:25]
	v_mov_b32_e32 v36, s26
	s_waitcnt lgkmcnt(0)
	v_mul_f64 v[24:25], v[38:39], v[24:25]
	ds_read2_b64 v[36:39], v36 offset1:1
	s_add_i32 s26, s27, s12
	s_lshl_b32 s26, s26, 3
	v_mov_b32_e32 v40, s26
	ds_read2_b64 v[40:43], v40 offset1:1
	s_add_i32 s26, s27, s13
	s_lshl_b32 s26, s26, 3
	s_waitcnt lgkmcnt(1)
	v_fma_f64 v[30:31], -v[2:3], v[38:39], v[30:31]
	v_mov_b32_e32 v38, s26
	s_add_i32 s26, s27, s15
	s_lshl_b32 s26, s26, 3
	v_mov_b32_e32 v39, s26
	s_add_i32 s26, s27, s14
	global_store_dwordx4 v[128:129], v[24:27], off offset:-104
	s_lshl_b32 s26, s26, 3
	ds_read2_b64 v[44:47], v38 offset1:1
	ds_read2_b64 v[48:51], v39 offset1:1
	v_mov_b32_e32 v38, s26
	s_add_i32 s26, s27, s17
	s_lshl_b32 s26, s26, 3
	v_mov_b32_e32 v39, s26
	ds_read2_b64 v[58:61], v38 offset1:1
	ds_read2_b64 v[68:71], v39 offset1:1
	s_add_i32 s26, s27, s18
	s_waitcnt lgkmcnt(4)
	v_fma_f64 v[30:31], -v[0:1], v[42:43], v[30:31]
	s_lshl_b32 s26, s26, 3
	s_waitcnt lgkmcnt(3)
	v_fma_f64 v[30:31], -v[6:7], v[46:47], v[30:31]
	v_mov_b32_e32 v38, s26
	s_add_i32 s26, s27, s19
	s_waitcnt lgkmcnt(2)
	v_fma_f64 v[30:31], -v[4:5], v[50:51], v[30:31]
	s_lshl_b32 s26, s26, 3
	s_waitcnt lgkmcnt(1)
	v_fma_f64 v[30:31], -v[10:11], v[60:61], v[30:31]
	ds_read2_b64 v[60:63], v38 offset1:1
	v_mov_b32_e32 v38, s26
	s_add_i32 s26, s27, s20
	s_lshl_b32 s26, s26, 3
	s_waitcnt lgkmcnt(1)
	v_fma_f64 v[30:31], -v[8:9], v[70:71], v[30:31]
	ds_read2_b64 v[70:73], v38 offset1:1
	v_mov_b32_e32 v38, s26
	s_add_i32 s26, s27, s21
	s_lshl_b32 s26, s26, 3
	v_mov_b32_e32 v39, s26
	s_add_i32 s26, s27, s22
	s_lshl_b32 s26, s26, 3
	ds_read2_b64 v[78:81], v38 offset1:1
	ds_read2_b64 v[82:85], v39 offset1:1
	v_mov_b32_e32 v38, s26
	s_add_i32 s26, s27, s23
	s_lshl_b32 s26, s26, 3
	s_waitcnt lgkmcnt(3)
	v_fma_f64 v[30:31], -v[14:15], v[62:63], v[30:31]
	v_mov_b32_e32 v39, s26
	ds_read2_b64 v[90:93], v38 offset1:1
	ds_read2_b64 v[94:97], v39 offset1:1
	s_waitcnt lgkmcnt(4)
	v_fma_f64 v[30:31], -v[12:13], v[72:73], v[30:31]
	s_add_i32 s26, s27, s24
	s_waitcnt lgkmcnt(3)
	v_fma_f64 v[30:31], -v[18:19], v[80:81], v[30:31]
	s_lshl_b32 s26, s26, 3
	s_lshl_b32 s25, s25, 6
	s_waitcnt lgkmcnt(2)
	v_fma_f64 v[30:31], -v[16:17], v[84:85], v[30:31]
	v_mov_b32_e32 v38, s26
	s_add_i32 s26, s27, s25
	s_waitcnt lgkmcnt(1)
	v_fma_f64 v[30:31], -v[22:23], v[92:93], v[30:31]
	s_lshl_b32 s26, s26, 3
	s_waitcnt lgkmcnt(0)
	v_fma_f64 v[30:31], -v[20:21], v[96:97], v[30:31]
	ds_read2_b64 v[96:99], v38 offset1:1
	v_mov_b32_e32 v38, s26
	s_add_i32 s26, s8, 0xfffffc80
	s_add_i32 s28, s27, s26
	s_lshl_b32 s28, s28, 3
	v_fma_f64 v[28:29], -v[2:3], v[36:37], v[28:29]
	ds_read2_b64 v[104:107], v38 offset1:1
	v_mov_b32_e32 v38, s28
	s_add_i32 s28, s7, 0xffffe188
	v_fma_f64 v[28:29], -v[0:1], v[40:41], v[28:29]
	s_sub_i32 s29, s6, 17
	ds_read2_b64 v[114:117], v38 offset1:1
	v_mov_b32_e32 v38, s28
	v_fma_f64 v[28:29], -v[6:7], v[44:45], v[28:29]
	s_add_i32 s28, s29, s8
	v_fma_f64 v[28:29], -v[4:5], v[48:49], v[28:29]
	s_lshl_b32 s28, s28, 3
	v_fma_f64 v[28:29], -v[10:11], v[58:59], v[28:29]
	v_mov_b32_e32 v36, s28
	s_add_i32 s28, s29, s12
	v_fma_f64 v[28:29], -v[8:9], v[68:69], v[28:29]
	s_lshl_b32 s28, s28, 3
	v_fma_f64 v[28:29], -v[14:15], v[60:61], v[28:29]
	v_mov_b32_e32 v40, s28
	ds_read_b64 v[46:47], v38
	v_fma_f64 v[28:29], -v[12:13], v[70:71], v[28:29]
	ds_read2_b64 v[36:39], v36 offset1:1
	ds_read2_b64 v[40:43], v40 offset1:1
	v_fma_f64 v[28:29], -v[18:19], v[78:79], v[28:29]
	v_fma_f64 v[28:29], -v[16:17], v[82:83], v[28:29]
	s_add_i32 s28, s29, s13
	v_fma_f64 v[28:29], -v[22:23], v[90:91], v[28:29]
	s_lshl_b32 s28, s28, 3
	s_waitcnt lgkmcnt(5)
	v_fma_f64 v[30:31], -v[26:27], v[98:99], v[30:31]
	v_fma_f64 v[28:29], -v[20:21], v[94:95], v[28:29]
	s_waitcnt lgkmcnt(1)
	v_fma_f64 v[34:35], -v[2:3], v[38:39], v[34:35]
	v_mov_b32_e32 v38, s28
	s_add_i32 s28, s29, s15
	v_fma_f64 v[30:31], -v[24:25], v[106:107], v[30:31]
	v_fma_f64 v[28:29], -v[26:27], v[96:97], v[28:29]
	s_lshl_b32 s28, s28, 3
	v_mul_f64 v[30:31], v[116:117], v[30:31]
	v_fma_f64 v[28:29], -v[24:25], v[104:105], v[28:29]
	s_waitcnt lgkmcnt(0)
	v_fma_f64 v[34:35], -v[0:1], v[42:43], v[34:35]
	ds_read2_b64 v[42:45], v38 offset1:1
	v_mov_b32_e32 v38, s28
	s_add_i32 s28, s29, s14
	v_fma_f64 v[28:29], -v[30:31], v[114:115], v[28:29]
	s_lshl_b32 s28, s28, 3
	v_mul_f64 v[28:29], v[46:47], v[28:29]
	ds_read2_b64 v[46:49], v38 offset1:1
	v_mov_b32_e32 v38, s28
	s_add_i32 s28, s29, s17
	s_lshl_b32 s28, s28, 3
	v_mov_b32_e32 v39, s28
	s_add_i32 s28, s29, s18
	global_store_dwordx4 v[128:129], v[28:31], off offset:-120
	s_lshl_b32 s28, s28, 3
	ds_read2_b64 v[58:61], v38 offset1:1
	ds_read2_b64 v[68:71], v39 offset1:1
	v_mov_b32_e32 v38, s28
	s_add_i32 s28, s29, s19
	s_lshl_b32 s28, s28, 3
	v_mov_b32_e32 v39, s28
	s_add_i32 s28, s29, s20
	s_lshl_b32 s28, s28, 3
	ds_read2_b64 v[78:81], v38 offset1:1
	ds_read2_b64 v[82:85], v39 offset1:1
	v_mov_b32_e32 v38, s28
	s_add_i32 s28, s29, s21
	s_waitcnt lgkmcnt(5)
	v_fma_f64 v[34:35], -v[6:7], v[44:45], v[34:35]
	s_lshl_b32 s28, s28, 3
	s_waitcnt lgkmcnt(4)
	v_fma_f64 v[34:35], -v[4:5], v[48:49], v[34:35]
	ds_read2_b64 v[48:51], v38 offset1:1
	v_mov_b32_e32 v38, s28
	s_add_i32 s28, s29, s22
	s_lshl_b32 s28, s28, 3
	s_waitcnt lgkmcnt(4)
	v_fma_f64 v[34:35], -v[10:11], v[60:61], v[34:35]
	ds_read2_b64 v[60:63], v38 offset1:1
	v_mov_b32_e32 v38, s28
	s_add_i32 s28, s29, s23
	s_lshl_b32 s28, s28, 3
	v_mov_b32_e32 v39, s28
	s_add_i32 s28, s29, s24
	s_lshl_b32 s28, s28, 3
	s_waitcnt lgkmcnt(4)
	v_fma_f64 v[34:35], -v[8:9], v[70:71], v[34:35]
	ds_read2_b64 v[70:73], v38 offset1:1
	ds_read2_b64 v[90:93], v39 offset1:1
	v_mov_b32_e32 v38, s28
	s_add_i32 s28, s29, s25
	s_waitcnt lgkmcnt(5)
	v_fma_f64 v[34:35], -v[14:15], v[80:81], v[34:35]
	s_lshl_b32 s28, s28, 3
	v_fma_f64 v[32:33], -v[2:3], v[36:37], v[32:33]
	s_waitcnt lgkmcnt(4)
	v_fma_f64 v[34:35], -v[12:13], v[84:85], v[34:35]
	v_mov_b32_e32 v39, s28
	s_add_i32 s28, s29, s26
	v_fma_f64 v[32:33], -v[0:1], v[40:41], v[32:33]
	s_waitcnt lgkmcnt(3)
	v_fma_f64 v[34:35], -v[18:19], v[50:51], v[34:35]
	ds_read2_b64 v[94:97], v38 offset1:1
	ds_read2_b64 v[104:107], v39 offset1:1
	s_lshl_b32 s28, s28, 3
	v_fma_f64 v[32:33], -v[6:7], v[42:43], v[32:33]
	s_waitcnt lgkmcnt(4)
	v_fma_f64 v[34:35], -v[16:17], v[62:63], v[34:35]
	v_mov_b32_e32 v38, s28
	s_lshl_b32 s28, s27, 6
	v_fma_f64 v[32:33], -v[4:5], v[46:47], v[32:33]
	s_waitcnt lgkmcnt(3)
	v_fma_f64 v[34:35], -v[22:23], v[72:73], v[34:35]
	s_add_i32 s27, s29, s28
	v_fma_f64 v[32:33], -v[10:11], v[58:59], v[32:33]
	s_waitcnt lgkmcnt(2)
	v_fma_f64 v[34:35], -v[20:21], v[92:93], v[34:35]
	s_lshl_b32 s27, s27, 3
	v_fma_f64 v[32:33], -v[8:9], v[68:69], v[32:33]
	s_waitcnt lgkmcnt(1)
	v_fma_f64 v[34:35], -v[26:27], v[96:97], v[34:35]
	ds_read2_b64 v[96:99], v38 offset1:1
	v_mov_b32_e32 v38, s27
	s_add_i32 s27, s8, 0xfffffc00
	v_fma_f64 v[32:33], -v[14:15], v[78:79], v[32:33]
	s_add_i32 s30, s29, s27
	v_fma_f64 v[32:33], -v[12:13], v[82:83], v[32:33]
	s_lshl_b32 s30, s30, 3
	v_fma_f64 v[32:33], -v[18:19], v[48:49], v[32:33]
	s_waitcnt lgkmcnt(1)
	v_fma_f64 v[34:35], -v[24:25], v[106:107], v[34:35]
	ds_read2_b64 v[106:109], v38 offset1:1
	v_mov_b32_e32 v38, s30
	v_fma_f64 v[32:33], -v[16:17], v[60:61], v[32:33]
	ds_read2_b64 v[114:117], v38 offset1:1
	s_add_i32 s30, s7, 0xffffdd78
	v_fma_f64 v[32:33], -v[22:23], v[70:71], v[32:33]
	v_mov_b32_e32 v38, s30
	v_fma_f64 v[32:33], -v[20:21], v[90:91], v[32:33]
	s_sub_i32 s31, s6, 19
	ds_read_b64 v[38:39], v38
	v_fma_f64 v[32:33], -v[26:27], v[94:95], v[32:33]
	s_add_i32 s30, s31, s8
	s_waitcnt lgkmcnt(3)
	v_fma_f64 v[34:35], -v[30:31], v[98:99], v[34:35]
	v_fma_f64 v[32:33], -v[24:25], v[104:105], v[32:33]
	s_lshl_b32 s30, s30, 3
	s_waitcnt lgkmcnt(2)
	v_fma_f64 v[34:35], -v[28:29], v[108:109], v[34:35]
	v_fma_f64 v[32:33], -v[30:31], v[96:97], v[32:33]
	v_mov_b32_e32 v36, s30
	s_add_i32 s30, s31, s12
	s_waitcnt lgkmcnt(1)
	v_mul_f64 v[34:35], v[116:117], v[34:35]
	v_fma_f64 v[32:33], -v[28:29], v[106:107], v[32:33]
	s_lshl_b32 s30, s30, 3
	v_fma_f64 v[32:33], -v[34:35], v[114:115], v[32:33]
	v_mov_b32_e32 v40, s30
	s_add_i32 s30, s31, s13
	s_waitcnt lgkmcnt(0)
	v_mul_f64 v[32:33], v[38:39], v[32:33]
	ds_read2_b64 v[36:39], v36 offset1:1
	ds_read2_b64 v[40:43], v40 offset1:1
	s_lshl_b32 s30, s30, 3
	v_mov_b32_e32 v44, s30
	s_add_i32 s30, s31, s15
	s_lshl_b32 s30, s30, 3
	v_mov_b32_e32 v48, s30
	s_add_i32 s30, s31, s14
	s_waitcnt lgkmcnt(1)
	v_fma_f64 v[38:39], -v[2:3], v[38:39], v[56:57]
	s_lshl_b32 s30, s30, 3
	s_waitcnt lgkmcnt(0)
	v_fma_f64 v[38:39], -v[0:1], v[42:43], v[38:39]
	v_mov_b32_e32 v42, s30
	s_add_i32 s30, s31, s17
	s_lshl_b32 s30, s30, 3
	ds_read2_b64 v[44:47], v44 offset1:1
	ds_read2_b64 v[48:51], v48 offset1:1
	;; [unrolled: 1-line block ×3, first 2 shown]
	v_mov_b32_e32 v42, s30
	s_add_i32 s30, s31, s18
	s_lshl_b32 s30, s30, 3
	ds_read2_b64 v[60:63], v42 offset1:1
	v_mov_b32_e32 v42, s30
	s_add_i32 s30, s31, s19
	s_lshl_b32 s30, s30, 3
	v_mov_b32_e32 v43, s30
	s_add_i32 s30, s31, s20
	global_store_dwordx4 v[128:129], v[32:35], off offset:-136
	s_lshl_b32 s30, s30, 3
	ds_read2_b64 v[68:71], v42 offset1:1
	ds_read2_b64 v[78:81], v43 offset1:1
	v_mov_b32_e32 v42, s30
	s_add_i32 s30, s31, s21
	s_waitcnt lgkmcnt(5)
	v_fma_f64 v[38:39], -v[6:7], v[46:47], v[38:39]
	s_lshl_b32 s30, s30, 3
	s_waitcnt lgkmcnt(4)
	v_fma_f64 v[38:39], -v[4:5], v[50:51], v[38:39]
	v_mov_b32_e32 v43, s30
	s_add_i32 s30, s31, s22
	s_waitcnt lgkmcnt(3)
	v_fma_f64 v[38:39], -v[10:11], v[58:59], v[38:39]
	ds_read2_b64 v[82:85], v42 offset1:1
	ds_read2_b64 v[90:93], v43 offset1:1
	s_lshl_b32 s30, s30, 3
	s_waitcnt lgkmcnt(4)
	v_fma_f64 v[38:39], -v[8:9], v[62:63], v[38:39]
	v_mov_b32_e32 v42, s30
	s_add_i32 s30, s31, s23
	s_waitcnt lgkmcnt(3)
	v_fma_f64 v[38:39], -v[14:15], v[70:71], v[38:39]
	s_lshl_b32 s30, s30, 3
	s_waitcnt lgkmcnt(2)
	v_fma_f64 v[38:39], -v[12:13], v[80:81], v[38:39]
	ds_read2_b64 v[70:73], v42 offset1:1
	v_mov_b32_e32 v42, s30
	s_add_i32 s30, s31, s24
	s_waitcnt lgkmcnt(2)
	v_fma_f64 v[38:39], -v[18:19], v[84:85], v[38:39]
	s_lshl_b32 s30, s30, 3
	s_waitcnt lgkmcnt(1)
	v_fma_f64 v[38:39], -v[16:17], v[92:93], v[38:39]
	ds_read2_b64 v[92:95], v42 offset1:1
	v_mov_b32_e32 v42, s30
	s_add_i32 s30, s31, s25
	s_lshl_b32 s30, s30, 3
	v_mov_b32_e32 v43, s30
	s_add_i32 s30, s31, s26
	v_fma_f64 v[36:37], -v[2:3], v[36:37], v[54:55]
	s_lshl_b32 s30, s30, 3
	v_fma_f64 v[36:37], -v[0:1], v[40:41], v[36:37]
	ds_read2_b64 v[96:99], v42 offset1:1
	ds_read2_b64 v[104:107], v43 offset1:1
	v_mov_b32_e32 v42, s30
	s_add_i32 s30, s31, s28
	v_fma_f64 v[36:37], -v[6:7], v[44:45], v[36:37]
	s_lshl_b32 s30, s30, 3
	v_fma_f64 v[36:37], -v[4:5], v[48:49], v[36:37]
	v_mov_b32_e32 v43, s30
	s_add_i32 s30, s31, s27
	v_fma_f64 v[36:37], -v[10:11], v[56:57], v[36:37]
	s_waitcnt lgkmcnt(3)
	v_fma_f64 v[38:39], -v[22:23], v[72:73], v[38:39]
	s_lshl_b32 s30, s30, 3
	s_lshl_b32 s29, s29, 6
	v_fma_f64 v[36:37], -v[8:9], v[60:61], v[36:37]
	ds_read2_b64 v[114:117], v42 offset1:1
	ds_read2_b64 v[118:121], v43 offset1:1
	s_waitcnt lgkmcnt(4)
	v_fma_f64 v[38:39], -v[20:21], v[94:95], v[38:39]
	v_mov_b32_e32 v42, s30
	s_add_i32 s30, s31, s29
	v_fma_f64 v[36:37], -v[14:15], v[68:69], v[36:37]
	s_waitcnt lgkmcnt(3)
	v_fma_f64 v[38:39], -v[26:27], v[98:99], v[38:39]
	s_lshl_b32 s30, s30, 3
	v_fma_f64 v[36:37], -v[12:13], v[78:79], v[36:37]
	s_waitcnt lgkmcnt(2)
	v_fma_f64 v[38:39], -v[24:25], v[106:107], v[38:39]
	ds_read2_b64 v[106:109], v42 offset1:1
	v_mov_b32_e32 v42, s30
	s_add_i32 s30, s8, 0xfffffb80
	v_fma_f64 v[36:37], -v[18:19], v[82:83], v[36:37]
	s_add_i32 s34, s31, s30
	v_fma_f64 v[36:37], -v[16:17], v[90:91], v[36:37]
	s_lshl_b32 s34, s34, 3
	v_fma_f64 v[36:37], -v[22:23], v[70:71], v[36:37]
	ds_read2_b64 v[132:135], v42 offset1:1
	v_mov_b32_e32 v42, s34
	v_fma_f64 v[36:37], -v[20:21], v[92:93], v[36:37]
	ds_read2_b64 v[136:139], v42 offset1:1
	s_add_i32 s34, s7, 0xffffd968
	v_fma_f64 v[36:37], -v[26:27], v[96:97], v[36:37]
	s_waitcnt lgkmcnt(4)
	v_fma_f64 v[38:39], -v[30:31], v[116:117], v[38:39]
	v_mov_b32_e32 v42, s34
	v_fma_f64 v[36:37], -v[24:25], v[104:105], v[36:37]
	s_waitcnt lgkmcnt(3)
	v_fma_f64 v[38:39], -v[28:29], v[120:121], v[38:39]
	ds_read_b64 v[42:43], v42
	v_fma_f64 v[36:37], -v[30:31], v[114:115], v[36:37]
	s_waitcnt lgkmcnt(3)
	v_fma_f64 v[38:39], -v[34:35], v[108:109], v[38:39]
	v_fma_f64 v[36:37], -v[28:29], v[118:119], v[36:37]
	s_sub_i32 s35, s6, 21
	s_waitcnt lgkmcnt(2)
	v_fma_f64 v[38:39], -v[32:33], v[134:135], v[38:39]
	v_fma_f64 v[36:37], -v[34:35], v[106:107], v[36:37]
	s_add_i32 s34, s35, s8
	s_waitcnt lgkmcnt(1)
	v_mul_f64 v[38:39], v[138:139], v[38:39]
	v_fma_f64 v[36:37], -v[32:33], v[132:133], v[36:37]
	s_lshl_b32 s34, s34, 3
	v_fma_f64 v[36:37], -v[38:39], v[136:137], v[36:37]
	v_mov_b32_e32 v40, s34
	s_add_i32 s34, s35, s12
	s_waitcnt lgkmcnt(0)
	v_mul_f64 v[36:37], v[42:43], v[36:37]
	ds_read2_b64 v[40:43], v40 offset1:1
	s_lshl_b32 s34, s34, 3
	v_mov_b32_e32 v44, s34
	ds_read2_b64 v[44:47], v44 offset1:1
	s_add_i32 s34, s35, s13
	s_lshl_b32 s34, s34, 3
	v_mov_b32_e32 v48, s34
	s_add_i32 s34, s35, s15
	s_lshl_b32 s34, s34, 3
	s_waitcnt lgkmcnt(1)
	v_fma_f64 v[42:43], -v[2:3], v[42:43], v[52:53]
	v_mov_b32_e32 v52, s34
	s_add_i32 s34, s35, s14
	s_lshl_b32 s34, s34, 3
	v_mov_b32_e32 v56, s34
	s_add_i32 s34, s35, s17
	s_lshl_b32 s34, s34, 3
	v_mov_b32_e32 v60, s34
	s_add_i32 s34, s35, s18
	global_store_dwordx4 v[128:129], v[36:39], off offset:-152
	s_lshl_b32 s34, s34, 3
	ds_read2_b64 v[48:51], v48 offset1:1
	ds_read2_b64 v[52:55], v52 offset1:1
	s_waitcnt lgkmcnt(2)
	v_fma_f64 v[42:43], -v[0:1], v[46:47], v[42:43]
	v_mov_b32_e32 v46, s34
	s_add_i32 s34, s35, s19
	s_lshl_b32 s34, s34, 3
	ds_read2_b64 v[56:59], v56 offset1:1
	ds_read2_b64 v[60:63], v60 offset1:1
	;; [unrolled: 1-line block ×3, first 2 shown]
	v_mov_b32_e32 v46, s34
	s_add_i32 s34, s35, s20
	s_lshl_b32 s34, s34, 3
	s_waitcnt lgkmcnt(4)
	v_fma_f64 v[42:43], -v[6:7], v[50:51], v[42:43]
	ds_read2_b64 v[78:81], v46 offset1:1
	v_mov_b32_e32 v46, s34
	s_add_i32 s34, s35, s21
	s_waitcnt lgkmcnt(4)
	v_fma_f64 v[42:43], -v[4:5], v[54:55], v[42:43]
	s_lshl_b32 s34, s34, 3
	s_waitcnt lgkmcnt(3)
	v_fma_f64 v[42:43], -v[10:11], v[58:59], v[42:43]
	v_mov_b32_e32 v47, s34
	s_add_i32 s34, s35, s22
	s_waitcnt lgkmcnt(2)
	v_fma_f64 v[42:43], -v[8:9], v[62:63], v[42:43]
	s_lshl_b32 s34, s34, 3
	s_waitcnt lgkmcnt(1)
	v_fma_f64 v[42:43], -v[14:15], v[70:71], v[42:43]
	ds_read2_b64 v[70:73], v46 offset1:1
	ds_read2_b64 v[82:85], v47 offset1:1
	v_mov_b32_e32 v46, s34
	s_add_i32 s34, s35, s23
	s_lshl_b32 s34, s34, 3
	v_mov_b32_e32 v47, s34
	ds_read2_b64 v[90:93], v46 offset1:1
	ds_read2_b64 v[94:97], v47 offset1:1
	s_waitcnt lgkmcnt(4)
	v_fma_f64 v[42:43], -v[12:13], v[80:81], v[42:43]
	s_add_i32 s34, s35, s24
	s_waitcnt lgkmcnt(3)
	v_fma_f64 v[42:43], -v[18:19], v[72:73], v[42:43]
	s_lshl_b32 s34, s34, 3
	s_waitcnt lgkmcnt(2)
	v_fma_f64 v[42:43], -v[16:17], v[84:85], v[42:43]
	v_mov_b32_e32 v46, s34
	s_add_i32 s34, s35, s25
	s_waitcnt lgkmcnt(1)
	v_fma_f64 v[42:43], -v[22:23], v[92:93], v[42:43]
	s_lshl_b32 s34, s34, 3
	s_waitcnt lgkmcnt(0)
	v_fma_f64 v[42:43], -v[20:21], v[96:97], v[42:43]
	ds_read2_b64 v[96:99], v46 offset1:1
	v_mov_b32_e32 v46, s34
	s_add_i32 s34, s35, s26
	s_lshl_b32 s34, s34, 3
	ds_read2_b64 v[104:107], v46 offset1:1
	v_mov_b32_e32 v46, s34
	s_add_i32 s34, s35, s28
	s_lshl_b32 s34, s34, 3
	v_mov_b32_e32 v47, s34
	s_add_i32 s34, s35, s27
	s_lshl_b32 s34, s34, 3
	ds_read2_b64 v[114:117], v46 offset1:1
	ds_read2_b64 v[118:121], v47 offset1:1
	v_mov_b32_e32 v46, s34
	s_add_i32 s34, s35, s29
	s_lshl_b32 s34, s34, 3
	v_mov_b32_e32 v47, s34
	s_add_i32 s34, s35, s30
	s_lshl_b32 s34, s34, 3
	s_lshl_b32 s31, s31, 6
	v_fma_f64 v[40:41], -v[2:3], v[40:41], v[66:67]
	s_waitcnt lgkmcnt(3)
	v_fma_f64 v[42:43], -v[26:27], v[98:99], v[42:43]
	ds_read2_b64 v[132:135], v46 offset1:1
	ds_read2_b64 v[136:139], v47 offset1:1
	v_mov_b32_e32 v46, s34
	s_add_i32 s34, s35, s31
	v_fma_f64 v[40:41], -v[0:1], v[44:45], v[40:41]
	s_waitcnt lgkmcnt(4)
	v_fma_f64 v[42:43], -v[24:25], v[106:107], v[42:43]
	s_lshl_b32 s34, s34, 3
	v_fma_f64 v[40:41], -v[6:7], v[48:49], v[40:41]
	s_waitcnt lgkmcnt(3)
	v_fma_f64 v[42:43], -v[30:31], v[116:117], v[42:43]
	ds_read2_b64 v[106:109], v46 offset1:1
	v_mov_b32_e32 v46, s34
	s_add_i32 s34, s8, 0xfffffb00
	v_fma_f64 v[40:41], -v[4:5], v[52:53], v[40:41]
	s_waitcnt lgkmcnt(3)
	v_fma_f64 v[42:43], -v[28:29], v[120:121], v[42:43]
	s_add_i32 s36, s35, s34
	v_fma_f64 v[40:41], -v[10:11], v[56:57], v[40:41]
	s_waitcnt lgkmcnt(2)
	v_fma_f64 v[42:43], -v[34:35], v[134:135], v[42:43]
	s_lshl_b32 s36, s36, 3
	v_fma_f64 v[40:41], -v[8:9], v[60:61], v[40:41]
	s_waitcnt lgkmcnt(1)
	v_fma_f64 v[42:43], -v[32:33], v[138:139], v[42:43]
	ds_read2_b64 v[138:141], v46 offset1:1
	v_mov_b32_e32 v46, s36
	s_add_i32 s36, s7, 0xffffd558
	v_fma_f64 v[40:41], -v[14:15], v[68:69], v[40:41]
	s_sub_i32 s37, s6, 23
	ds_read2_b64 v[142:145], v46 offset1:1
	v_mov_b32_e32 v46, s36
	v_fma_f64 v[40:41], -v[12:13], v[78:79], v[40:41]
	s_add_i32 s36, s37, s8
	v_fma_f64 v[40:41], -v[18:19], v[70:71], v[40:41]
	s_lshl_b32 s36, s36, 3
	v_fma_f64 v[40:41], -v[16:17], v[82:83], v[40:41]
	v_mov_b32_e32 v44, s36
	s_add_i32 s36, s37, s12
	v_fma_f64 v[40:41], -v[22:23], v[90:91], v[40:41]
	s_lshl_b32 s36, s36, 3
	v_fma_f64 v[40:41], -v[20:21], v[94:95], v[40:41]
	v_mov_b32_e32 v48, s36
	ds_read_b64 v[54:55], v46
	v_fma_f64 v[40:41], -v[26:27], v[96:97], v[40:41]
	ds_read2_b64 v[44:47], v44 offset1:1
	ds_read2_b64 v[48:51], v48 offset1:1
	v_fma_f64 v[40:41], -v[24:25], v[104:105], v[40:41]
	v_fma_f64 v[40:41], -v[30:31], v[114:115], v[40:41]
	;; [unrolled: 1-line block ×3, first 2 shown]
	s_add_i32 s36, s37, s13
	v_fma_f64 v[40:41], -v[34:35], v[132:133], v[40:41]
	s_waitcnt lgkmcnt(1)
	v_fma_f64 v[46:47], -v[2:3], v[46:47], v[64:65]
	s_lshl_b32 s36, s36, 3
	v_fma_f64 v[42:43], -v[38:39], v[108:109], v[42:43]
	v_fma_f64 v[40:41], -v[32:33], v[136:137], v[40:41]
	s_waitcnt lgkmcnt(0)
	v_fma_f64 v[46:47], -v[0:1], v[50:51], v[46:47]
	v_mov_b32_e32 v50, s36
	v_fma_f64 v[42:43], -v[36:37], v[140:141], v[42:43]
	v_fma_f64 v[40:41], -v[38:39], v[106:107], v[40:41]
	ds_read2_b64 v[50:53], v50 offset1:1
	v_mul_f64 v[42:43], v[144:145], v[42:43]
	v_fma_f64 v[40:41], -v[36:37], v[138:139], v[40:41]
	s_add_i32 s36, s37, s15
	v_fma_f64 v[40:41], -v[42:43], v[142:143], v[40:41]
	s_lshl_b32 s36, s36, 3
	v_mul_f64 v[40:41], v[54:55], v[40:41]
	v_mov_b32_e32 v54, s36
	ds_read2_b64 v[54:57], v54 offset1:1
	s_add_i32 s36, s37, s14
	s_lshl_b32 s36, s36, 3
	s_waitcnt lgkmcnt(1)
	v_fma_f64 v[46:47], -v[6:7], v[52:53], v[46:47]
	v_mov_b32_e32 v52, s36
	s_add_i32 s36, s37, s17
	s_lshl_b32 s36, s36, 3
	v_mov_b32_e32 v53, s36
	s_add_i32 s36, s37, s18
	global_store_dwordx4 v[128:129], v[40:43], off offset:-168
	s_lshl_b32 s36, s36, 3
	ds_read2_b64 v[58:61], v52 offset1:1
	ds_read2_b64 v[62:65], v53 offset1:1
	v_mov_b32_e32 v52, s36
	s_add_i32 s36, s37, s19
	s_lshl_b32 s36, s36, 3
	v_mov_b32_e32 v53, s36
	s_add_i32 s36, s37, s20
	s_lshl_b32 s36, s36, 3
	ds_read2_b64 v[66:69], v52 offset1:1
	ds_read2_b64 v[70:73], v53 offset1:1
	v_mov_b32_e32 v52, s36
	s_add_i32 s36, s37, s21
	s_lshl_b32 s36, s36, 3
	ds_read2_b64 v[78:81], v52 offset1:1
	v_mov_b32_e32 v52, s36
	s_add_i32 s36, s37, s22
	s_lshl_b32 s36, s36, 3
	ds_read2_b64 v[82:85], v52 offset1:1
	v_mov_b32_e32 v52, s36
	s_add_i32 s36, s37, s23
	s_lshl_b32 s36, s36, 3
	s_waitcnt lgkmcnt(6)
	v_fma_f64 v[46:47], -v[4:5], v[56:57], v[46:47]
	v_mov_b32_e32 v53, s36
	s_add_i32 s36, s37, s24
	s_waitcnt lgkmcnt(5)
	v_fma_f64 v[46:47], -v[10:11], v[60:61], v[46:47]
	s_lshl_b32 s36, s36, 3
	s_waitcnt lgkmcnt(4)
	v_fma_f64 v[46:47], -v[8:9], v[64:65], v[46:47]
	ds_read2_b64 v[90:93], v52 offset1:1
	ds_read2_b64 v[94:97], v53 offset1:1
	v_mov_b32_e32 v52, s36
	s_add_i32 s36, s37, s25
	s_waitcnt lgkmcnt(5)
	v_fma_f64 v[46:47], -v[14:15], v[68:69], v[46:47]
	s_lshl_b32 s36, s36, 3
	s_waitcnt lgkmcnt(4)
	v_fma_f64 v[46:47], -v[12:13], v[72:73], v[46:47]
	v_mov_b32_e32 v53, s36
	s_add_i32 s36, s37, s26
	s_waitcnt lgkmcnt(3)
	v_fma_f64 v[46:47], -v[18:19], v[80:81], v[46:47]
	s_lshl_b32 s36, s36, 3
	ds_read2_b64 v[104:107], v52 offset1:1
	ds_read2_b64 v[114:117], v53 offset1:1
	s_waitcnt lgkmcnt(4)
	v_fma_f64 v[46:47], -v[16:17], v[84:85], v[46:47]
	v_mov_b32_e32 v52, s36
	s_add_i32 s36, s37, s28
	s_waitcnt lgkmcnt(3)
	v_fma_f64 v[46:47], -v[22:23], v[92:93], v[46:47]
	s_lshl_b32 s36, s36, 3
	s_waitcnt lgkmcnt(2)
	v_fma_f64 v[46:47], -v[20:21], v[96:97], v[46:47]
	ds_read2_b64 v[96:99], v52 offset1:1
	v_mov_b32_e32 v52, s36
	s_add_i32 s36, s37, s27
	s_lshl_b32 s36, s36, 3
	v_fma_f64 v[44:45], -v[2:3], v[44:45], v[76:77]
	s_waitcnt lgkmcnt(2)
	v_fma_f64 v[46:47], -v[26:27], v[106:107], v[46:47]
	ds_read2_b64 v[106:109], v52 offset1:1
	v_mov_b32_e32 v52, s36
	s_add_i32 s36, s37, s29
	v_fma_f64 v[44:45], -v[0:1], v[48:49], v[44:45]
	s_lshl_b32 s36, s36, 3
	v_fma_f64 v[44:45], -v[6:7], v[50:51], v[44:45]
	v_mov_b32_e32 v53, s36
	s_add_i32 s36, s37, s30
	v_fma_f64 v[44:45], -v[4:5], v[54:55], v[44:45]
	s_lshl_b32 s36, s36, 3
	v_fma_f64 v[44:45], -v[10:11], v[58:59], v[44:45]
	s_waitcnt lgkmcnt(2)
	v_fma_f64 v[46:47], -v[24:25], v[116:117], v[46:47]
	ds_read2_b64 v[116:119], v52 offset1:1
	ds_read2_b64 v[132:135], v53 offset1:1
	v_mov_b32_e32 v52, s36
	s_add_i32 s36, s37, s31
	v_fma_f64 v[44:45], -v[8:9], v[62:63], v[44:45]
	s_lshl_b32 s36, s36, 3
	v_fma_f64 v[44:45], -v[14:15], v[66:67], v[44:45]
	v_mov_b32_e32 v53, s36
	s_add_i32 s36, s37, s34
	v_fma_f64 v[44:45], -v[12:13], v[70:71], v[44:45]
	s_lshl_b32 s36, s36, 3
	v_fma_f64 v[44:45], -v[18:19], v[78:79], v[44:45]
	ds_read2_b64 v[136:139], v52 offset1:1
	ds_read2_b64 v[140:143], v53 offset1:1
	v_mov_b32_e32 v52, s36
	s_lshl_b32 s36, s35, 6
	v_fma_f64 v[44:45], -v[16:17], v[82:83], v[44:45]
	s_waitcnt lgkmcnt(5)
	v_fma_f64 v[46:47], -v[30:31], v[98:99], v[46:47]
	s_add_i32 s35, s37, s36
	v_fma_f64 v[44:45], -v[22:23], v[90:91], v[44:45]
	s_waitcnt lgkmcnt(4)
	v_fma_f64 v[46:47], -v[28:29], v[108:109], v[46:47]
	s_lshl_b32 s35, s35, 3
	v_fma_f64 v[44:45], -v[20:21], v[94:95], v[44:45]
	s_waitcnt lgkmcnt(3)
	v_fma_f64 v[46:47], -v[34:35], v[118:119], v[46:47]
	ds_read2_b64 v[118:121], v52 offset1:1
	v_mov_b32_e32 v52, s35
	s_add_i32 s35, s8, 0xfffffa80
	v_fma_f64 v[44:45], -v[26:27], v[104:105], v[44:45]
	s_waitcnt lgkmcnt(3)
	v_fma_f64 v[46:47], -v[32:33], v[134:135], v[46:47]
	s_add_i32 s38, s37, s35
	v_fma_f64 v[44:45], -v[24:25], v[114:115], v[44:45]
	s_waitcnt lgkmcnt(2)
	v_fma_f64 v[46:47], -v[38:39], v[138:139], v[46:47]
	s_lshl_b32 s38, s38, 3
	v_fma_f64 v[44:45], -v[30:31], v[96:97], v[44:45]
	s_waitcnt lgkmcnt(1)
	v_fma_f64 v[46:47], -v[36:37], v[142:143], v[46:47]
	ds_read2_b64 v[142:145], v52 offset1:1
	v_mov_b32_e32 v52, s38
	v_fma_f64 v[44:45], -v[28:29], v[106:107], v[44:45]
	ds_read2_b64 v[146:149], v52 offset1:1
	s_add_i32 s38, s7, 0xffffd148
	v_fma_f64 v[44:45], -v[34:35], v[116:117], v[44:45]
	v_mov_b32_e32 v52, s38
	v_fma_f64 v[44:45], -v[32:33], v[132:133], v[44:45]
	ds_read_b64 v[52:53], v52
	v_fma_f64 v[44:45], -v[38:39], v[136:137], v[44:45]
	s_sub_i32 s39, s6, 25
	s_waitcnt lgkmcnt(3)
	v_fma_f64 v[46:47], -v[42:43], v[120:121], v[46:47]
	v_fma_f64 v[44:45], -v[36:37], v[140:141], v[44:45]
	s_add_i32 s38, s39, s8
	s_waitcnt lgkmcnt(2)
	v_fma_f64 v[46:47], -v[40:41], v[144:145], v[46:47]
	v_fma_f64 v[44:45], -v[42:43], v[118:119], v[44:45]
	s_lshl_b32 s38, s38, 3
	s_waitcnt lgkmcnt(1)
	v_mul_f64 v[46:47], v[148:149], v[46:47]
	v_fma_f64 v[44:45], -v[40:41], v[142:143], v[44:45]
	v_mov_b32_e32 v48, s38
	s_add_i32 s38, s39, s12
	v_fma_f64 v[44:45], -v[46:47], v[146:147], v[44:45]
	s_lshl_b32 s38, s38, 3
	s_waitcnt lgkmcnt(0)
	v_mul_f64 v[44:45], v[52:53], v[44:45]
	v_mov_b32_e32 v52, s38
	s_add_i32 s38, s39, s13
	s_lshl_b32 s38, s38, 3
	v_mov_b32_e32 v56, s38
	s_add_i32 s38, s39, s15
	ds_read2_b64 v[48:51], v48 offset1:1
	ds_read2_b64 v[52:55], v52 offset1:1
	s_lshl_b32 s38, s38, 3
	v_mov_b32_e32 v60, s38
	ds_read2_b64 v[56:59], v56 offset1:1
	ds_read2_b64 v[60:63], v60 offset1:1
	s_add_i32 s38, s39, s14
	s_waitcnt lgkmcnt(3)
	v_fma_f64 v[50:51], -v[2:3], v[50:51], v[74:75]
	s_lshl_b32 s38, s38, 3
	s_waitcnt lgkmcnt(2)
	v_fma_f64 v[50:51], -v[0:1], v[54:55], v[50:51]
	v_mov_b32_e32 v54, s38
	s_add_i32 s38, s39, s17
	s_waitcnt lgkmcnt(1)
	v_fma_f64 v[50:51], -v[6:7], v[58:59], v[50:51]
	s_lshl_b32 s38, s38, 3
	s_waitcnt lgkmcnt(0)
	v_fma_f64 v[50:51], -v[4:5], v[62:63], v[50:51]
	ds_read2_b64 v[62:65], v54 offset1:1
	v_mov_b32_e32 v54, s38
	s_add_i32 s38, s39, s18
	s_lshl_b32 s38, s38, 3
	ds_read2_b64 v[66:69], v54 offset1:1
	v_mov_b32_e32 v54, s38
	s_add_i32 s38, s39, s19
	s_lshl_b32 s38, s38, 3
	v_mov_b32_e32 v55, s38
	s_add_i32 s38, s39, s20
	global_store_dwordx4 v[128:129], v[44:47], off offset:-184
	s_lshl_b32 s38, s38, 3
	ds_read2_b64 v[70:73], v54 offset1:1
	ds_read2_b64 v[74:77], v55 offset1:1
	v_mov_b32_e32 v54, s38
	s_add_i32 s38, s39, s21
	s_lshl_b32 s38, s38, 3
	v_mov_b32_e32 v55, s38
	s_add_i32 s38, s39, s22
	s_lshl_b32 s38, s38, 3
	ds_read2_b64 v[78:81], v54 offset1:1
	ds_read2_b64 v[82:85], v55 offset1:1
	v_mov_b32_e32 v54, s38
	s_add_i32 s38, s39, s23
	s_lshl_b32 s38, s38, 3
	ds_read2_b64 v[90:93], v54 offset1:1
	v_mov_b32_e32 v54, s38
	s_add_i32 s38, s39, s24
	s_lshl_b32 s38, s38, 3
	;; [unrolled: 4-line block ×3, first 2 shown]
	v_mov_b32_e32 v55, s38
	s_add_i32 s38, s39, s26
	s_waitcnt lgkmcnt(7)
	v_fma_f64 v[50:51], -v[10:11], v[64:65], v[50:51]
	s_lshl_b32 s38, s38, 3
	s_waitcnt lgkmcnt(6)
	v_fma_f64 v[50:51], -v[8:9], v[68:69], v[50:51]
	ds_read2_b64 v[104:107], v54 offset1:1
	ds_read2_b64 v[114:117], v55 offset1:1
	v_mov_b32_e32 v54, s38
	s_add_i32 s38, s39, s28
	s_waitcnt lgkmcnt(7)
	v_fma_f64 v[50:51], -v[14:15], v[72:73], v[50:51]
	s_lshl_b32 s38, s38, 3
	s_waitcnt lgkmcnt(6)
	v_fma_f64 v[50:51], -v[12:13], v[76:77], v[50:51]
	v_mov_b32_e32 v55, s38
	s_add_i32 s38, s39, s27
	s_waitcnt lgkmcnt(5)
	v_fma_f64 v[50:51], -v[18:19], v[80:81], v[50:51]
	s_lshl_b32 s38, s38, 3
	s_waitcnt lgkmcnt(4)
	v_fma_f64 v[50:51], -v[16:17], v[84:85], v[50:51]
	ds_read2_b64 v[118:121], v54 offset1:1
	ds_read2_b64 v[132:135], v55 offset1:1
	v_mov_b32_e32 v54, s38
	s_add_i32 s38, s39, s29
	s_waitcnt lgkmcnt(5)
	v_fma_f64 v[50:51], -v[22:23], v[92:93], v[50:51]
	s_lshl_b32 s38, s38, 3
	s_waitcnt lgkmcnt(4)
	v_fma_f64 v[50:51], -v[20:21], v[96:97], v[50:51]
	ds_read2_b64 v[96:99], v54 offset1:1
	v_mov_b32_e32 v54, s38
	s_add_i32 s38, s39, s30
	v_fma_f64 v[48:49], -v[2:3], v[48:49], v[88:89]
	s_lshl_b32 s38, s38, 3
	v_fma_f64 v[48:49], -v[0:1], v[52:53], v[48:49]
	s_waitcnt lgkmcnt(4)
	v_fma_f64 v[50:51], -v[26:27], v[106:107], v[50:51]
	ds_read2_b64 v[106:109], v54 offset1:1
	v_mov_b32_e32 v54, s38
	s_add_i32 s38, s39, s31
	v_fma_f64 v[48:49], -v[6:7], v[56:57], v[48:49]
	s_lshl_b32 s38, s38, 3
	v_fma_f64 v[48:49], -v[4:5], v[60:61], v[48:49]
	s_waitcnt lgkmcnt(4)
	v_fma_f64 v[50:51], -v[24:25], v[116:117], v[50:51]
	v_mov_b32_e32 v55, s38
	s_add_i32 s38, s39, s34
	v_fma_f64 v[48:49], -v[10:11], v[62:63], v[48:49]
	s_waitcnt lgkmcnt(3)
	v_fma_f64 v[50:51], -v[30:31], v[120:121], v[50:51]
	s_lshl_b32 s38, s38, 3
	v_fma_f64 v[48:49], -v[8:9], v[66:67], v[48:49]
	s_waitcnt lgkmcnt(2)
	v_fma_f64 v[50:51], -v[28:29], v[134:135], v[50:51]
	ds_read2_b64 v[134:137], v54 offset1:1
	ds_read2_b64 v[138:141], v55 offset1:1
	v_mov_b32_e32 v54, s38
	s_add_i32 s38, s39, s36
	v_fma_f64 v[48:49], -v[14:15], v[70:71], v[48:49]
	s_lshl_b32 s38, s38, 3
	v_fma_f64 v[48:49], -v[12:13], v[74:75], v[48:49]
	s_waitcnt lgkmcnt(3)
	v_fma_f64 v[50:51], -v[34:35], v[98:99], v[50:51]
	v_mov_b32_e32 v55, s38
	ds_read2_b64 v[142:145], v54 offset1:1
	ds_read2_b64 v[146:149], v55 offset1:1
	v_fma_f64 v[48:49], -v[18:19], v[78:79], v[48:49]
	s_waitcnt lgkmcnt(4)
	v_fma_f64 v[50:51], -v[32:33], v[108:109], v[50:51]
	s_add_i32 s38, s39, s35
	v_fma_f64 v[48:49], -v[16:17], v[82:83], v[48:49]
	s_waitcnt lgkmcnt(3)
	v_fma_f64 v[50:51], -v[38:39], v[136:137], v[50:51]
	s_lshl_b32 s38, s38, 3
	s_lshl_b32 s37, s37, 6
	v_fma_f64 v[48:49], -v[22:23], v[90:91], v[48:49]
	s_waitcnt lgkmcnt(2)
	v_fma_f64 v[50:51], -v[36:37], v[140:141], v[50:51]
	v_mov_b32_e32 v54, s38
	s_add_i32 s38, s39, s37
	v_fma_f64 v[48:49], -v[20:21], v[94:95], v[48:49]
	s_waitcnt lgkmcnt(1)
	v_fma_f64 v[50:51], -v[42:43], v[144:145], v[50:51]
	s_lshl_b32 s38, s38, 3
	v_fma_f64 v[48:49], -v[26:27], v[104:105], v[48:49]
	s_waitcnt lgkmcnt(0)
	v_fma_f64 v[50:51], -v[40:41], v[148:149], v[50:51]
	ds_read2_b64 v[148:151], v54 offset1:1
	v_mov_b32_e32 v54, s38
	s_add_i32 s38, s8, 0xfffffa00
	v_fma_f64 v[48:49], -v[24:25], v[114:115], v[48:49]
	s_add_i32 s40, s39, s38
	v_fma_f64 v[48:49], -v[30:31], v[118:119], v[48:49]
	s_lshl_b32 s40, s40, 3
	v_fma_f64 v[48:49], -v[28:29], v[132:133], v[48:49]
	ds_read2_b64 v[152:155], v54 offset1:1
	v_mov_b32_e32 v54, s40
	s_add_i32 s40, s7, 0xffffcd38
	v_fma_f64 v[48:49], -v[34:35], v[96:97], v[48:49]
	s_sub_i32 s42, s6, 27
	ds_read2_b64 v[156:159], v54 offset1:1
	v_mov_b32_e32 v54, s40
	v_fma_f64 v[48:49], -v[32:33], v[106:107], v[48:49]
	s_add_i32 s40, s42, s8
	v_fma_f64 v[48:49], -v[38:39], v[134:135], v[48:49]
	s_lshl_b32 s40, s40, 3
	v_fma_f64 v[48:49], -v[36:37], v[138:139], v[48:49]
	v_mov_b32_e32 v52, s40
	s_add_i32 s40, s42, s12
	ds_read_b64 v[54:55], v54
	v_fma_f64 v[48:49], -v[42:43], v[142:143], v[48:49]
	s_lshl_b32 s40, s40, 3
	s_waitcnt lgkmcnt(3)
	v_fma_f64 v[50:51], -v[46:47], v[150:151], v[50:51]
	v_fma_f64 v[48:49], -v[40:41], v[146:147], v[48:49]
	v_mov_b32_e32 v56, s40
	s_add_i32 s40, s42, s13
	s_waitcnt lgkmcnt(2)
	v_fma_f64 v[50:51], -v[44:45], v[154:155], v[50:51]
	v_fma_f64 v[48:49], -v[46:47], v[148:149], v[48:49]
	s_lshl_b32 s40, s40, 3
	s_waitcnt lgkmcnt(1)
	v_mul_f64 v[50:51], v[158:159], v[50:51]
	v_fma_f64 v[48:49], -v[44:45], v[152:153], v[48:49]
	v_mov_b32_e32 v60, s40
	s_add_i32 s40, s42, s15
	v_fma_f64 v[48:49], -v[50:51], v[156:157], v[48:49]
	s_lshl_b32 s40, s40, 3
	s_waitcnt lgkmcnt(0)
	v_mul_f64 v[48:49], v[54:55], v[48:49]
	ds_read2_b64 v[52:55], v52 offset1:1
	ds_read2_b64 v[56:59], v56 offset1:1
	v_mov_b32_e32 v64, s40
	s_add_i32 s40, s42, s14
	s_lshl_b32 s40, s40, 3
	global_store_dwordx4 v[128:129], v[48:51], off offset:-200
	v_mov_b32_e32 v68, s40
	s_add_i32 s40, s42, s17
	ds_read2_b64 v[60:63], v60 offset1:1
	ds_read2_b64 v[64:67], v64 offset1:1
	s_lshl_b32 s40, s40, 3
	v_mov_b32_e32 v72, s40
	s_waitcnt lgkmcnt(3)
	v_fma_f64 v[54:55], -v[2:3], v[54:55], v[86:87]
	ds_read2_b64 v[68:71], v68 offset1:1
	ds_read2_b64 v[72:75], v72 offset1:1
	s_waitcnt lgkmcnt(4)
	v_fma_f64 v[54:55], -v[0:1], v[58:59], v[54:55]
	s_add_i32 s40, s42, s18
	s_waitcnt lgkmcnt(3)
	v_fma_f64 v[54:55], -v[6:7], v[62:63], v[54:55]
	s_lshl_b32 s40, s40, 3
	s_waitcnt lgkmcnt(2)
	v_fma_f64 v[54:55], -v[4:5], v[66:67], v[54:55]
	v_mov_b32_e32 v58, s40
	s_add_i32 s40, s42, s19
	s_waitcnt lgkmcnt(1)
	v_fma_f64 v[54:55], -v[10:11], v[70:71], v[54:55]
	s_lshl_b32 s40, s40, 3
	s_waitcnt lgkmcnt(0)
	v_fma_f64 v[54:55], -v[8:9], v[74:75], v[54:55]
	ds_read2_b64 v[74:77], v58 offset1:1
	v_mov_b32_e32 v58, s40
	s_add_i32 s40, s42, s20
	s_lshl_b32 s40, s40, 3
	ds_read2_b64 v[78:81], v58 offset1:1
	v_mov_b32_e32 v58, s40
	s_add_i32 s40, s42, s21
	s_lshl_b32 s40, s40, 3
	v_mov_b32_e32 v59, s40
	s_add_i32 s40, s42, s22
	s_lshl_b32 s40, s40, 3
	ds_read2_b64 v[82:85], v58 offset1:1
	ds_read2_b64 v[86:89], v59 offset1:1
	v_mov_b32_e32 v58, s40
	s_add_i32 s40, s42, s23
	s_lshl_b32 s40, s40, 3
	s_waitcnt lgkmcnt(3)
	v_fma_f64 v[54:55], -v[14:15], v[76:77], v[54:55]
	v_mov_b32_e32 v59, s40
	ds_read2_b64 v[90:93], v58 offset1:1
	ds_read2_b64 v[94:97], v59 offset1:1
	s_waitcnt lgkmcnt(4)
	v_fma_f64 v[54:55], -v[12:13], v[80:81], v[54:55]
	s_add_i32 s40, s42, s24
	s_waitcnt lgkmcnt(3)
	v_fma_f64 v[54:55], -v[18:19], v[84:85], v[54:55]
	s_lshl_b32 s40, s40, 3
	s_waitcnt lgkmcnt(2)
	v_fma_f64 v[54:55], -v[16:17], v[88:89], v[54:55]
	v_mov_b32_e32 v58, s40
	s_add_i32 s40, s42, s25
	s_waitcnt lgkmcnt(1)
	v_fma_f64 v[54:55], -v[22:23], v[92:93], v[54:55]
	s_lshl_b32 s40, s40, 3
	s_waitcnt lgkmcnt(0)
	v_fma_f64 v[54:55], -v[20:21], v[96:97], v[54:55]
	ds_read2_b64 v[96:99], v58 offset1:1
	v_mov_b32_e32 v58, s40
	s_add_i32 s40, s42, s26
	s_lshl_b32 s40, s40, 3
	ds_read2_b64 v[104:107], v58 offset1:1
	v_mov_b32_e32 v58, s40
	s_add_i32 s40, s42, s28
	s_lshl_b32 s40, s40, 3
	v_mov_b32_e32 v59, s40
	s_add_i32 s40, s42, s27
	s_lshl_b32 s40, s40, 3
	ds_read2_b64 v[114:117], v58 offset1:1
	ds_read2_b64 v[118:121], v59 offset1:1
	v_mov_b32_e32 v58, s40
	s_add_i32 s40, s42, s29
	s_lshl_b32 s40, s40, 3
	v_mov_b32_e32 v59, s40
	s_add_i32 s40, s42, s30
	s_waitcnt lgkmcnt(3)
	v_fma_f64 v[54:55], -v[26:27], v[98:99], v[54:55]
	ds_read2_b64 v[132:135], v58 offset1:1
	ds_read2_b64 v[136:139], v59 offset1:1
	s_lshl_b32 s40, s40, 3
	s_waitcnt lgkmcnt(4)
	v_fma_f64 v[54:55], -v[24:25], v[106:107], v[54:55]
	v_mov_b32_e32 v58, s40
	s_add_i32 s40, s42, s31
	s_waitcnt lgkmcnt(3)
	v_fma_f64 v[54:55], -v[30:31], v[116:117], v[54:55]
	s_lshl_b32 s40, s40, 3
	s_waitcnt lgkmcnt(2)
	v_fma_f64 v[54:55], -v[28:29], v[120:121], v[54:55]
	ds_read2_b64 v[106:109], v58 offset1:1
	v_mov_b32_e32 v58, s40
	s_add_i32 s40, s42, s34
	s_waitcnt lgkmcnt(2)
	v_fma_f64 v[54:55], -v[34:35], v[134:135], v[54:55]
	s_lshl_b32 s40, s40, 3
	s_waitcnt lgkmcnt(1)
	v_fma_f64 v[54:55], -v[32:33], v[138:139], v[54:55]
	ds_read2_b64 v[138:141], v58 offset1:1
	v_mov_b32_e32 v58, s40
	s_add_i32 s40, s42, s36
	s_lshl_b32 s40, s40, 3
	v_mov_b32_e32 v59, s40
	s_add_i32 s40, s42, s35
	s_lshl_b32 s40, s40, 3
	v_fma_f64 v[52:53], -v[2:3], v[52:53], v[102:103]
	ds_read2_b64 v[142:145], v58 offset1:1
	ds_read2_b64 v[146:149], v59 offset1:1
	v_mov_b32_e32 v58, s40
	s_add_i32 s40, s42, s37
	v_fma_f64 v[52:53], -v[0:1], v[56:57], v[52:53]
	s_lshl_b32 s40, s40, 3
	v_fma_f64 v[52:53], -v[6:7], v[60:61], v[52:53]
	s_waitcnt lgkmcnt(3)
	v_fma_f64 v[54:55], -v[38:39], v[108:109], v[54:55]
	v_mov_b32_e32 v59, s40
	ds_read2_b64 v[150:153], v58 offset1:1
	ds_read2_b64 v[154:157], v59 offset1:1
	v_fma_f64 v[52:53], -v[4:5], v[64:65], v[52:53]
	s_waitcnt lgkmcnt(4)
	v_fma_f64 v[54:55], -v[36:37], v[140:141], v[54:55]
	s_add_i32 s40, s42, s38
	v_fma_f64 v[52:53], -v[10:11], v[68:69], v[52:53]
	s_waitcnt lgkmcnt(3)
	v_fma_f64 v[54:55], -v[42:43], v[144:145], v[54:55]
	s_lshl_b32 s40, s40, 3
	s_lshl_b32 s39, s39, 6
	v_fma_f64 v[52:53], -v[8:9], v[72:73], v[52:53]
	s_waitcnt lgkmcnt(2)
	v_fma_f64 v[54:55], -v[40:41], v[148:149], v[54:55]
	v_mov_b32_e32 v58, s40
	s_add_i32 s40, s42, s39
	v_fma_f64 v[52:53], -v[14:15], v[74:75], v[52:53]
	s_waitcnt lgkmcnt(1)
	v_fma_f64 v[54:55], -v[46:47], v[152:153], v[54:55]
	s_lshl_b32 s40, s40, 3
	v_fma_f64 v[52:53], -v[12:13], v[78:79], v[52:53]
	s_waitcnt lgkmcnt(0)
	v_fma_f64 v[54:55], -v[44:45], v[156:157], v[54:55]
	ds_read2_b64 v[156:159], v58 offset1:1
	v_mov_b32_e32 v58, s40
	s_add_i32 s40, s8, 0xfffff980
	v_fma_f64 v[52:53], -v[18:19], v[82:83], v[52:53]
	s_add_i32 s41, s42, s40
	v_fma_f64 v[52:53], -v[16:17], v[86:87], v[52:53]
	s_lshl_b32 s41, s41, 3
	v_fma_f64 v[52:53], -v[22:23], v[90:91], v[52:53]
	ds_read2_b64 v[160:163], v58 offset1:1
	v_mov_b32_e32 v58, s41
	s_add_i32 s41, s7, 0xffffc928
	v_fma_f64 v[52:53], -v[20:21], v[94:95], v[52:53]
	ds_read2_b64 v[164:167], v58 offset1:1
	v_mov_b32_e32 v58, s41
	v_fma_f64 v[52:53], -v[26:27], v[96:97], v[52:53]
	s_sub_i32 s41, s6, 29
	v_fma_f64 v[52:53], -v[24:25], v[104:105], v[52:53]
	s_add_i32 s43, s41, s8
	v_fma_f64 v[52:53], -v[30:31], v[114:115], v[52:53]
	s_lshl_b32 s43, s43, 3
	v_fma_f64 v[52:53], -v[28:29], v[118:119], v[52:53]
	v_mov_b32_e32 v56, s43
	s_add_i32 s43, s41, s12
	v_fma_f64 v[52:53], -v[34:35], v[132:133], v[52:53]
	s_lshl_b32 s43, s43, 3
	v_fma_f64 v[52:53], -v[32:33], v[136:137], v[52:53]
	v_mov_b32_e32 v60, s43
	ds_read_b64 v[66:67], v58
	v_fma_f64 v[52:53], -v[38:39], v[106:107], v[52:53]
	ds_read2_b64 v[56:59], v56 offset1:1
	ds_read2_b64 v[60:63], v60 offset1:1
	v_fma_f64 v[52:53], -v[36:37], v[138:139], v[52:53]
	v_fma_f64 v[52:53], -v[42:43], v[142:143], v[52:53]
	;; [unrolled: 1-line block ×3, first 2 shown]
	s_add_i32 s43, s41, s13
	v_fma_f64 v[52:53], -v[46:47], v[150:151], v[52:53]
	s_waitcnt lgkmcnt(1)
	v_fma_f64 v[58:59], -v[2:3], v[58:59], v[100:101]
	s_lshl_b32 s43, s43, 3
	v_fma_f64 v[54:55], -v[50:51], v[158:159], v[54:55]
	v_fma_f64 v[52:53], -v[44:45], v[154:155], v[52:53]
	s_waitcnt lgkmcnt(0)
	v_fma_f64 v[58:59], -v[0:1], v[62:63], v[58:59]
	v_mov_b32_e32 v62, s43
	v_fma_f64 v[54:55], -v[48:49], v[162:163], v[54:55]
	v_fma_f64 v[52:53], -v[50:51], v[156:157], v[52:53]
	ds_read2_b64 v[62:65], v62 offset1:1
	v_mul_f64 v[54:55], v[166:167], v[54:55]
	v_fma_f64 v[52:53], -v[48:49], v[160:161], v[52:53]
	s_add_i32 s43, s41, s15
	v_fma_f64 v[52:53], -v[54:55], v[164:165], v[52:53]
	s_lshl_b32 s43, s43, 3
	v_mul_f64 v[52:53], v[66:67], v[52:53]
	v_mov_b32_e32 v66, s43
	ds_read2_b64 v[66:69], v66 offset1:1
	s_add_i32 s43, s41, s14
	s_lshl_b32 s43, s43, 3
	s_waitcnt lgkmcnt(1)
	v_fma_f64 v[58:59], -v[6:7], v[64:65], v[58:59]
	v_mov_b32_e32 v64, s43
	s_add_i32 s43, s41, s17
	s_lshl_b32 s43, s43, 3
	v_mov_b32_e32 v65, s43
	s_add_i32 s43, s41, s18
	global_store_dwordx4 v[128:129], v[52:55], off offset:-216
	s_lshl_b32 s43, s43, 3
	ds_read2_b64 v[70:73], v64 offset1:1
	ds_read2_b64 v[74:77], v65 offset1:1
	v_mov_b32_e32 v64, s43
	s_add_i32 s43, s41, s19
	s_lshl_b32 s43, s43, 3
	v_mov_b32_e32 v65, s43
	ds_read2_b64 v[78:81], v64 offset1:1
	ds_read2_b64 v[82:85], v65 offset1:1
	s_waitcnt lgkmcnt(4)
	v_fma_f64 v[58:59], -v[4:5], v[68:69], v[58:59]
	s_add_i32 s43, s41, s20
	s_waitcnt lgkmcnt(3)
	v_fma_f64 v[58:59], -v[10:11], v[72:73], v[58:59]
	s_lshl_b32 s43, s43, 3
	s_waitcnt lgkmcnt(2)
	v_fma_f64 v[58:59], -v[8:9], v[76:77], v[58:59]
	v_mov_b32_e32 v64, s43
	s_add_i32 s43, s41, s21
	s_waitcnt lgkmcnt(1)
	v_fma_f64 v[58:59], -v[14:15], v[80:81], v[58:59]
	s_lshl_b32 s43, s43, 3
	s_waitcnt lgkmcnt(0)
	v_fma_f64 v[58:59], -v[12:13], v[84:85], v[58:59]
	ds_read2_b64 v[84:87], v64 offset1:1
	v_mov_b32_e32 v64, s43
	s_add_i32 s43, s41, s22
	s_lshl_b32 s43, s43, 3
	ds_read2_b64 v[88:91], v64 offset1:1
	v_mov_b32_e32 v64, s43
	s_add_i32 s43, s41, s23
	s_lshl_b32 s43, s43, 3
	v_mov_b32_e32 v65, s43
	s_add_i32 s43, s41, s24
	s_lshl_b32 s43, s43, 3
	ds_read2_b64 v[92:95], v64 offset1:1
	ds_read2_b64 v[96:99], v65 offset1:1
	v_mov_b32_e32 v64, s43
	s_add_i32 s43, s41, s25
	s_lshl_b32 s43, s43, 3
	s_waitcnt lgkmcnt(3)
	v_fma_f64 v[58:59], -v[18:19], v[86:87], v[58:59]
	v_mov_b32_e32 v65, s43
	ds_read2_b64 v[100:103], v64 offset1:1
	ds_read2_b64 v[104:107], v65 offset1:1
	s_waitcnt lgkmcnt(4)
	v_fma_f64 v[58:59], -v[16:17], v[90:91], v[58:59]
	s_add_i32 s43, s41, s26
	s_waitcnt lgkmcnt(3)
	v_fma_f64 v[58:59], -v[22:23], v[94:95], v[58:59]
	s_lshl_b32 s43, s43, 3
	s_waitcnt lgkmcnt(2)
	v_fma_f64 v[58:59], -v[20:21], v[98:99], v[58:59]
	v_mov_b32_e32 v64, s43
	s_add_i32 s43, s41, s28
	s_waitcnt lgkmcnt(1)
	v_fma_f64 v[58:59], -v[26:27], v[102:103], v[58:59]
	s_lshl_b32 s43, s43, 3
	s_waitcnt lgkmcnt(0)
	v_fma_f64 v[58:59], -v[24:25], v[106:107], v[58:59]
	ds_read2_b64 v[106:109], v64 offset1:1
	v_mov_b32_e32 v64, s43
	s_add_i32 s43, s41, s27
	s_lshl_b32 s43, s43, 3
	ds_read2_b64 v[114:117], v64 offset1:1
	v_mov_b32_e32 v64, s43
	s_add_i32 s43, s41, s29
	s_lshl_b32 s43, s43, 3
	v_mov_b32_e32 v65, s43
	s_add_i32 s43, s41, s30
	s_lshl_b32 s43, s43, 3
	ds_read2_b64 v[118:121], v64 offset1:1
	ds_read2_b64 v[132:135], v65 offset1:1
	v_mov_b32_e32 v64, s43
	s_add_i32 s43, s41, s31
	s_lshl_b32 s43, s43, 3
	s_waitcnt lgkmcnt(3)
	v_fma_f64 v[58:59], -v[30:31], v[108:109], v[58:59]
	v_mov_b32_e32 v65, s43
	ds_read2_b64 v[136:139], v64 offset1:1
	ds_read2_b64 v[140:143], v65 offset1:1
	v_fma_f64 v[56:57], -v[2:3], v[56:57], v[112:113]
	s_waitcnt lgkmcnt(4)
	v_fma_f64 v[58:59], -v[28:29], v[116:117], v[58:59]
	s_add_i32 s43, s41, s34
	v_fma_f64 v[56:57], -v[0:1], v[60:61], v[56:57]
	s_waitcnt lgkmcnt(3)
	v_fma_f64 v[58:59], -v[34:35], v[120:121], v[58:59]
	s_lshl_b32 s43, s43, 3
	v_fma_f64 v[56:57], -v[6:7], v[62:63], v[56:57]
	s_waitcnt lgkmcnt(2)
	v_fma_f64 v[58:59], -v[32:33], v[134:135], v[58:59]
	v_mov_b32_e32 v64, s43
	s_add_i32 s43, s41, s36
	v_fma_f64 v[56:57], -v[4:5], v[66:67], v[56:57]
	s_waitcnt lgkmcnt(1)
	v_fma_f64 v[58:59], -v[38:39], v[138:139], v[58:59]
	s_lshl_b32 s43, s43, 3
	v_fma_f64 v[56:57], -v[10:11], v[70:71], v[56:57]
	s_waitcnt lgkmcnt(0)
	v_fma_f64 v[58:59], -v[36:37], v[142:143], v[58:59]
	ds_read2_b64 v[142:145], v64 offset1:1
	v_mov_b32_e32 v64, s43
	s_add_i32 s43, s41, s35
	v_fma_f64 v[56:57], -v[8:9], v[74:75], v[56:57]
	s_lshl_b32 s43, s43, 3
	v_fma_f64 v[56:57], -v[14:15], v[78:79], v[56:57]
	ds_read2_b64 v[146:149], v64 offset1:1
	v_mov_b32_e32 v64, s43
	s_add_i32 s43, s41, s37
	v_fma_f64 v[56:57], -v[12:13], v[82:83], v[56:57]
	s_lshl_b32 s43, s43, 3
	v_fma_f64 v[56:57], -v[18:19], v[84:85], v[56:57]
	v_mov_b32_e32 v65, s43
	s_add_i32 s43, s41, s38
	v_fma_f64 v[56:57], -v[16:17], v[88:89], v[56:57]
	s_lshl_b32 s43, s43, 3
	v_fma_f64 v[56:57], -v[22:23], v[92:93], v[56:57]
	ds_read2_b64 v[150:153], v64 offset1:1
	ds_read2_b64 v[154:157], v65 offset1:1
	v_mov_b32_e32 v64, s43
	s_add_i32 s43, s41, s39
	v_fma_f64 v[56:57], -v[20:21], v[96:97], v[56:57]
	s_lshl_b32 s43, s43, 3
	v_fma_f64 v[56:57], -v[26:27], v[100:101], v[56:57]
	s_waitcnt lgkmcnt(3)
	v_fma_f64 v[58:59], -v[42:43], v[144:145], v[58:59]
	v_mov_b32_e32 v65, s43
	ds_read2_b64 v[158:161], v64 offset1:1
	ds_read2_b64 v[162:165], v65 offset1:1
	s_add_i32 s43, s41, s40
	v_fma_f64 v[56:57], -v[24:25], v[104:105], v[56:57]
	s_waitcnt lgkmcnt(4)
	v_fma_f64 v[58:59], -v[40:41], v[148:149], v[58:59]
	s_lshl_b32 s43, s43, 3
	v_fma_f64 v[56:57], -v[30:31], v[106:107], v[56:57]
	s_waitcnt lgkmcnt(3)
	v_fma_f64 v[58:59], -v[46:47], v[152:153], v[58:59]
	v_mov_b32_e32 v64, s43
	s_lshl_b32 s43, s42, 6
	v_fma_f64 v[56:57], -v[28:29], v[114:115], v[56:57]
	s_waitcnt lgkmcnt(2)
	v_fma_f64 v[58:59], -v[44:45], v[156:157], v[58:59]
	s_add_i32 s42, s41, s43
	v_fma_f64 v[56:57], -v[34:35], v[118:119], v[56:57]
	s_waitcnt lgkmcnt(1)
	v_fma_f64 v[58:59], -v[50:51], v[160:161], v[58:59]
	s_lshl_b32 s42, s42, 3
	v_fma_f64 v[56:57], -v[32:33], v[132:133], v[56:57]
	s_waitcnt lgkmcnt(0)
	v_fma_f64 v[58:59], -v[48:49], v[164:165], v[58:59]
	ds_read2_b64 v[164:167], v64 offset1:1
	v_mov_b32_e32 v64, s42
	s_add_i32 s42, s8, 0xfffff900
	v_fma_f64 v[56:57], -v[38:39], v[136:137], v[56:57]
	s_add_i32 s44, s41, s42
	v_fma_f64 v[56:57], -v[36:37], v[140:141], v[56:57]
	s_lshl_b32 s44, s44, 3
	v_fma_f64 v[56:57], -v[42:43], v[142:143], v[56:57]
	ds_read2_b64 v[168:171], v64 offset1:1
	v_mov_b32_e32 v64, s44
	v_fma_f64 v[56:57], -v[40:41], v[146:147], v[56:57]
	ds_read2_b64 v[172:175], v64 offset1:1
	s_add_i32 s44, s7, 0xffffc518
	v_fma_f64 v[56:57], -v[46:47], v[150:151], v[56:57]
	v_mov_b32_e32 v64, s44
	v_fma_f64 v[56:57], -v[44:45], v[154:155], v[56:57]
	ds_read_b64 v[64:65], v64
	v_fma_f64 v[56:57], -v[50:51], v[158:159], v[56:57]
	s_waitcnt lgkmcnt(3)
	v_fma_f64 v[58:59], -v[54:55], v[166:167], v[58:59]
	v_fma_f64 v[56:57], -v[48:49], v[162:163], v[56:57]
	s_waitcnt lgkmcnt(2)
	v_fma_f64 v[58:59], -v[52:53], v[170:171], v[58:59]
	v_fma_f64 v[56:57], -v[54:55], v[164:165], v[56:57]
	s_sub_i32 s44, s6, 31
	s_waitcnt lgkmcnt(1)
	v_mul_f64 v[58:59], v[174:175], v[58:59]
	v_fma_f64 v[56:57], -v[52:53], v[168:169], v[56:57]
	s_add_i32 s12, s44, s12
	v_fma_f64 v[56:57], -v[58:59], v[172:173], v[56:57]
	s_lshl_b32 s12, s12, 3
	s_waitcnt lgkmcnt(0)
	v_mul_f64 v[56:57], v[64:65], v[56:57]
	s_add_i32 s8, s44, s8
	v_mov_b32_e32 v64, s12
	s_add_i32 s12, s44, s13
	s_lshl_b32 s8, s8, 3
	s_lshl_b32 s12, s12, 3
	v_mov_b32_e32 v60, s8
	v_mov_b32_e32 v68, s12
	s_add_i32 s12, s44, s15
	ds_read2_b64 v[60:63], v60 offset1:1
	ds_read2_b64 v[64:67], v64 offset1:1
	s_lshl_b32 s12, s12, 3
	v_mov_b32_e32 v72, s12
	ds_read2_b64 v[68:71], v68 offset1:1
	ds_read2_b64 v[72:75], v72 offset1:1
	s_add_i32 s12, s44, s14
	s_waitcnt lgkmcnt(3)
	v_fma_f64 v[62:63], -v[2:3], v[62:63], v[110:111]
	s_lshl_b32 s12, s12, 3
	s_waitcnt lgkmcnt(2)
	v_fma_f64 v[62:63], -v[0:1], v[66:67], v[62:63]
	v_mov_b32_e32 v66, s12
	s_add_i32 s12, s44, s17
	s_waitcnt lgkmcnt(1)
	v_fma_f64 v[62:63], -v[6:7], v[70:71], v[62:63]
	s_lshl_b32 s12, s12, 3
	s_waitcnt lgkmcnt(0)
	v_fma_f64 v[62:63], -v[4:5], v[74:75], v[62:63]
	ds_read2_b64 v[74:77], v66 offset1:1
	v_mov_b32_e32 v66, s12
	s_add_i32 s12, s44, s18
	s_lshl_b32 s12, s12, 3
	ds_read2_b64 v[78:81], v66 offset1:1
	v_mov_b32_e32 v66, s12
	s_add_i32 s12, s44, s19
	s_lshl_b32 s12, s12, 3
	v_mov_b32_e32 v67, s12
	s_add_i32 s12, s44, s20
	global_store_dwordx4 v[128:129], v[56:59], off offset:-232
	s_lshl_b32 s12, s12, 3
	ds_read2_b64 v[82:85], v66 offset1:1
	ds_read2_b64 v[86:89], v67 offset1:1
	v_mov_b32_e32 v66, s12
	s_add_i32 s12, s44, s21
	s_lshl_b32 s12, s12, 3
	s_waitcnt lgkmcnt(3)
	v_fma_f64 v[62:63], -v[10:11], v[76:77], v[62:63]
	v_mov_b32_e32 v67, s12
	ds_read2_b64 v[90:93], v66 offset1:1
	ds_read2_b64 v[94:97], v67 offset1:1
	s_waitcnt lgkmcnt(4)
	v_fma_f64 v[62:63], -v[8:9], v[80:81], v[62:63]
	s_add_i32 s12, s44, s22
	s_waitcnt lgkmcnt(3)
	v_fma_f64 v[62:63], -v[14:15], v[84:85], v[62:63]
	s_lshl_b32 s12, s12, 3
	s_waitcnt lgkmcnt(2)
	v_fma_f64 v[62:63], -v[12:13], v[88:89], v[62:63]
	v_mov_b32_e32 v66, s12
	s_add_i32 s12, s44, s23
	s_waitcnt lgkmcnt(1)
	v_fma_f64 v[62:63], -v[18:19], v[92:93], v[62:63]
	s_lshl_b32 s12, s12, 3
	s_waitcnt lgkmcnt(0)
	v_fma_f64 v[62:63], -v[16:17], v[96:97], v[62:63]
	ds_read2_b64 v[96:99], v66 offset1:1
	v_mov_b32_e32 v66, s12
	s_add_i32 s12, s44, s24
	s_lshl_b32 s12, s12, 3
	ds_read2_b64 v[100:103], v66 offset1:1
	v_mov_b32_e32 v66, s12
	s_add_i32 s12, s44, s25
	s_lshl_b32 s12, s12, 3
	v_mov_b32_e32 v67, s12
	s_add_i32 s12, s44, s26
	s_lshl_b32 s12, s12, 3
	ds_read2_b64 v[104:107], v66 offset1:1
	ds_read2_b64 v[108:111], v67 offset1:1
	v_mov_b32_e32 v66, s12
	s_add_i32 s12, s44, s28
	s_lshl_b32 s12, s12, 3
	s_waitcnt lgkmcnt(3)
	v_fma_f64 v[62:63], -v[22:23], v[98:99], v[62:63]
	v_mov_b32_e32 v67, s12
	ds_read2_b64 v[112:115], v66 offset1:1
	ds_read2_b64 v[116:119], v67 offset1:1
	s_waitcnt lgkmcnt(4)
	v_fma_f64 v[62:63], -v[20:21], v[102:103], v[62:63]
	s_add_i32 s12, s44, s27
	s_waitcnt lgkmcnt(3)
	v_fma_f64 v[62:63], -v[26:27], v[106:107], v[62:63]
	s_lshl_b32 s12, s12, 3
	s_waitcnt lgkmcnt(2)
	v_fma_f64 v[62:63], -v[24:25], v[110:111], v[62:63]
	v_mov_b32_e32 v66, s12
	s_add_i32 s12, s44, s29
	s_waitcnt lgkmcnt(1)
	v_fma_f64 v[62:63], -v[30:31], v[114:115], v[62:63]
	s_lshl_b32 s12, s12, 3
	s_waitcnt lgkmcnt(0)
	v_fma_f64 v[62:63], -v[28:29], v[118:119], v[62:63]
	ds_read2_b64 v[118:121], v66 offset1:1
	v_mov_b32_e32 v66, s12
	s_add_i32 s12, s44, s30
	s_lshl_b32 s12, s12, 3
	ds_read2_b64 v[132:135], v66 offset1:1
	v_mov_b32_e32 v66, s12
	s_add_i32 s12, s44, s31
	s_lshl_b32 s12, s12, 3
	v_mov_b32_e32 v67, s12
	s_add_i32 s12, s44, s34
	v_fma_f64 v[2:3], -v[2:3], v[60:61], v[130:131]
	s_lshl_b32 s12, s12, 3
	v_fma_f64 v[0:1], -v[0:1], v[64:65], v[2:3]
	ds_read2_b64 v[136:139], v66 offset1:1
	ds_read2_b64 v[140:143], v67 offset1:1
	v_mov_b32_e32 v66, s12
	s_add_i32 s12, s44, s36
	v_fma_f64 v[0:1], -v[6:7], v[68:69], v[0:1]
	s_lshl_b32 s12, s12, 3
	v_fma_f64 v[0:1], -v[4:5], v[72:73], v[0:1]
	s_waitcnt lgkmcnt(3)
	v_fma_f64 v[62:63], -v[34:35], v[120:121], v[62:63]
	v_mov_b32_e32 v67, s12
	ds_read2_b64 v[144:147], v66 offset1:1
	ds_read2_b64 v[148:151], v67 offset1:1
	v_fma_f64 v[0:1], -v[10:11], v[74:75], v[0:1]
	s_waitcnt lgkmcnt(4)
	v_fma_f64 v[62:63], -v[32:33], v[134:135], v[62:63]
	s_add_i32 s12, s44, s35
	v_fma_f64 v[0:1], -v[8:9], v[78:79], v[0:1]
	s_waitcnt lgkmcnt(3)
	v_fma_f64 v[62:63], -v[38:39], v[138:139], v[62:63]
	s_lshl_b32 s12, s12, 3
	v_fma_f64 v[0:1], -v[14:15], v[82:83], v[0:1]
	s_waitcnt lgkmcnt(2)
	v_fma_f64 v[62:63], -v[36:37], v[142:143], v[62:63]
	v_mov_b32_e32 v66, s12
	s_add_i32 s12, s44, s37
	v_fma_f64 v[0:1], -v[12:13], v[86:87], v[0:1]
	s_waitcnt lgkmcnt(1)
	v_fma_f64 v[62:63], -v[42:43], v[146:147], v[62:63]
	s_lshl_b32 s12, s12, 3
	v_fma_f64 v[0:1], -v[18:19], v[90:91], v[0:1]
	s_waitcnt lgkmcnt(0)
	v_fma_f64 v[62:63], -v[40:41], v[150:151], v[62:63]
	ds_read2_b64 v[150:153], v66 offset1:1
	v_mov_b32_e32 v66, s12
	s_add_i32 s12, s44, s38
	v_fma_f64 v[0:1], -v[16:17], v[94:95], v[0:1]
	s_lshl_b32 s12, s12, 3
	v_fma_f64 v[0:1], -v[22:23], v[96:97], v[0:1]
	ds_read2_b64 v[154:157], v66 offset1:1
	v_mov_b32_e32 v66, s12
	s_add_i32 s12, s44, s39
	v_fma_f64 v[0:1], -v[20:21], v[100:101], v[0:1]
	s_lshl_b32 s12, s12, 3
	v_fma_f64 v[0:1], -v[26:27], v[104:105], v[0:1]
	v_mov_b32_e32 v67, s12
	s_add_i32 s12, s44, s40
	v_fma_f64 v[0:1], -v[24:25], v[108:109], v[0:1]
	s_lshl_b32 s12, s12, 3
	v_fma_f64 v[0:1], -v[30:31], v[112:113], v[0:1]
	ds_read2_b64 v[158:161], v66 offset1:1
	ds_read2_b64 v[162:165], v67 offset1:1
	v_mov_b32_e32 v66, s12
	s_add_i32 s12, s44, s43
	v_fma_f64 v[0:1], -v[28:29], v[116:117], v[0:1]
	s_lshl_b32 s12, s12, 3
	v_fma_f64 v[0:1], -v[34:35], v[118:119], v[0:1]
	s_waitcnt lgkmcnt(3)
	v_fma_f64 v[62:63], -v[46:47], v[152:153], v[62:63]
	v_mov_b32_e32 v67, s12
	ds_read2_b64 v[166:169], v66 offset1:1
	ds_read2_b64 v[170:173], v67 offset1:1
	s_add_i32 s12, s44, s42
	v_fma_f64 v[0:1], -v[32:33], v[132:133], v[0:1]
	s_waitcnt lgkmcnt(4)
	v_fma_f64 v[62:63], -v[44:45], v[156:157], v[62:63]
	s_lshl_b32 s12, s12, 3
	v_fma_f64 v[0:1], -v[38:39], v[136:137], v[0:1]
	s_waitcnt lgkmcnt(3)
	v_fma_f64 v[62:63], -v[50:51], v[160:161], v[62:63]
	v_mov_b32_e32 v66, s12
	s_lshl_b32 s12, s41, 6
	v_fma_f64 v[0:1], -v[36:37], v[140:141], v[0:1]
	s_waitcnt lgkmcnt(2)
	v_fma_f64 v[62:63], -v[48:49], v[164:165], v[62:63]
	s_add_i32 s44, s44, s12
	v_fma_f64 v[0:1], -v[42:43], v[144:145], v[0:1]
	s_waitcnt lgkmcnt(1)
	v_fma_f64 v[62:63], -v[54:55], v[168:169], v[62:63]
	s_lshl_b32 s12, s44, 3
	v_fma_f64 v[0:1], -v[40:41], v[148:149], v[0:1]
	s_waitcnt lgkmcnt(0)
	v_fma_f64 v[62:63], -v[52:53], v[172:173], v[62:63]
	ds_read2_b64 v[172:175], v66 offset1:1
	v_mov_b32_e32 v66, s12
	s_addk_i32 s8, 0xc400
	v_fma_f64 v[0:1], -v[46:47], v[150:151], v[0:1]
	ds_read2_b64 v[176:179], v66 offset1:1
	v_mov_b32_e32 v66, s8
	v_fma_f64 v[0:1], -v[44:45], v[154:155], v[0:1]
	ds_read2_b64 v[180:183], v66 offset1:1
	s_addk_i32 s7, 0xc108
	v_fma_f64 v[0:1], -v[50:51], v[158:159], v[0:1]
	v_mov_b32_e32 v66, s7
	v_fma_f64 v[0:1], -v[48:49], v[162:163], v[0:1]
	ds_read_b64 v[66:67], v66
	v_fma_f64 v[0:1], -v[54:55], v[166:167], v[0:1]
	s_waitcnt lgkmcnt(3)
	v_fma_f64 v[62:63], -v[58:59], v[174:175], v[62:63]
	v_fma_f64 v[0:1], -v[52:53], v[170:171], v[0:1]
	s_waitcnt lgkmcnt(2)
	v_fma_f64 v[62:63], -v[56:57], v[178:179], v[62:63]
	v_fma_f64 v[0:1], -v[58:59], v[172:173], v[0:1]
	s_waitcnt lgkmcnt(1)
	v_mul_f64 v[62:63], v[182:183], v[62:63]
	v_fma_f64 v[0:1], -v[56:57], v[176:177], v[0:1]
	v_fma_f64 v[0:1], -v[62:63], v[180:181], v[0:1]
	s_sub_i32 s8, s6, 32
	s_addk_i32 s9, 0xff00
	s_waitcnt lgkmcnt(0)
	v_mul_f64 v[60:61], v[66:67], v[0:1]
	s_cmp_gt_i32 s6, 62
	global_store_dwordx4 v[128:129], v[60:63], off offset:-248
	s_cbranch_scc0 .LBB108_52
; %bb.51:                               ;   in Loop: Header=BB108_48 Depth=1
	s_mov_b32 s6, s8
	s_branch .LBB108_48
.LBB108_52:
	s_cmp_gt_i32 s8, -1
	s_cbranch_scc0 .LBB108_77
; %bb.53:
	s_cmp_lt_u32 s8, 3
	s_cbranch_scc1 .LBB108_59
; %bb.54:
	s_lshl_b32 s6, s33, 9
	s_lshl_b32 s7, s8, 3
	s_add_i32 s6, s6, s7
	s_ashr_i32 s17, s16, 31
	s_addk_i32 s6, 0xfde8
	s_lshl_b64 s[12:13], s[16:17], 3
	s_add_u32 s7, s10, s12
	s_addc_u32 s9, s11, s13
	s_add_u32 s7, s7, s4
	s_addc_u32 s9, s9, s5
	;; [unrolled: 2-line block ×3, first 2 shown]
	v_mov_b32_e32 v1, s9
	v_add_co_u32_e32 v0, vcc, s7, v124
	v_addc_co_u32_e32 v1, vcc, v1, v125, vcc
	s_mov_b32 s9, 0
.LBB108_55:                             ; =>This Loop Header: Depth=1
                                        ;     Child Loop BB108_56 Depth 2
	s_lshl_b64 s[12:13], s[8:9], 3
	v_mov_b32_e32 v2, s13
	v_add_co_u32_e32 v6, vcc, s12, v122
	v_addc_co_u32_e32 v7, vcc, v123, v2, vcc
	global_load_dwordx4 v[2:5], v[6:7], off offset:-8
	global_load_dwordx4 v[12:15], v[6:7], off offset:-24
	v_pk_mov_b32 v[10:11], v[0:1], v[0:1] op_sel:[0,1]
	s_mov_b32 s7, s6
	s_cmp_le_i32 s16, s8
	s_mov_b32 s12, s16
	s_waitcnt vmcnt(1)
	v_mul_f64 v[8:9], v[4:5], s[0:1]
	v_mul_f64 v[6:7], v[2:3], s[0:1]
	s_waitcnt vmcnt(0)
	v_mul_f64 v[4:5], v[14:15], s[0:1]
	v_mul_f64 v[2:3], v[12:13], s[0:1]
	s_cbranch_scc1 .LBB108_57
.LBB108_56:                             ;   Parent Loop BB108_55 Depth=1
                                        ; =>  This Inner Loop Header: Depth=2
	global_load_dwordx2 v[20:21], v[10:11], off
	v_mov_b32_e32 v16, s7
	ds_read2_b64 v[12:15], v16 offset0:2 offset1:3
	ds_read2_b64 v[16:19], v16 offset1:1
	s_add_i32 s12, s12, -1
	s_addk_i32 s7, 0xfe00
	v_add_co_u32_e32 v10, vcc, -8, v10
	v_addc_co_u32_e32 v11, vcc, -1, v11, vcc
	s_cmp_gt_i32 s12, s8
	s_waitcnt vmcnt(0) lgkmcnt(1)
	v_fma_f64 v[8:9], -v[20:21], v[14:15], v[8:9]
	v_fma_f64 v[6:7], -v[20:21], v[12:13], v[6:7]
	s_waitcnt lgkmcnt(0)
	v_fma_f64 v[4:5], -v[20:21], v[18:19], v[4:5]
	v_fma_f64 v[2:3], -v[20:21], v[16:17], v[2:3]
	s_cbranch_scc1 .LBB108_56
.LBB108_57:                             ;   in Loop: Header=BB108_55 Depth=1
	s_add_i32 s7, s8, -1
	s_lshl_b32 s14, s8, 6
	s_add_i32 s12, s7, s14
	s_lshl_b32 s12, s12, 3
	v_mov_b32_e32 v10, s12
	ds_read2_b64 v[10:13], v10 offset1:1
	s_mul_i32 s15, s8, 0x208
	s_add_i32 s12, s15, 0xfffffdf8
	v_mov_b32_e32 v14, s12
	ds_read_b64 v[14:15], v14
	s_ashr_i32 s13, s8, 31
	s_mov_b32 s12, s8
	s_lshl_b64 s[12:13], s[12:13], 3
	v_add_co_u32_e32 v22, vcc, s12, v122
	s_add_i32 s12, s8, -3
	s_waitcnt lgkmcnt(1)
	v_mul_f64 v[8:9], v[12:13], v[8:9]
	v_mov_b32_e32 v12, s13
	s_add_i32 s13, s12, s14
	s_lshl_b32 s13, s13, 3
	v_fma_f64 v[6:7], -v[8:9], v[10:11], v[6:7]
	v_mov_b32_e32 v10, s13
	v_addc_co_u32_e32 v23, vcc, v123, v12, vcc
	ds_read2_b64 v[10:13], v10 offset1:1
	s_lshl_b32 s7, s7, 6
	s_add_i32 s12, s12, s7
	s_lshl_b32 s7, s12, 3
	s_waitcnt lgkmcnt(1)
	v_mul_f64 v[6:7], v[14:15], v[6:7]
	v_mov_b32_e32 v14, s7
	ds_read2_b64 v[14:17], v14 offset1:1
	s_add_i32 s7, s13, 0xfffffc00
	s_waitcnt lgkmcnt(1)
	v_fma_f64 v[4:5], -v[8:9], v[12:13], v[4:5]
	v_mov_b32_e32 v12, s7
	ds_read2_b64 v[18:21], v12 offset1:1
	s_add_i32 s7, s15, 0xfffff9e8
	v_mov_b32_e32 v12, s7
	ds_read_b64 v[12:13], v12
	s_waitcnt lgkmcnt(2)
	v_fma_f64 v[4:5], -v[6:7], v[16:17], v[4:5]
	v_fma_f64 v[2:3], -v[8:9], v[10:11], v[2:3]
	s_waitcnt lgkmcnt(1)
	v_mul_f64 v[4:5], v[20:21], v[4:5]
	v_fma_f64 v[2:3], -v[6:7], v[14:15], v[2:3]
	v_fma_f64 v[2:3], -v[4:5], v[18:19], v[2:3]
	s_add_i32 s12, s8, -4
	s_sub_i32 s6, s6, 32
	s_waitcnt lgkmcnt(0)
	v_mul_f64 v[2:3], v[12:13], v[2:3]
	s_cmp_gt_i32 s8, 6
	global_store_dwordx4 v[22:23], v[6:9], off offset:-8
	global_store_dwordx4 v[22:23], v[2:5], off offset:-24
	s_cbranch_scc0 .LBB108_60
; %bb.58:                               ;   in Loop: Header=BB108_55 Depth=1
	s_mov_b32 s8, s12
	s_branch .LBB108_55
.LBB108_59:
	s_mov_b32 s12, s8
.LBB108_60:
	s_cmp_lt_i32 s12, 0
	s_cbranch_scc1 .LBB108_77
; %bb.61:
	s_add_i32 s6, s12, 1
	s_and_b32 s8, s6, 3
	s_cmp_eq_u32 s8, 0
	s_mov_b32 s6, s12
	s_cbranch_scc1 .LBB108_66
; %bb.62:
	s_lshl_b32 s6, s33, 9
	s_lshl_b32 s7, s12, 3
	s_add_i32 s6, s6, s7
	s_ashr_i32 s17, s16, 31
	s_add_i32 s9, s6, 0xfffffe00
	s_lshl_b64 s[6:7], s[16:17], 3
	s_add_u32 s6, s10, s6
	s_addc_u32 s7, s11, s7
	s_add_u32 s6, s6, s4
	s_addc_u32 s7, s7, s5
	;; [unrolled: 2-line block ×3, first 2 shown]
	v_mov_b32_e32 v1, s7
	v_add_co_u32_e32 v0, vcc, s6, v124
	s_mov_b32 s7, 0
	v_addc_co_u32_e32 v1, vcc, v1, v125, vcc
	s_mov_b32 s6, s12
	s_mov_b32 s13, s7
	s_branch .LBB108_64
.LBB108_63:                             ;   in Loop: Header=BB108_64 Depth=1
	s_mul_i32 s14, s6, 0x208
	v_mov_b32_e32 v4, s14
	ds_read_b64 v[4:5], v4
	s_ashr_i32 s15, s6, 31
	s_mov_b32 s14, s6
	s_lshl_b64 s[14:15], s[14:15], 3
	v_mov_b32_e32 v6, s15
	s_waitcnt lgkmcnt(0)
	v_mul_f64 v[2:3], v[4:5], v[2:3]
	v_add_co_u32_e32 v4, vcc, s14, v122
	s_add_i32 s6, s6, -1
	s_add_i32 s13, s13, 1
	s_add_i32 s9, s9, -8
	v_addc_co_u32_e32 v5, vcc, v123, v6, vcc
	s_cmp_lg_u32 s13, s8
	global_store_dwordx2 v[4:5], v[2:3], off
	s_cbranch_scc0 .LBB108_66
.LBB108_64:                             ; =>This Loop Header: Depth=1
                                        ;     Child Loop BB108_65 Depth 2
	s_lshl_b64 s[14:15], s[6:7], 3
	v_mov_b32_e32 v3, s15
	v_add_co_u32_e32 v2, vcc, s14, v122
	v_addc_co_u32_e32 v3, vcc, v123, v3, vcc
	global_load_dwordx2 v[2:3], v[2:3], off
	v_pk_mov_b32 v[4:5], v[0:1], v[0:1] op_sel:[0,1]
	s_mov_b32 s14, s9
	s_cmp_le_i32 s16, s6
	s_mov_b32 s15, s16
	s_waitcnt vmcnt(0)
	v_mul_f64 v[2:3], v[2:3], s[0:1]
	s_cbranch_scc1 .LBB108_63
.LBB108_65:                             ;   Parent Loop BB108_64 Depth=1
                                        ; =>  This Inner Loop Header: Depth=2
	global_load_dwordx2 v[6:7], v[4:5], off
	v_mov_b32_e32 v8, s14
	ds_read_b64 v[8:9], v8
	s_add_i32 s15, s15, -1
	s_addk_i32 s14, 0xfe00
	v_add_co_u32_e32 v4, vcc, -8, v4
	v_addc_co_u32_e32 v5, vcc, -1, v5, vcc
	s_cmp_gt_i32 s15, s6
	s_waitcnt vmcnt(0) lgkmcnt(0)
	v_fma_f64 v[2:3], -v[6:7], v[8:9], v[2:3]
	s_cbranch_scc1 .LBB108_65
	s_branch .LBB108_63
.LBB108_66:
	s_cmp_lt_u32 s12, 3
	s_cbranch_scc1 .LBB108_77
; %bb.67:
	s_lshl_b32 s7, s33, 9
	s_lshl_b32 s8, s6, 3
	s_add_i32 s7, s7, s8
	s_ashr_i32 s17, s16, 31
	s_add_i32 s8, s7, 0xfffffe00
	s_lshl_b64 s[12:13], s[16:17], 3
	s_add_u32 s9, s10, s12
	s_addc_u32 s10, s11, s13
	s_add_u32 s4, s9, s4
	s_addc_u32 s5, s10, s5
	s_add_u32 s2, s4, s2
	s_addc_u32 s3, s5, s3
	v_mov_b32_e32 v1, s3
	v_add_co_u32_e32 v0, vcc, s2, v124
	v_addc_co_u32_e32 v1, vcc, v1, v125, vcc
	s_add_i32 s4, s7, 0xfffffdf8
	s_add_i32 s5, s7, 0xfffffdf0
	;; [unrolled: 1-line block ×3, first 2 shown]
	s_mov_b32 s7, 0
	s_branch .LBB108_69
.LBB108_68:                             ;   in Loop: Header=BB108_69 Depth=1
	s_add_i32 s2, s3, 0xfffffdf8
	v_mov_b32_e32 v6, s2
	ds_read_b64 v[6:7], v6
	s_add_i32 s2, s6, -4
	s_sub_i32 s8, s8, 32
	s_sub_i32 s4, s4, 32
	;; [unrolled: 1-line block ×4, first 2 shown]
	s_waitcnt lgkmcnt(0)
	v_mul_f64 v[4:5], v[6:7], v[4:5]
	s_cmp_lt_i32 s6, 4
	s_mov_b32 s6, s2
	global_store_dwordx2 v[2:3], v[4:5], off offset:-24
	s_cbranch_scc1 .LBB108_77
.LBB108_69:                             ; =>This Loop Header: Depth=1
                                        ;     Child Loop BB108_70 Depth 2
                                        ;     Child Loop BB108_72 Depth 2
	;; [unrolled: 1-line block ×4, first 2 shown]
	s_lshl_b64 s[2:3], s[6:7], 3
	v_mov_b32_e32 v3, s3
	v_add_co_u32_e32 v2, vcc, s2, v122
	v_addc_co_u32_e32 v3, vcc, v123, v3, vcc
	global_load_dwordx2 v[4:5], v[2:3], off
	v_pk_mov_b32 v[2:3], v[0:1], v[0:1] op_sel:[0,1]
	s_mov_b32 s2, s8
	s_cmp_le_i32 s16, s6
	s_mov_b32 s3, s16
	s_waitcnt vmcnt(0)
	v_mul_f64 v[4:5], v[4:5], s[0:1]
	s_cbranch_scc1 .LBB108_71
.LBB108_70:                             ;   Parent Loop BB108_69 Depth=1
                                        ; =>  This Inner Loop Header: Depth=2
	global_load_dwordx2 v[6:7], v[2:3], off
	v_mov_b32_e32 v8, s2
	ds_read_b64 v[8:9], v8
	s_add_i32 s3, s3, -1
	s_addk_i32 s2, 0xfe00
	v_add_co_u32_e32 v2, vcc, -8, v2
	v_addc_co_u32_e32 v3, vcc, -1, v3, vcc
	s_cmp_gt_i32 s3, s6
	s_waitcnt vmcnt(0) lgkmcnt(0)
	v_fma_f64 v[4:5], -v[6:7], v[8:9], v[4:5]
	s_cbranch_scc1 .LBB108_70
.LBB108_71:                             ;   in Loop: Header=BB108_69 Depth=1
	s_add_i32 s2, s6, -1
	s_mov_b32 s3, s7
	s_lshl_b64 s[2:3], s[2:3], 3
	v_mov_b32_e32 v3, s3
	v_add_co_u32_e32 v2, vcc, s2, v122
	v_addc_co_u32_e32 v3, vcc, v123, v3, vcc
	global_load_dwordx2 v[8:9], v[2:3], off
	s_mul_i32 s10, s6, 0x208
	v_mov_b32_e32 v2, s10
	ds_read_b64 v[10:11], v2
	s_ashr_i32 s13, s6, 31
	s_mov_b32 s12, s6
	s_lshl_b64 s[12:13], s[12:13], 3
	v_mov_b32_e32 v3, s13
	v_add_co_u32_e32 v2, vcc, s12, v122
	v_addc_co_u32_e32 v3, vcc, v123, v3, vcc
	s_waitcnt lgkmcnt(0)
	v_mul_f64 v[4:5], v[10:11], v[4:5]
	v_pk_mov_b32 v[6:7], v[0:1], v[0:1] op_sel:[0,1]
	s_mov_b32 s2, s4
	s_cmp_lt_i32 s16, s6
	global_store_dwordx2 v[2:3], v[4:5], off
	s_mov_b32 s3, s33
	s_waitcnt vmcnt(1)
	v_mul_f64 v[4:5], v[8:9], s[0:1]
	s_cbranch_scc1 .LBB108_73
.LBB108_72:                             ;   Parent Loop BB108_69 Depth=1
                                        ; =>  This Inner Loop Header: Depth=2
	global_load_dwordx2 v[8:9], v[6:7], off
	v_mov_b32_e32 v10, s2
	ds_read_b64 v[10:11], v10
	s_add_i32 s3, s3, -1
	s_addk_i32 s2, 0xfe00
	v_add_co_u32_e32 v6, vcc, -8, v6
	v_addc_co_u32_e32 v7, vcc, -1, v7, vcc
	s_cmp_gt_i32 s3, s6
	s_waitcnt vmcnt(0) lgkmcnt(0)
	v_fma_f64 v[4:5], -v[8:9], v[10:11], v[4:5]
	s_cbranch_scc1 .LBB108_72
.LBB108_73:                             ;   in Loop: Header=BB108_69 Depth=1
	s_add_i32 s2, s6, -2
	s_mov_b32 s3, s7
	s_lshl_b64 s[12:13], s[2:3], 3
	v_mov_b32_e32 v7, s13
	v_add_co_u32_e32 v6, vcc, s12, v122
	v_addc_co_u32_e32 v7, vcc, v123, v7, vcc
	global_load_dwordx2 v[8:9], v[6:7], off
	s_addk_i32 s10, 0xfdf8
	v_mov_b32_e32 v6, s10
	ds_read_b64 v[10:11], v6
	v_pk_mov_b32 v[6:7], v[0:1], v[0:1] op_sel:[0,1]
	s_mov_b32 s3, s5
	s_cmp_le_i32 s16, s2
	s_mov_b32 s11, s16
	s_waitcnt lgkmcnt(0)
	v_mul_f64 v[4:5], v[10:11], v[4:5]
	global_store_dwordx2 v[2:3], v[4:5], off offset:-8
	s_waitcnt vmcnt(1)
	v_mul_f64 v[4:5], v[8:9], s[0:1]
	s_cbranch_scc1 .LBB108_75
.LBB108_74:                             ;   Parent Loop BB108_69 Depth=1
                                        ; =>  This Inner Loop Header: Depth=2
	global_load_dwordx2 v[8:9], v[6:7], off
	v_mov_b32_e32 v10, s3
	ds_read_b64 v[10:11], v10
	s_add_i32 s11, s11, -1
	s_addk_i32 s3, 0xfe00
	v_add_co_u32_e32 v6, vcc, -8, v6
	v_addc_co_u32_e32 v7, vcc, -1, v7, vcc
	s_cmp_gt_i32 s11, s2
	s_waitcnt vmcnt(0) lgkmcnt(0)
	v_fma_f64 v[4:5], -v[8:9], v[10:11], v[4:5]
	s_cbranch_scc1 .LBB108_74
.LBB108_75:                             ;   in Loop: Header=BB108_69 Depth=1
	s_add_i32 s2, s6, -3
	s_mov_b32 s3, s7
	s_lshl_b64 s[12:13], s[2:3], 3
	v_mov_b32_e32 v7, s13
	v_add_co_u32_e32 v6, vcc, s12, v122
	v_addc_co_u32_e32 v7, vcc, v123, v7, vcc
	global_load_dwordx2 v[8:9], v[6:7], off
	s_add_i32 s3, s10, 0xfffffdf8
	v_mov_b32_e32 v6, s3
	ds_read_b64 v[10:11], v6
	v_pk_mov_b32 v[6:7], v[0:1], v[0:1] op_sel:[0,1]
	s_mov_b32 s10, s9
	s_cmp_le_i32 s16, s2
	s_mov_b32 s11, s16
	s_waitcnt lgkmcnt(0)
	v_mul_f64 v[4:5], v[10:11], v[4:5]
	global_store_dwordx2 v[2:3], v[4:5], off offset:-16
	s_waitcnt vmcnt(1)
	v_mul_f64 v[4:5], v[8:9], s[0:1]
	s_cbranch_scc1 .LBB108_68
.LBB108_76:                             ;   Parent Loop BB108_69 Depth=1
                                        ; =>  This Inner Loop Header: Depth=2
	global_load_dwordx2 v[8:9], v[6:7], off
	v_mov_b32_e32 v10, s10
	ds_read_b64 v[10:11], v10
	s_add_i32 s11, s11, -1
	s_addk_i32 s10, 0xfe00
	v_add_co_u32_e32 v6, vcc, -8, v6
	v_addc_co_u32_e32 v7, vcc, -1, v7, vcc
	s_cmp_gt_i32 s11, s2
	s_waitcnt vmcnt(0) lgkmcnt(0)
	v_fma_f64 v[4:5], -v[8:9], v[10:11], v[4:5]
	s_cbranch_scc1 .LBB108_76
	s_branch .LBB108_68
.LBB108_77:
	s_endpgm
	.section	.rodata,"a",@progbits
	.p2align	6, 0x0
	.amdhsa_kernel _ZL30rocblas_trsm_small_left_deviceILi64ELi32ELb0EddPKdPdEv13rocblas_fill_18rocblas_operation_17rocblas_diagonal_iiT3_T4_lilT5_lili
		.amdhsa_group_segment_fixed_size 32768
		.amdhsa_private_segment_fixed_size 0
		.amdhsa_kernarg_size 360
		.amdhsa_user_sgpr_count 6
		.amdhsa_user_sgpr_private_segment_buffer 1
		.amdhsa_user_sgpr_dispatch_ptr 0
		.amdhsa_user_sgpr_queue_ptr 0
		.amdhsa_user_sgpr_kernarg_segment_ptr 1
		.amdhsa_user_sgpr_dispatch_id 0
		.amdhsa_user_sgpr_flat_scratch_init 0
		.amdhsa_user_sgpr_kernarg_preload_length 0
		.amdhsa_user_sgpr_kernarg_preload_offset 0
		.amdhsa_user_sgpr_private_segment_size 0
		.amdhsa_uses_dynamic_stack 0
		.amdhsa_system_sgpr_private_segment_wavefront_offset 0
		.amdhsa_system_sgpr_workgroup_id_x 1
		.amdhsa_system_sgpr_workgroup_id_y 0
		.amdhsa_system_sgpr_workgroup_id_z 1
		.amdhsa_system_sgpr_workgroup_info 0
		.amdhsa_system_vgpr_workitem_id 0
		.amdhsa_next_free_vgpr 184
		.amdhsa_next_free_sgpr 45
		.amdhsa_accum_offset 184
		.amdhsa_reserve_vcc 1
		.amdhsa_reserve_flat_scratch 0
		.amdhsa_float_round_mode_32 0
		.amdhsa_float_round_mode_16_64 0
		.amdhsa_float_denorm_mode_32 3
		.amdhsa_float_denorm_mode_16_64 3
		.amdhsa_dx10_clamp 1
		.amdhsa_ieee_mode 1
		.amdhsa_fp16_overflow 0
		.amdhsa_tg_split 0
		.amdhsa_exception_fp_ieee_invalid_op 0
		.amdhsa_exception_fp_denorm_src 0
		.amdhsa_exception_fp_ieee_div_zero 0
		.amdhsa_exception_fp_ieee_overflow 0
		.amdhsa_exception_fp_ieee_underflow 0
		.amdhsa_exception_fp_ieee_inexact 0
		.amdhsa_exception_int_div_zero 0
	.end_amdhsa_kernel
	.section	.text._ZL30rocblas_trsm_small_left_deviceILi64ELi32ELb0EddPKdPdEv13rocblas_fill_18rocblas_operation_17rocblas_diagonal_iiT3_T4_lilT5_lili,"axG",@progbits,_ZL30rocblas_trsm_small_left_deviceILi64ELi32ELb0EddPKdPdEv13rocblas_fill_18rocblas_operation_17rocblas_diagonal_iiT3_T4_lilT5_lili,comdat
.Lfunc_end108:
	.size	_ZL30rocblas_trsm_small_left_deviceILi64ELi32ELb0EddPKdPdEv13rocblas_fill_18rocblas_operation_17rocblas_diagonal_iiT3_T4_lilT5_lili, .Lfunc_end108-_ZL30rocblas_trsm_small_left_deviceILi64ELi32ELb0EddPKdPdEv13rocblas_fill_18rocblas_operation_17rocblas_diagonal_iiT3_T4_lilT5_lili
                                        ; -- End function
	.section	.AMDGPU.csdata,"",@progbits
; Kernel info:
; codeLenInByte = 24856
; NumSgprs: 49
; NumVgprs: 184
; NumAgprs: 0
; TotalNumVgprs: 184
; ScratchSize: 0
; MemoryBound: 1
; FloatMode: 240
; IeeeMode: 1
; LDSByteSize: 32768 bytes/workgroup (compile time only)
; SGPRBlocks: 6
; VGPRBlocks: 22
; NumSGPRsForWavesPerEU: 49
; NumVGPRsForWavesPerEU: 184
; AccumOffset: 184
; Occupancy: 1
; WaveLimiterHint : 0
; COMPUTE_PGM_RSRC2:SCRATCH_EN: 0
; COMPUTE_PGM_RSRC2:USER_SGPR: 6
; COMPUTE_PGM_RSRC2:TRAP_HANDLER: 0
; COMPUTE_PGM_RSRC2:TGID_X_EN: 1
; COMPUTE_PGM_RSRC2:TGID_Y_EN: 0
; COMPUTE_PGM_RSRC2:TGID_Z_EN: 1
; COMPUTE_PGM_RSRC2:TIDIG_COMP_CNT: 0
; COMPUTE_PGM_RSRC3_GFX90A:ACCUM_OFFSET: 45
; COMPUTE_PGM_RSRC3_GFX90A:TG_SPLIT: 0
	.section	.text._ZL38rocblas_trsm_small_left_device_sharedBILi64ELi32ELb1EddPKdPdEv13rocblas_fill_18rocblas_operation_17rocblas_diagonal_iiT3_T4_lilT5_lili,"axG",@progbits,_ZL38rocblas_trsm_small_left_device_sharedBILi64ELi32ELb1EddPKdPdEv13rocblas_fill_18rocblas_operation_17rocblas_diagonal_iiT3_T4_lilT5_lili,comdat
	.globl	_ZL38rocblas_trsm_small_left_device_sharedBILi64ELi32ELb1EddPKdPdEv13rocblas_fill_18rocblas_operation_17rocblas_diagonal_iiT3_T4_lilT5_lili ; -- Begin function _ZL38rocblas_trsm_small_left_device_sharedBILi64ELi32ELb1EddPKdPdEv13rocblas_fill_18rocblas_operation_17rocblas_diagonal_iiT3_T4_lilT5_lili
	.p2align	8
	.type	_ZL38rocblas_trsm_small_left_device_sharedBILi64ELi32ELb1EddPKdPdEv13rocblas_fill_18rocblas_operation_17rocblas_diagonal_iiT3_T4_lilT5_lili,@function
_ZL38rocblas_trsm_small_left_device_sharedBILi64ELi32ELb1EddPKdPdEv13rocblas_fill_18rocblas_operation_17rocblas_diagonal_iiT3_T4_lilT5_lili: ; @_ZL38rocblas_trsm_small_left_device_sharedBILi64ELi32ELb1EddPKdPdEv13rocblas_fill_18rocblas_operation_17rocblas_diagonal_iiT3_T4_lilT5_lili
; %bb.0:
	s_load_dwordx4 s[8:11], s[4:5], 0x4
	s_load_dwordx4 s[12:15], s[4:5], 0x18
	s_load_dwordx2 s[20:21], s[4:5], 0x28
	s_load_dwordx4 s[0:3], s[4:5], 0x38
	s_load_dwordx2 s[16:17], s[4:5], 0x48
	v_mov_b32_e32 v176, v0
	s_waitcnt lgkmcnt(0)
	s_min_i32 s30, s10, 64
	s_mov_b32 s33, 0
	s_add_i32 s31, s30, -1
	v_cmp_gt_i32_e32 vcc, s30, v176
	s_and_saveexec_b64 s[18:19], vcc
	s_cbranch_execz .LBB109_10
; %bb.1:
	s_load_dword s22, s[4:5], 0x30
	s_mul_i32 s1, s7, s1
	s_mul_hi_u32 s24, s7, s0
	s_add_i32 s1, s24, s1
	s_mul_i32 s0, s7, s0
	s_waitcnt lgkmcnt(0)
	s_ashr_i32 s23, s22, 31
	s_cmp_lt_u32 s31, 3
	s_cbranch_scc1 .LBB109_4
; %bb.2:
	s_lshl_b64 s[24:25], s[0:1], 3
	s_add_u32 s26, s14, s24
	s_addc_u32 s27, s15, s25
	s_lshl_b64 s[24:25], s[20:21], 3
	s_add_u32 s24, s26, s24
	s_addc_u32 s25, s27, s25
	v_lshlrev_b32_e32 v1, 3, v176
	v_mov_b32_e32 v0, s25
	v_add_co_u32_e32 v2, vcc, s24, v1
	s_mul_hi_i32 s36, s22, 24
	s_lshl_b64 s[24:25], s[22:23], 5
	s_lshl_b64 s[26:27], s[22:23], 4
	;; [unrolled: 1-line block ×3, first 2 shown]
	v_addc_co_u32_e32 v3, vcc, 0, v0, vcc
	s_and_b32 s33, s30, -4
	s_mul_i32 s34, s22, 24
	s_mov_b32 s35, 0
	v_mov_b32_e32 v4, s29
	v_mov_b32_e32 v5, s27
	;; [unrolled: 1-line block ×4, first 2 shown]
.LBB109_3:                              ; =>This Inner Loop Header: Depth=1
	v_add_co_u32_e32 v10, vcc, s28, v2
	v_addc_co_u32_e32 v11, vcc, v3, v4, vcc
	v_add_co_u32_e32 v12, vcc, s26, v2
	v_addc_co_u32_e32 v13, vcc, v3, v5, vcc
	v_add_co_u32_e32 v14, vcc, s34, v2
	global_load_dwordx2 v[8:9], v[2:3], off
	v_addc_co_u32_e32 v15, vcc, v3, v6, vcc
	global_load_dwordx2 v[16:17], v[10:11], off
	global_load_dwordx2 v[18:19], v[12:13], off
	;; [unrolled: 1-line block ×3, first 2 shown]
	s_add_i32 s35, s35, 4
	v_add_co_u32_e32 v2, vcc, s24, v2
	v_addc_co_u32_e32 v3, vcc, v3, v7, vcc
	s_cmp_eq_u32 s33, s35
	s_waitcnt vmcnt(2)
	ds_write2st64_b64 v1, v[8:9], v[16:17] offset1:1
	s_waitcnt vmcnt(0)
	ds_write2st64_b64 v1, v[18:19], v[20:21] offset0:2 offset1:3
	v_add_u32_e32 v1, 0x800, v1
	s_cbranch_scc0 .LBB109_3
.LBB109_4:
	s_and_b32 s24, s30, 3
	s_cmp_eq_u32 s24, 0
	s_cbranch_scc1 .LBB109_7
; %bb.5:
	s_mul_i32 s25, s23, s33
	s_mul_hi_u32 s26, s22, s33
	s_add_i32 s27, s26, s25
	s_mul_i32 s26, s22, s33
	s_lshl_b64 s[0:1], s[0:1], 3
	s_lshl_b64 s[26:27], s[26:27], 3
	s_add_u32 s25, s0, s26
	s_addc_u32 s26, s1, s27
	s_lshl_b64 s[0:1], s[20:21], 3
	s_add_u32 s0, s25, s0
	s_addc_u32 s1, s26, s1
	s_add_u32 s0, s14, s0
	v_lshlrev_b32_e32 v0, 3, v176
	s_addc_u32 s1, s15, s1
	v_mov_b32_e32 v3, s1
	v_add_co_u32_e32 v2, vcc, s0, v0
	s_lshl_b64 s[0:1], s[22:23], 3
	v_lshl_or_b32 v1, s33, 9, v0
	v_addc_co_u32_e32 v3, vcc, 0, v3, vcc
	v_mov_b32_e32 v4, s1
.LBB109_6:                              ; =>This Inner Loop Header: Depth=1
	global_load_dwordx2 v[6:7], v[2:3], off
	v_add_co_u32_e32 v2, vcc, s0, v2
	s_add_i32 s24, s24, -1
	v_addc_co_u32_e32 v3, vcc, v3, v4, vcc
	s_cmp_lg_u32 s24, 0
	s_waitcnt vmcnt(0)
	ds_write_b64 v1, v[6:7]
	v_add_u32_e32 v1, 0x200, v1
	s_cbranch_scc1 .LBB109_6
.LBB109_7:
	v_mul_u32_u24_e32 v0, 0x41, v176
	v_mov_b32_e32 v2, 0
	s_cmpk_lg_i32 s9, 0x84
	v_lshlrev_b32_e32 v1, 3, v0
	v_mov_b32_e32 v3, 0x3ff00000
	s_cbranch_scc0 .LBB109_9
; %bb.8:
	ds_read_b64 v[2:3], v1
	s_waitcnt lgkmcnt(0)
	v_div_scale_f64 v[4:5], s[0:1], v[2:3], v[2:3], 1.0
	v_rcp_f64_e32 v[6:7], v[4:5]
	v_div_scale_f64 v[8:9], vcc, 1.0, v[2:3], 1.0
	v_fma_f64 v[10:11], -v[4:5], v[6:7], 1.0
	v_fmac_f64_e32 v[6:7], v[6:7], v[10:11]
	v_fma_f64 v[10:11], -v[4:5], v[6:7], 1.0
	v_fmac_f64_e32 v[6:7], v[6:7], v[10:11]
	v_mul_f64 v[10:11], v[8:9], v[6:7]
	v_fma_f64 v[4:5], -v[4:5], v[10:11], v[8:9]
	v_div_fmas_f64 v[4:5], v[4:5], v[6:7], v[10:11]
	v_div_fixup_f64 v[2:3], v[4:5], v[2:3], 1.0
.LBB109_9:
	ds_write_b64 v1, v[2:3]
.LBB109_10:
	s_or_b64 exec, exec, s[18:19]
	s_load_dword s9, s[4:5], 0x68
	s_load_dword s22, s[4:5], 0x50
	s_load_dwordx2 s[0:1], s[4:5], 0x58
	s_mov_b32 s18, 0
	s_waitcnt lgkmcnt(0)
	s_ashr_i32 s23, s22, 31
	s_mul_i32 s1, s7, s1
	s_mul_hi_u32 s4, s7, s0
	s_mul_i32 s0, s7, s0
	s_add_i32 s1, s4, s1
	s_lshl_b64 s[0:1], s[0:1], 3
	s_add_u32 s7, s2, s0
	s_addc_u32 s14, s3, s1
	s_lshl_b64 s[4:5], s[16:17], 3
	s_add_u32 s16, s7, s4
	s_addc_u32 s17, s14, s5
	s_lshl_b32 s14, s6, 6
	s_add_i32 s9, s9, -1
	s_sub_i32 s7, s11, s14
	s_cmp_ge_u32 s6, s9
	s_cselect_b32 s9, s7, 64
	s_mul_hi_i32 s7, s22, s14
	s_mul_i32 s6, s22, s14
	s_ashr_i32 s15, s14, 31
	s_lshl_b64 s[6:7], s[6:7], 3
	s_add_u32 s11, s16, s6
	s_addc_u32 s24, s17, s7
	s_cmp_gt_i32 s10, 0
	v_cmp_gt_i32_e32 vcc, s9, v176
	s_cselect_b64 s[6:7], -1, 0
	s_and_b64 s[6:7], vcc, s[6:7]
	s_and_saveexec_b64 s[16:17], s[6:7]
	s_cbranch_execz .LBB109_17
; %bb.11:
	s_cmp_lt_i32 s10, 8
	s_cbranch_scc1 .LBB109_14
; %bb.12:
	v_mad_i64_i32 v[0:1], s[18:19], s22, v176, 0
	v_lshlrev_b64 v[2:3], 3, v[0:1]
	v_mov_b32_e32 v0, s24
	v_add_co_u32_e32 v1, vcc, s11, v2
	v_addc_co_u32_e32 v2, vcc, v0, v3, vcc
	v_mov_b32_e32 v0, 0x8000
	s_lshl_b32 s9, s30, 3
	v_lshl_or_b32 v3, v176, 3, v0
	s_and_b32 s9, s9, 0x3c0
	s_mov_b32 s18, 0
	s_mov_b64 s[20:21], 0
.LBB109_13:                             ; =>This Inner Loop Header: Depth=1
	v_mov_b32_e32 v0, s21
	v_add_co_u32_e32 v20, vcc, s20, v1
	v_addc_co_u32_e32 v21, vcc, v2, v0, vcc
	global_load_dwordx4 v[4:7], v[20:21], off
	global_load_dwordx4 v[8:11], v[20:21], off offset:16
	global_load_dwordx4 v[12:15], v[20:21], off offset:32
	;; [unrolled: 1-line block ×3, first 2 shown]
	s_add_i32 s18, s18, 8
	s_add_u32 s20, s20, 64
	s_addc_u32 s21, s21, 0
	s_cmp_lg_u32 s9, s20
	s_waitcnt vmcnt(3)
	v_mul_f64 v[4:5], v[4:5], s[12:13]
	v_mul_f64 v[6:7], v[6:7], s[12:13]
	s_waitcnt vmcnt(2)
	v_mul_f64 v[8:9], v[8:9], s[12:13]
	v_mul_f64 v[10:11], v[10:11], s[12:13]
	;; [unrolled: 3-line block ×4, first 2 shown]
	ds_write2st64_b64 v3, v[4:5], v[6:7] offset1:1
	ds_write2st64_b64 v3, v[8:9], v[10:11] offset0:2 offset1:3
	ds_write2st64_b64 v3, v[12:13], v[14:15] offset0:4 offset1:5
	ds_write2st64_b64 v3, v[16:17], v[18:19] offset0:6 offset1:7
	v_add_u32_e32 v3, 0x1000, v3
	s_cbranch_scc1 .LBB109_13
.LBB109_14:
	s_and_b32 s9, s30, 7
	s_cmp_eq_u32 s9, 0
	s_mov_b32 s19, 0
	s_cbranch_scc1 .LBB109_17
; %bb.15:
	v_lshlrev_b32_e32 v0, 3, v176
	v_lshl_or_b32 v1, s18, 9, v0
	s_lshl_b64 s[20:21], s[14:15], 3
	s_lshl_b64 s[18:19], s[18:19], 3
	s_add_u32 s18, s2, s18
	s_addc_u32 s19, s3, s19
	s_add_u32 s18, s18, s4
	s_addc_u32 s19, s19, s5
	s_add_u32 s18, s18, s0
	v_mov_b32_e32 v2, s21
	v_add_co_u32_e32 v0, vcc, s20, v0
	s_addc_u32 s19, s19, s1
	v_addc_co_u32_e32 v4, vcc, 0, v2, vcc
	v_pk_mov_b32 v[2:3], s[18:19], s[18:19] op_sel:[0,1]
	v_mad_u64_u32 v[2:3], s[18:19], v0, s22, v[2:3]
	v_mul_lo_u32 v0, v0, s23
	v_mul_lo_u32 v4, v4, s22
	v_add_u32_e32 v1, 0x8000, v1
	v_add3_u32 v3, v4, v3, v0
.LBB109_16:                             ; =>This Inner Loop Header: Depth=1
	global_load_dwordx2 v[4:5], v[2:3], off
	v_add_co_u32_e32 v2, vcc, 8, v2
	s_add_i32 s9, s9, -1
	v_addc_co_u32_e32 v3, vcc, 0, v3, vcc
	s_cmp_lg_u32 s9, 0
	s_waitcnt vmcnt(0)
	v_mul_f64 v[4:5], v[4:5], s[12:13]
	ds_write_b64 v1, v[4:5]
	v_add_u32_e32 v1, 0x200, v1
	s_cbranch_scc1 .LBB109_16
.LBB109_17:
	s_or_b64 exec, exec, s[16:17]
	s_cmpk_eq_i32 s8, 0x6f
	s_mov_b64 s[8:9], -1
	s_waitcnt lgkmcnt(0)
	; wave barrier
	s_waitcnt lgkmcnt(0)
	s_cbranch_scc1 .LBB109_46
; %bb.18:
	s_cmp_lt_i32 s10, 32
	s_mov_b32 s12, s31
	s_cbranch_scc1 .LBB109_24
; %bb.19:
	v_lshlrev_b32_e32 v0, 3, v176
	s_mul_i32 s8, s30, 0x208
	v_lshl_or_b32 v0, s30, 9, v0
	s_addk_i32 s8, 0xbff8
	v_add_u32_e32 v1, 0x7e00, v0
	s_mov_b32 s9, s31
.LBB109_20:                             ; =>This Loop Header: Depth=1
                                        ;     Child Loop BB109_21 Depth 2
	s_lshl_b32 s12, s9, 6
	v_or_b32_e32 v0, s12, v176
	s_sub_i32 s13, s12, 64
	s_add_i32 s49, s12, 0xffffff80
	v_lshlrev_b32_e32 v95, 3, v0
	v_or_b32_e32 v0, s13, v176
	v_or_b32_e32 v2, s49, v176
	s_add_i32 s48, s12, 0xffffff40
	v_lshlrev_b32_e32 v0, 3, v0
	v_lshlrev_b32_e32 v94, 3, v2
	v_or_b32_e32 v2, s48, v176
	s_add_i32 s47, s12, 0xffffff00
	v_lshlrev_b32_e32 v93, 3, v2
	ds_read_b64 v[6:7], v95 offset:32768
	ds_read_b64 v[10:11], v0 offset:32768
	ds_read_b64 v[8:9], v94 offset:32768
	ds_read_b64 v[12:13], v93 offset:32768
	v_or_b32_e32 v0, s47, v176
	s_add_i32 s46, s12, 0xfffffec0
	v_lshlrev_b32_e32 v92, 3, v0
	v_or_b32_e32 v0, s46, v176
	s_add_i32 s45, s12, 0xfffffe80
	v_lshlrev_b32_e32 v91, 3, v0
	;; [unrolled: 3-line block ×26, first 2 shown]
	v_or_b32_e32 v0, s13, v176
	s_addk_i32 s12, 0xf840
	v_lshlrev_b32_e32 v66, 3, v0
	v_or_b32_e32 v0, s12, v176
	ds_read_b64 v[14:15], v92 offset:32768
	ds_read_b64 v[18:19], v91 offset:32768
	ds_read_b64 v[20:21], v90 offset:32768
	ds_read_b64 v[22:23], v89 offset:32768
	ds_read_b64 v[24:25], v88 offset:32768
	ds_read_b64 v[26:27], v87 offset:32768
	ds_read_b64 v[30:31], v86 offset:32768
	ds_read_b64 v[32:33], v85 offset:32768
	ds_read_b64 v[36:37], v84 offset:32768
	ds_read_b64 v[38:39], v83 offset:32768
	ds_read_b64 v[42:43], v82 offset:32768
	ds_read_b64 v[44:45], v81 offset:32768
	ds_read_b64 v[48:49], v80 offset:32768
	ds_read_b64 v[52:53], v79 offset:32768
	ds_read_b64 v[54:55], v78 offset:32768
	ds_read_b64 v[58:59], v77 offset:32768
	ds_read_b64 v[62:63], v76 offset:32768
	ds_read_b64 v[64:65], v75 offset:32768
	ds_read_b64 v[60:61], v74 offset:32768
	ds_read_b64 v[56:57], v73 offset:32768
	ds_read_b64 v[50:51], v72 offset:32768
	ds_read_b64 v[46:47], v71 offset:32768
	ds_read_b64 v[40:41], v70 offset:32768
	ds_read_b64 v[34:35], v69 offset:32768
	v_lshlrev_b32_e32 v0, 3, v0
	ds_read_b64 v[28:29], v68 offset:32768
	ds_read_b64 v[16:17], v67 offset:32768
	;; [unrolled: 1-line block ×4, first 2 shown]
	s_cmp_le_i32 s31, s9
	v_mov_b32_e32 v96, v1
	s_mov_b32 s12, s8
	s_mov_b32 s50, s31
	s_cbranch_scc1 .LBB109_22
.LBB109_21:                             ;   Parent Loop BB109_20 Depth=1
                                        ; =>  This Inner Loop Header: Depth=2
	v_mov_b32_e32 v0, s12
	ds_read_b64 v[162:163], v96
	ds_read2st64_b64 v[98:101], v0 offset0:30 offset1:31
	ds_read2st64_b64 v[102:105], v0 offset0:28 offset1:29
	;; [unrolled: 1-line block ×15, first 2 shown]
	ds_read2st64_b64 v[158:161], v0 offset1:1
	s_add_i32 s50, s50, -1
	s_add_i32 s12, s12, -8
	v_add_u32_e32 v96, 0xfffffe00, v96
	s_cmp_gt_i32 s50, s9
	s_waitcnt lgkmcnt(14)
	v_fma_f64 v[6:7], -v[162:163], v[100:101], v[6:7]
	v_fma_f64 v[10:11], -v[162:163], v[98:99], v[10:11]
	;; [unrolled: 1-line block ×4, first 2 shown]
	s_waitcnt lgkmcnt(13)
	v_fma_f64 v[14:15], -v[162:163], v[108:109], v[14:15]
	v_fma_f64 v[18:19], -v[162:163], v[106:107], v[18:19]
	s_waitcnt lgkmcnt(12)
	v_fma_f64 v[20:21], -v[162:163], v[112:113], v[20:21]
	v_fma_f64 v[22:23], -v[162:163], v[110:111], v[22:23]
	;; [unrolled: 3-line block ×14, first 2 shown]
	s_cbranch_scc1 .LBB109_21
.LBB109_22:                             ;   in Loop: Header=BB109_20 Depth=1
	s_mul_i32 s12, s9, 0x208
	v_mov_b32_e32 v0, s12
	s_add_i32 s50, s12, 0xfffffdf8
	ds_read_b64 v[100:101], v0
	v_mov_b32_e32 v0, s50
	ds_read2_b64 v[96:99], v0 offset1:1
	s_add_i32 s49, s49, s9
	v_add_u32_e32 v95, 0x8000, v95
	s_waitcnt lgkmcnt(1)
	v_mul_f64 v[6:7], v[100:101], v[6:7]
	s_lshl_b32 s49, s49, 3
	ds_write_b64 v95, v[6:7]
	s_waitcnt lgkmcnt(1)
	v_fma_f64 v[10:11], -v[6:7], v[98:99], v[10:11]
	v_mov_b32_e32 v0, s49
	s_add_i32 s49, s12, 0xfffffbf0
	v_mul_f64 v[10:11], v[96:97], v[10:11]
	v_mov_b32_e32 v95, s49
	ds_read_b64 v[100:101], v0
	ds_read2_b64 v[96:99], v95 offset1:1
	s_lshl_b32 s50, s9, 9
	s_add_i32 s48, s48, s9
	s_addk_i32 s50, 0xfe00
	s_lshl_b32 s48, s48, 3
	v_lshl_or_b32 v0, v176, 3, s50
	s_waitcnt lgkmcnt(1)
	v_fma_f64 v[8:9], -v[6:7], v[100:101], v[8:9]
	s_add_i32 s48, s48, -8
	ds_write_b64 v0, v[10:11] offset:32768
	s_waitcnt lgkmcnt(1)
	v_fma_f64 v[8:9], -v[10:11], v[98:99], v[8:9]
	v_mov_b32_e32 v0, s48
	v_mul_f64 v[8:9], v[96:97], v[8:9]
	ds_read2_b64 v[96:99], v0 offset1:1
	s_add_i32 s48, s12, 0xfffff9e8
	s_add_i32 s47, s47, s9
	v_mov_b32_e32 v0, s48
	s_lshl_b32 s47, s47, 3
	ds_read2_b64 v[100:103], v0 offset1:1
	v_mov_b32_e32 v0, s47
	s_add_i32 s47, s47, -16
	ds_write_b64 v94, v[8:9] offset:32768
	s_waitcnt lgkmcnt(2)
	v_fma_f64 v[12:13], -v[6:7], v[98:99], v[12:13]
	v_mov_b32_e32 v94, s47
	v_fma_f64 v[12:13], -v[10:11], v[96:97], v[12:13]
	ds_read_b64 v[98:99], v0
	ds_read2_b64 v[94:97], v94 offset1:1
	s_add_i32 s47, s12, 0xfffff7e0
	v_mov_b32_e32 v0, s47
	s_add_i32 s46, s46, s9
	s_waitcnt lgkmcnt(1)
	v_fma_f64 v[14:15], -v[6:7], v[98:99], v[14:15]
	s_waitcnt lgkmcnt(0)
	v_fma_f64 v[14:15], -v[10:11], v[96:97], v[14:15]
	v_fma_f64 v[14:15], -v[8:9], v[94:95], v[14:15]
	ds_read2_b64 v[94:97], v0 offset1:1
	s_lshl_b32 s46, s46, 3
	v_fma_f64 v[12:13], -v[8:9], v[102:103], v[12:13]
	s_add_i32 s47, s46, -8
	v_mul_f64 v[12:13], v[100:101], v[12:13]
	v_mov_b32_e32 v0, s47
	ds_read2_b64 v[98:101], v0 offset1:1
	s_waitcnt lgkmcnt(1)
	v_fma_f64 v[14:15], -v[12:13], v[96:97], v[14:15]
	s_sub_i32 s46, s46, 24
	v_mul_f64 v[14:15], v[94:95], v[14:15]
	v_mov_b32_e32 v0, s46
	ds_write_b64 v93, v[12:13] offset:32768
	ds_write_b64 v92, v[14:15] offset:32768
	s_add_i32 s46, s12, 0xfffff5d8
	ds_read2_b64 v[92:95], v0 offset1:1
	v_mov_b32_e32 v0, s46
	ds_read2_b64 v[102:105], v0 offset1:1
	s_waitcnt lgkmcnt(4)
	v_fma_f64 v[18:19], -v[6:7], v[100:101], v[18:19]
	v_fma_f64 v[18:19], -v[10:11], v[98:99], v[18:19]
	s_waitcnt lgkmcnt(1)
	v_fma_f64 v[18:19], -v[8:9], v[94:95], v[18:19]
	v_fma_f64 v[18:19], -v[12:13], v[92:93], v[18:19]
	s_add_i32 s45, s45, s9
	s_waitcnt lgkmcnt(0)
	v_fma_f64 v[18:19], -v[14:15], v[104:105], v[18:19]
	s_lshl_b32 s45, s45, 3
	v_mul_f64 v[18:19], v[102:103], v[18:19]
	s_add_i32 s46, s45, -8
	ds_write_b64 v91, v[18:19] offset:32768
	v_mov_b32_e32 v0, s46
	s_sub_i32 s46, s45, 24
	v_mov_b32_e32 v91, s46
	ds_read2_b64 v[92:95], v0 offset1:1
	ds_read2_b64 v[96:99], v91 offset1:1
	s_sub_i32 s45, s45, 40
	v_mov_b32_e32 v0, s45
	ds_read2_b64 v[100:103], v0 offset1:1
	s_waitcnt lgkmcnt(2)
	v_fma_f64 v[20:21], -v[6:7], v[94:95], v[20:21]
	v_fma_f64 v[20:21], -v[10:11], v[92:93], v[20:21]
	s_add_i32 s45, s12, 0xfffff3d0
	s_add_i32 s44, s44, s9
	s_waitcnt lgkmcnt(1)
	v_fma_f64 v[20:21], -v[8:9], v[98:99], v[20:21]
	v_mov_b32_e32 v0, s45
	s_lshl_b32 s44, s44, 3
	v_fma_f64 v[20:21], -v[12:13], v[96:97], v[20:21]
	ds_read_b64 v[96:97], v0
	v_mov_b32_e32 v0, s44
	s_add_i32 s45, s44, -16
	v_mov_b32_e32 v91, s45
	ds_read_b64 v[98:99], v0
	ds_read2_b64 v[92:95], v91 offset1:1
	s_waitcnt lgkmcnt(3)
	v_fma_f64 v[20:21], -v[14:15], v[102:103], v[20:21]
	v_fma_f64 v[20:21], -v[18:19], v[100:101], v[20:21]
	s_waitcnt lgkmcnt(2)
	v_mul_f64 v[20:21], v[96:97], v[20:21]
	s_waitcnt lgkmcnt(1)
	v_fma_f64 v[22:23], -v[6:7], v[98:99], v[22:23]
	s_sub_i32 s45, s44, 32
	s_sub_i32 s44, s44, 48
	ds_write_b64 v90, v[20:21] offset:32768
	s_waitcnt lgkmcnt(1)
	v_fma_f64 v[22:23], -v[10:11], v[94:95], v[22:23]
	v_mov_b32_e32 v0, s45
	v_mov_b32_e32 v94, s44
	v_fma_f64 v[22:23], -v[8:9], v[92:93], v[22:23]
	ds_read2_b64 v[90:93], v0 offset1:1
	ds_read2_b64 v[94:97], v94 offset1:1
	s_add_i32 s43, s43, s9
	s_add_i32 s44, s12, 0xfffff1c8
	s_lshl_b32 s43, s43, 3
	v_mov_b32_e32 v0, s44
	s_add_i32 s44, s43, -8
	ds_read_b64 v[98:99], v0
	s_waitcnt lgkmcnt(2)
	v_fma_f64 v[22:23], -v[12:13], v[92:93], v[22:23]
	v_mov_b32_e32 v0, s44
	v_fma_f64 v[22:23], -v[14:15], v[90:91], v[22:23]
	ds_read2_b64 v[90:93], v0 offset1:1
	s_sub_i32 s44, s43, 24
	s_waitcnt lgkmcnt(2)
	v_fma_f64 v[22:23], -v[18:19], v[96:97], v[22:23]
	v_mov_b32_e32 v0, s44
	v_fma_f64 v[22:23], -v[20:21], v[94:95], v[22:23]
	ds_read2_b64 v[94:97], v0 offset1:1
	s_sub_i32 s44, s43, 40
	;; [unrolled: 6-line block ×3, first 2 shown]
	v_mov_b32_e32 v0, s43
	v_mul_f64 v[22:23], v[98:99], v[22:23]
	ds_read2_b64 v[98:101], v0 offset1:1
	s_waitcnt lgkmcnt(2)
	v_fma_f64 v[24:25], -v[8:9], v[96:97], v[24:25]
	s_add_i32 s43, s12, 0xffffefc0
	s_add_i32 s42, s42, s9
	v_fma_f64 v[24:25], -v[12:13], v[94:95], v[24:25]
	v_mov_b32_e32 v0, s43
	s_lshl_b32 s42, s42, 3
	ds_write_b64 v89, v[22:23] offset:32768
	s_waitcnt lgkmcnt(2)
	v_fma_f64 v[24:25], -v[14:15], v[92:93], v[24:25]
	ds_read_b64 v[94:95], v0
	v_mov_b32_e32 v0, s42
	s_add_i32 s43, s42, -16
	v_fma_f64 v[24:25], -v[18:19], v[90:91], v[24:25]
	v_mov_b32_e32 v89, s43
	ds_read_b64 v[96:97], v0
	ds_read2_b64 v[90:93], v89 offset1:1
	s_waitcnt lgkmcnt(4)
	v_fma_f64 v[24:25], -v[20:21], v[100:101], v[24:25]
	v_fma_f64 v[24:25], -v[22:23], v[98:99], v[24:25]
	s_sub_i32 s43, s42, 32
	s_waitcnt lgkmcnt(2)
	v_mul_f64 v[24:25], v[94:95], v[24:25]
	s_waitcnt lgkmcnt(1)
	v_fma_f64 v[26:27], -v[6:7], v[96:97], v[26:27]
	v_mov_b32_e32 v0, s43
	s_sub_i32 s43, s42, 48
	ds_write_b64 v88, v[24:25] offset:32768
	s_waitcnt lgkmcnt(1)
	v_fma_f64 v[26:27], -v[10:11], v[92:93], v[26:27]
	v_mov_b32_e32 v92, s43
	v_fma_f64 v[26:27], -v[8:9], v[90:91], v[26:27]
	ds_read2_b64 v[88:91], v0 offset1:1
	ds_read2_b64 v[92:95], v92 offset1:1
	s_sub_i32 s42, s42, 64
	s_add_i32 s41, s41, s9
	v_mov_b32_e32 v0, s42
	s_waitcnt lgkmcnt(1)
	v_fma_f64 v[26:27], -v[12:13], v[90:91], v[26:27]
	v_fma_f64 v[26:27], -v[14:15], v[88:89], v[26:27]
	s_add_i32 s42, s12, 0xffffedb8
	s_lshl_b32 s41, s41, 3
	ds_read2_b64 v[96:99], v0 offset1:1
	s_waitcnt lgkmcnt(1)
	v_fma_f64 v[26:27], -v[18:19], v[94:95], v[26:27]
	v_mov_b32_e32 v0, s42
	s_add_i32 s42, s41, -16
	v_fma_f64 v[26:27], -v[20:21], v[92:93], v[26:27]
	ds_read_b64 v[92:93], v0
	v_mov_b32_e32 v0, s41
	v_mov_b32_e32 v88, s42
	ds_read_b64 v[94:95], v0
	ds_read2_b64 v[88:91], v88 offset1:1
	s_waitcnt lgkmcnt(3)
	v_fma_f64 v[26:27], -v[22:23], v[98:99], v[26:27]
	s_sub_i32 s42, s41, 32
	v_fma_f64 v[26:27], -v[24:25], v[96:97], v[26:27]
	s_waitcnt lgkmcnt(1)
	v_fma_f64 v[30:31], -v[6:7], v[94:95], v[30:31]
	v_mov_b32_e32 v0, s42
	v_mul_f64 v[26:27], v[92:93], v[26:27]
	s_waitcnt lgkmcnt(0)
	v_fma_f64 v[30:31], -v[10:11], v[90:91], v[30:31]
	ds_read2_b64 v[90:93], v0 offset1:1
	s_sub_i32 s42, s41, 48
	v_mov_b32_e32 v0, s42
	v_fma_f64 v[30:31], -v[8:9], v[88:89], v[30:31]
	ds_read2_b64 v[94:97], v0 offset1:1
	s_sub_i32 s41, s41, 64
	s_waitcnt lgkmcnt(1)
	v_fma_f64 v[30:31], -v[12:13], v[92:93], v[30:31]
	v_mov_b32_e32 v0, s41
	v_fma_f64 v[30:31], -v[14:15], v[90:91], v[30:31]
	ds_read2_b64 v[88:91], v0 offset1:1
	s_add_i32 s40, s40, s9
	s_add_i32 s41, s12, 0xffffebb0
	s_waitcnt lgkmcnt(1)
	v_fma_f64 v[30:31], -v[18:19], v[96:97], v[30:31]
	s_lshl_b32 s40, s40, 3
	v_mov_b32_e32 v0, s41
	v_fma_f64 v[30:31], -v[20:21], v[94:95], v[30:31]
	s_add_i32 s41, s40, -8
	ds_read2_b64 v[98:101], v0 offset1:1
	s_waitcnt lgkmcnt(1)
	v_fma_f64 v[30:31], -v[22:23], v[90:91], v[30:31]
	v_mov_b32_e32 v0, s41
	v_fma_f64 v[30:31], -v[24:25], v[88:89], v[30:31]
	ds_read2_b64 v[88:91], v0 offset1:1
	s_sub_i32 s41, s40, 24
	v_mov_b32_e32 v0, s41
	s_waitcnt lgkmcnt(1)
	v_fma_f64 v[30:31], -v[26:27], v[100:101], v[30:31]
	ds_read2_b64 v[92:95], v0 offset1:1
	s_sub_i32 s41, s40, 40
	v_mul_f64 v[30:31], v[98:99], v[30:31]
	s_waitcnt lgkmcnt(1)
	v_fma_f64 v[32:33], -v[6:7], v[90:91], v[32:33]
	v_mov_b32_e32 v0, s41
	ds_write_b64 v87, v[26:27] offset:32768
	ds_write_b64 v86, v[30:31] offset:32768
	v_fma_f64 v[32:33], -v[10:11], v[88:89], v[32:33]
	ds_read2_b64 v[86:89], v0 offset1:1
	s_sub_i32 s41, s40, 56
	v_mov_b32_e32 v0, s41
	s_waitcnt lgkmcnt(3)
	v_fma_f64 v[32:33], -v[8:9], v[94:95], v[32:33]
	ds_read2_b64 v[96:99], v0 offset1:1
	v_fma_f64 v[32:33], -v[12:13], v[92:93], v[32:33]
	s_addk_i32 s40, 0xffb8
	s_waitcnt lgkmcnt(1)
	v_fma_f64 v[32:33], -v[14:15], v[88:89], v[32:33]
	v_mov_b32_e32 v0, s40
	v_fma_f64 v[32:33], -v[18:19], v[86:87], v[32:33]
	ds_read2_b64 v[86:89], v0 offset1:1
	s_waitcnt lgkmcnt(1)
	v_fma_f64 v[32:33], -v[20:21], v[98:99], v[32:33]
	s_add_i32 s39, s39, s9
	v_fma_f64 v[32:33], -v[22:23], v[96:97], v[32:33]
	s_add_i32 s40, s12, 0xffffe9a8
	s_lshl_b32 s39, s39, 3
	v_mov_b32_e32 v0, s40
	s_waitcnt lgkmcnt(0)
	v_fma_f64 v[32:33], -v[24:25], v[88:89], v[32:33]
	s_add_i32 s40, s39, -16
	ds_read2_b64 v[90:93], v0 offset1:1
	v_fma_f64 v[32:33], -v[26:27], v[86:87], v[32:33]
	v_mov_b32_e32 v0, s39
	v_mov_b32_e32 v86, s40
	ds_read_b64 v[94:95], v0
	ds_read2_b64 v[86:89], v86 offset1:1
	s_sub_i32 s40, s39, 32
	s_waitcnt lgkmcnt(2)
	v_fma_f64 v[32:33], -v[30:31], v[92:93], v[32:33]
	v_mov_b32_e32 v0, s40
	s_waitcnt lgkmcnt(1)
	v_fma_f64 v[36:37], -v[6:7], v[94:95], v[36:37]
	v_mul_f64 v[32:33], v[90:91], v[32:33]
	s_waitcnt lgkmcnt(0)
	v_fma_f64 v[36:37], -v[10:11], v[88:89], v[36:37]
	ds_read2_b64 v[88:91], v0 offset1:1
	s_sub_i32 s40, s39, 48
	v_mov_b32_e32 v0, s40
	v_fma_f64 v[36:37], -v[8:9], v[86:87], v[36:37]
	ds_read2_b64 v[92:95], v0 offset1:1
	s_sub_i32 s40, s39, 64
	s_waitcnt lgkmcnt(1)
	v_fma_f64 v[36:37], -v[12:13], v[90:91], v[36:37]
	v_mov_b32_e32 v0, s40
	v_fma_f64 v[36:37], -v[14:15], v[88:89], v[36:37]
	ds_read2_b64 v[86:89], v0 offset1:1
	s_addk_i32 s39, 0xffb0
	v_mov_b32_e32 v0, s39
	s_waitcnt lgkmcnt(1)
	v_fma_f64 v[36:37], -v[18:19], v[94:95], v[36:37]
	ds_read2_b64 v[96:99], v0 offset1:1
	v_fma_f64 v[36:37], -v[20:21], v[92:93], v[36:37]
	s_add_i32 s39, s12, 0xffffe7a0
	s_waitcnt lgkmcnt(1)
	v_fma_f64 v[36:37], -v[22:23], v[88:89], v[36:37]
	v_mov_b32_e32 v0, s39
	v_fma_f64 v[36:37], -v[24:25], v[86:87], v[36:37]
	ds_read2_b64 v[86:89], v0 offset1:1
	s_add_i32 s38, s38, s9
	s_lshl_b32 s38, s38, 3
	s_waitcnt lgkmcnt(1)
	v_fma_f64 v[36:37], -v[26:27], v[98:99], v[36:37]
	s_add_i32 s39, s38, -8
	v_fma_f64 v[36:37], -v[30:31], v[96:97], v[36:37]
	v_mov_b32_e32 v0, s39
	ds_read2_b64 v[90:93], v0 offset1:1
	s_waitcnt lgkmcnt(1)
	v_fma_f64 v[36:37], -v[32:33], v[88:89], v[36:37]
	s_sub_i32 s39, s38, 24
	v_mul_f64 v[36:37], v[86:87], v[36:37]
	v_mov_b32_e32 v0, s39
	ds_write_b64 v85, v[32:33] offset:32768
	ds_write_b64 v84, v[36:37] offset:32768
	ds_read2_b64 v[84:87], v0 offset1:1
	s_sub_i32 s39, s38, 40
	v_mov_b32_e32 v0, s39
	s_waitcnt lgkmcnt(3)
	v_fma_f64 v[38:39], -v[6:7], v[92:93], v[38:39]
	ds_read2_b64 v[94:97], v0 offset1:1
	v_fma_f64 v[38:39], -v[10:11], v[90:91], v[38:39]
	s_sub_i32 s39, s38, 56
	s_waitcnt lgkmcnt(1)
	v_fma_f64 v[38:39], -v[8:9], v[86:87], v[38:39]
	v_mov_b32_e32 v0, s39
	v_fma_f64 v[38:39], -v[12:13], v[84:85], v[38:39]
	ds_read2_b64 v[84:87], v0 offset1:1
	s_add_i32 s39, s38, 0xffffffb8
	v_mov_b32_e32 v0, s39
	s_waitcnt lgkmcnt(1)
	v_fma_f64 v[38:39], -v[14:15], v[96:97], v[38:39]
	ds_read2_b64 v[88:91], v0 offset1:1
	v_fma_f64 v[38:39], -v[18:19], v[94:95], v[38:39]
	s_addk_i32 s38, 0xffa8
	s_waitcnt lgkmcnt(1)
	v_fma_f64 v[38:39], -v[20:21], v[86:87], v[38:39]
	v_mov_b32_e32 v0, s38
	v_fma_f64 v[38:39], -v[22:23], v[84:85], v[38:39]
	s_add_i32 s38, s12, 0xffffe598
	ds_read2_b64 v[84:87], v0 offset1:1
	s_add_i32 s37, s37, s9
	v_mov_b32_e32 v0, s38
	s_lshl_b32 s37, s37, 3
	ds_read2_b64 v[92:95], v0 offset1:1
	s_waitcnt lgkmcnt(2)
	v_fma_f64 v[38:39], -v[24:25], v[90:91], v[38:39]
	v_mov_b32_e32 v0, s37
	v_fma_f64 v[38:39], -v[26:27], v[88:89], v[38:39]
	ds_read_b64 v[88:89], v0
	s_add_i32 s38, s37, -16
	s_waitcnt lgkmcnt(2)
	v_fma_f64 v[38:39], -v[30:31], v[86:87], v[38:39]
	v_mov_b32_e32 v0, s38
	v_fma_f64 v[38:39], -v[32:33], v[84:85], v[38:39]
	ds_read2_b64 v[84:87], v0 offset1:1
	s_sub_i32 s38, s37, 32
	v_mov_b32_e32 v0, s38
	s_waitcnt lgkmcnt(1)
	v_fma_f64 v[42:43], -v[6:7], v[88:89], v[42:43]
	s_sub_i32 s38, s37, 48
	ds_read2_b64 v[88:91], v0 offset1:1
	v_fma_f64 v[38:39], -v[36:37], v[94:95], v[38:39]
	v_mov_b32_e32 v0, s38
	v_mul_f64 v[38:39], v[92:93], v[38:39]
	ds_read2_b64 v[92:95], v0 offset1:1
	s_sub_i32 s38, s37, 64
	s_waitcnt lgkmcnt(2)
	v_fma_f64 v[42:43], -v[10:11], v[86:87], v[42:43]
	v_mov_b32_e32 v0, s38
	v_fma_f64 v[42:43], -v[8:9], v[84:85], v[42:43]
	ds_read2_b64 v[84:87], v0 offset1:1
	s_waitcnt lgkmcnt(2)
	v_fma_f64 v[42:43], -v[12:13], v[90:91], v[42:43]
	v_fma_f64 v[42:43], -v[14:15], v[88:89], v[42:43]
	s_add_i32 s38, s37, 0xffffffb0
	s_waitcnt lgkmcnt(1)
	v_fma_f64 v[42:43], -v[18:19], v[94:95], v[42:43]
	v_mov_b32_e32 v0, s38
	v_fma_f64 v[42:43], -v[20:21], v[92:93], v[42:43]
	ds_read2_b64 v[88:91], v0 offset1:1
	s_addk_i32 s37, 0xffa0
	s_waitcnt lgkmcnt(1)
	v_fma_f64 v[42:43], -v[22:23], v[86:87], v[42:43]
	v_mov_b32_e32 v0, s37
	v_fma_f64 v[42:43], -v[24:25], v[84:85], v[42:43]
	ds_read2_b64 v[84:87], v0 offset1:1
	s_add_i32 s36, s36, s9
	s_add_i32 s37, s12, 0xffffe390
	s_waitcnt lgkmcnt(1)
	v_fma_f64 v[42:43], -v[26:27], v[90:91], v[42:43]
	s_lshl_b32 s36, s36, 3
	v_mov_b32_e32 v0, s37
	v_fma_f64 v[42:43], -v[30:31], v[88:89], v[42:43]
	s_add_i32 s37, s36, -8
	ds_read2_b64 v[92:95], v0 offset1:1
	s_waitcnt lgkmcnt(1)
	v_fma_f64 v[42:43], -v[32:33], v[86:87], v[42:43]
	v_mov_b32_e32 v0, s37
	v_fma_f64 v[42:43], -v[36:37], v[84:85], v[42:43]
	ds_read2_b64 v[84:87], v0 offset1:1
	s_sub_i32 s37, s36, 24
	v_mov_b32_e32 v0, s37
	s_waitcnt lgkmcnt(1)
	v_fma_f64 v[42:43], -v[38:39], v[94:95], v[42:43]
	ds_read2_b64 v[88:91], v0 offset1:1
	s_sub_i32 s37, s36, 40
	v_mul_f64 v[42:43], v[92:93], v[42:43]
	s_waitcnt lgkmcnt(1)
	v_fma_f64 v[44:45], -v[6:7], v[86:87], v[44:45]
	v_mov_b32_e32 v0, s37
	ds_write_b64 v83, v[38:39] offset:32768
	ds_write_b64 v82, v[42:43] offset:32768
	v_fma_f64 v[44:45], -v[10:11], v[84:85], v[44:45]
	ds_read2_b64 v[82:85], v0 offset1:1
	s_sub_i32 s37, s36, 56
	v_mov_b32_e32 v0, s37
	s_waitcnt lgkmcnt(3)
	v_fma_f64 v[44:45], -v[8:9], v[90:91], v[44:45]
	ds_read2_b64 v[92:95], v0 offset1:1
	v_fma_f64 v[44:45], -v[12:13], v[88:89], v[44:45]
	s_add_i32 s37, s36, 0xffffffb8
	s_waitcnt lgkmcnt(1)
	v_fma_f64 v[44:45], -v[14:15], v[84:85], v[44:45]
	v_mov_b32_e32 v0, s37
	v_fma_f64 v[44:45], -v[18:19], v[82:83], v[44:45]
	ds_read2_b64 v[82:85], v0 offset1:1
	s_add_i32 s37, s36, 0xffffffa8
	v_mov_b32_e32 v0, s37
	s_waitcnt lgkmcnt(1)
	v_fma_f64 v[44:45], -v[20:21], v[94:95], v[44:45]
	ds_read2_b64 v[86:89], v0 offset1:1
	v_fma_f64 v[44:45], -v[22:23], v[92:93], v[44:45]
	s_addk_i32 s36, 0xff98
	s_waitcnt lgkmcnt(1)
	v_fma_f64 v[44:45], -v[24:25], v[84:85], v[44:45]
	v_mov_b32_e32 v0, s36
	v_fma_f64 v[44:45], -v[26:27], v[82:83], v[44:45]
	s_add_i32 s36, s12, 0xffffe188
	ds_read2_b64 v[82:85], v0 offset1:1
	s_add_i32 s35, s35, s9
	v_mov_b32_e32 v0, s36
	s_lshl_b32 s35, s35, 3
	ds_read2_b64 v[90:93], v0 offset1:1
	s_waitcnt lgkmcnt(2)
	v_fma_f64 v[44:45], -v[30:31], v[88:89], v[44:45]
	v_mov_b32_e32 v0, s35
	v_fma_f64 v[44:45], -v[32:33], v[86:87], v[44:45]
	ds_read_b64 v[86:87], v0
	s_add_i32 s36, s35, -16
	s_waitcnt lgkmcnt(2)
	v_fma_f64 v[44:45], -v[36:37], v[84:85], v[44:45]
	v_mov_b32_e32 v0, s36
	v_fma_f64 v[44:45], -v[38:39], v[82:83], v[44:45]
	ds_read2_b64 v[82:85], v0 offset1:1
	s_sub_i32 s36, s35, 32
	v_mov_b32_e32 v0, s36
	s_waitcnt lgkmcnt(1)
	v_fma_f64 v[48:49], -v[6:7], v[86:87], v[48:49]
	s_sub_i32 s36, s35, 48
	ds_read2_b64 v[86:89], v0 offset1:1
	v_fma_f64 v[44:45], -v[42:43], v[92:93], v[44:45]
	v_mov_b32_e32 v0, s36
	v_mul_f64 v[44:45], v[90:91], v[44:45]
	ds_read2_b64 v[90:93], v0 offset1:1
	s_sub_i32 s36, s35, 64
	s_waitcnt lgkmcnt(2)
	v_fma_f64 v[48:49], -v[10:11], v[84:85], v[48:49]
	v_mov_b32_e32 v0, s36
	v_fma_f64 v[48:49], -v[8:9], v[82:83], v[48:49]
	ds_read2_b64 v[82:85], v0 offset1:1
	s_waitcnt lgkmcnt(2)
	v_fma_f64 v[48:49], -v[12:13], v[88:89], v[48:49]
	v_fma_f64 v[48:49], -v[14:15], v[86:87], v[48:49]
	s_add_i32 s36, s35, 0xffffffb0
	s_waitcnt lgkmcnt(1)
	v_fma_f64 v[48:49], -v[18:19], v[92:93], v[48:49]
	v_mov_b32_e32 v0, s36
	v_fma_f64 v[48:49], -v[20:21], v[90:91], v[48:49]
	ds_read2_b64 v[86:89], v0 offset1:1
	s_add_i32 s36, s35, 0xffffffa0
	s_waitcnt lgkmcnt(1)
	v_fma_f64 v[48:49], -v[22:23], v[84:85], v[48:49]
	v_mov_b32_e32 v0, s36
	v_fma_f64 v[48:49], -v[24:25], v[82:83], v[48:49]
	ds_read2_b64 v[82:85], v0 offset1:1
	s_addk_i32 s35, 0xff90
	v_mov_b32_e32 v0, s35
	s_waitcnt lgkmcnt(1)
	v_fma_f64 v[48:49], -v[26:27], v[88:89], v[48:49]
	ds_read2_b64 v[90:93], v0 offset1:1
	v_fma_f64 v[48:49], -v[30:31], v[86:87], v[48:49]
	s_add_i32 s35, s12, 0xffffdf80
	s_waitcnt lgkmcnt(1)
	v_fma_f64 v[48:49], -v[32:33], v[84:85], v[48:49]
	v_mov_b32_e32 v0, s35
	v_fma_f64 v[48:49], -v[36:37], v[82:83], v[48:49]
	ds_read2_b64 v[82:85], v0 offset1:1
	s_add_i32 s34, s34, s9
	s_lshl_b32 s34, s34, 3
	s_waitcnt lgkmcnt(1)
	v_fma_f64 v[48:49], -v[38:39], v[92:93], v[48:49]
	s_add_i32 s35, s34, -8
	v_fma_f64 v[48:49], -v[42:43], v[90:91], v[48:49]
	v_mov_b32_e32 v0, s35
	ds_read2_b64 v[86:89], v0 offset1:1
	s_waitcnt lgkmcnt(1)
	v_fma_f64 v[48:49], -v[44:45], v[84:85], v[48:49]
	s_sub_i32 s35, s34, 24
	v_mul_f64 v[48:49], v[82:83], v[48:49]
	v_mov_b32_e32 v0, s35
	ds_write_b64 v81, v[44:45] offset:32768
	ds_write_b64 v80, v[48:49] offset:32768
	ds_read2_b64 v[80:83], v0 offset1:1
	s_sub_i32 s35, s34, 40
	v_mov_b32_e32 v0, s35
	s_waitcnt lgkmcnt(3)
	v_fma_f64 v[52:53], -v[6:7], v[88:89], v[52:53]
	ds_read2_b64 v[90:93], v0 offset1:1
	v_fma_f64 v[52:53], -v[10:11], v[86:87], v[52:53]
	s_sub_i32 s35, s34, 56
	s_waitcnt lgkmcnt(1)
	v_fma_f64 v[52:53], -v[8:9], v[82:83], v[52:53]
	v_mov_b32_e32 v0, s35
	v_fma_f64 v[52:53], -v[12:13], v[80:81], v[52:53]
	ds_read2_b64 v[80:83], v0 offset1:1
	s_add_i32 s35, s34, 0xffffffb8
	s_waitcnt lgkmcnt(1)
	v_fma_f64 v[52:53], -v[14:15], v[92:93], v[52:53]
	v_mov_b32_e32 v0, s35
	v_fma_f64 v[52:53], -v[18:19], v[90:91], v[52:53]
	ds_read2_b64 v[84:87], v0 offset1:1
	s_add_i32 s35, s34, 0xffffffa8
	;; [unrolled: 6-line block ×3, first 2 shown]
	v_mov_b32_e32 v0, s35
	s_waitcnt lgkmcnt(1)
	v_fma_f64 v[52:53], -v[24:25], v[86:87], v[52:53]
	ds_read2_b64 v[88:91], v0 offset1:1
	v_fma_f64 v[52:53], -v[26:27], v[84:85], v[52:53]
	s_addk_i32 s34, 0xff88
	s_waitcnt lgkmcnt(1)
	v_fma_f64 v[52:53], -v[30:31], v[82:83], v[52:53]
	v_mov_b32_e32 v0, s34
	v_fma_f64 v[52:53], -v[32:33], v[80:81], v[52:53]
	ds_read2_b64 v[80:83], v0 offset1:1
	s_waitcnt lgkmcnt(1)
	v_fma_f64 v[52:53], -v[36:37], v[90:91], v[52:53]
	s_add_i32 s33, s33, s9
	v_fma_f64 v[52:53], -v[38:39], v[88:89], v[52:53]
	s_add_i32 s34, s12, 0xffffdd78
	s_lshl_b32 s33, s33, 3
	v_mov_b32_e32 v0, s34
	s_waitcnt lgkmcnt(0)
	v_fma_f64 v[52:53], -v[42:43], v[82:83], v[52:53]
	s_add_i32 s34, s33, -16
	ds_read2_b64 v[84:87], v0 offset1:1
	v_fma_f64 v[52:53], -v[44:45], v[80:81], v[52:53]
	v_mov_b32_e32 v0, s33
	v_mov_b32_e32 v80, s34
	ds_read_b64 v[88:89], v0
	ds_read2_b64 v[80:83], v80 offset1:1
	s_sub_i32 s34, s33, 32
	s_waitcnt lgkmcnt(2)
	v_fma_f64 v[52:53], -v[48:49], v[86:87], v[52:53]
	v_mov_b32_e32 v0, s34
	s_waitcnt lgkmcnt(1)
	v_fma_f64 v[54:55], -v[6:7], v[88:89], v[54:55]
	v_mul_f64 v[52:53], v[84:85], v[52:53]
	s_waitcnt lgkmcnt(0)
	v_fma_f64 v[54:55], -v[10:11], v[82:83], v[54:55]
	ds_read2_b64 v[82:85], v0 offset1:1
	s_sub_i32 s34, s33, 48
	v_mov_b32_e32 v0, s34
	v_fma_f64 v[54:55], -v[8:9], v[80:81], v[54:55]
	ds_read2_b64 v[86:89], v0 offset1:1
	s_sub_i32 s34, s33, 64
	s_waitcnt lgkmcnt(1)
	v_fma_f64 v[54:55], -v[12:13], v[84:85], v[54:55]
	v_mov_b32_e32 v0, s34
	v_fma_f64 v[54:55], -v[14:15], v[82:83], v[54:55]
	ds_read2_b64 v[80:83], v0 offset1:1
	s_add_i32 s34, s33, 0xffffffb0
	v_mov_b32_e32 v0, s34
	s_waitcnt lgkmcnt(1)
	v_fma_f64 v[54:55], -v[18:19], v[88:89], v[54:55]
	ds_read2_b64 v[90:93], v0 offset1:1
	v_fma_f64 v[54:55], -v[20:21], v[86:87], v[54:55]
	s_add_i32 s34, s33, 0xffffffa0
	s_waitcnt lgkmcnt(1)
	v_fma_f64 v[54:55], -v[22:23], v[82:83], v[54:55]
	v_mov_b32_e32 v0, s34
	v_fma_f64 v[54:55], -v[24:25], v[80:81], v[54:55]
	ds_read2_b64 v[80:83], v0 offset1:1
	s_add_i32 s34, s33, 0xffffff90
	s_waitcnt lgkmcnt(1)
	v_fma_f64 v[54:55], -v[26:27], v[92:93], v[54:55]
	v_mov_b32_e32 v0, s34
	v_fma_f64 v[54:55], -v[30:31], v[90:91], v[54:55]
	ds_read2_b64 v[84:87], v0 offset1:1
	s_addk_i32 s33, 0xff80
	s_waitcnt lgkmcnt(1)
	v_fma_f64 v[54:55], -v[32:33], v[82:83], v[54:55]
	v_mov_b32_e32 v0, s33
	v_fma_f64 v[54:55], -v[36:37], v[80:81], v[54:55]
	ds_read2_b64 v[80:83], v0 offset1:1
	s_add_i32 s29, s29, s9
	s_add_i32 s33, s12, 0xffffdb70
	s_waitcnt lgkmcnt(1)
	v_fma_f64 v[54:55], -v[38:39], v[86:87], v[54:55]
	s_lshl_b32 s29, s29, 3
	v_mov_b32_e32 v0, s33
	v_fma_f64 v[54:55], -v[42:43], v[84:85], v[54:55]
	s_add_i32 s33, s29, -8
	ds_read2_b64 v[88:91], v0 offset1:1
	s_waitcnt lgkmcnt(1)
	v_fma_f64 v[54:55], -v[44:45], v[82:83], v[54:55]
	v_mov_b32_e32 v0, s33
	v_fma_f64 v[54:55], -v[48:49], v[80:81], v[54:55]
	ds_read2_b64 v[80:83], v0 offset1:1
	s_sub_i32 s33, s29, 24
	v_mov_b32_e32 v0, s33
	s_waitcnt lgkmcnt(1)
	v_fma_f64 v[54:55], -v[52:53], v[90:91], v[54:55]
	ds_read2_b64 v[84:87], v0 offset1:1
	s_sub_i32 s33, s29, 40
	v_mul_f64 v[54:55], v[88:89], v[54:55]
	s_waitcnt lgkmcnt(1)
	v_fma_f64 v[58:59], -v[6:7], v[82:83], v[58:59]
	v_mov_b32_e32 v0, s33
	ds_write_b64 v79, v[52:53] offset:32768
	ds_write_b64 v78, v[54:55] offset:32768
	v_fma_f64 v[58:59], -v[10:11], v[80:81], v[58:59]
	ds_read2_b64 v[78:81], v0 offset1:1
	s_sub_i32 s33, s29, 56
	v_mov_b32_e32 v0, s33
	s_waitcnt lgkmcnt(3)
	v_fma_f64 v[58:59], -v[8:9], v[86:87], v[58:59]
	ds_read2_b64 v[88:91], v0 offset1:1
	v_fma_f64 v[58:59], -v[12:13], v[84:85], v[58:59]
	s_add_i32 s33, s29, 0xffffffb8
	s_waitcnt lgkmcnt(1)
	v_fma_f64 v[58:59], -v[14:15], v[80:81], v[58:59]
	v_mov_b32_e32 v0, s33
	v_fma_f64 v[58:59], -v[18:19], v[78:79], v[58:59]
	ds_read2_b64 v[78:81], v0 offset1:1
	s_add_i32 s33, s29, 0xffffffa8
	s_waitcnt lgkmcnt(1)
	v_fma_f64 v[58:59], -v[20:21], v[90:91], v[58:59]
	v_mov_b32_e32 v0, s33
	v_fma_f64 v[58:59], -v[22:23], v[88:89], v[58:59]
	ds_read2_b64 v[82:85], v0 offset1:1
	;; [unrolled: 6-line block ×3, first 2 shown]
	s_add_i32 s33, s29, 0xffffff88
	v_mov_b32_e32 v0, s33
	s_waitcnt lgkmcnt(1)
	v_fma_f64 v[58:59], -v[30:31], v[84:85], v[58:59]
	ds_read2_b64 v[86:89], v0 offset1:1
	v_fma_f64 v[58:59], -v[32:33], v[82:83], v[58:59]
	s_addk_i32 s29, 0xff78
	s_waitcnt lgkmcnt(1)
	v_fma_f64 v[58:59], -v[36:37], v[80:81], v[58:59]
	v_mov_b32_e32 v0, s29
	v_fma_f64 v[58:59], -v[38:39], v[78:79], v[58:59]
	ds_read2_b64 v[78:81], v0 offset1:1
	s_waitcnt lgkmcnt(1)
	v_fma_f64 v[58:59], -v[42:43], v[88:89], v[58:59]
	s_add_i32 s28, s28, s9
	v_fma_f64 v[58:59], -v[44:45], v[86:87], v[58:59]
	s_add_i32 s29, s12, 0xffffd968
	s_lshl_b32 s28, s28, 3
	v_mov_b32_e32 v0, s29
	s_waitcnt lgkmcnt(0)
	v_fma_f64 v[58:59], -v[48:49], v[80:81], v[58:59]
	s_add_i32 s29, s28, -16
	ds_read2_b64 v[82:85], v0 offset1:1
	v_fma_f64 v[58:59], -v[52:53], v[78:79], v[58:59]
	v_mov_b32_e32 v0, s28
	v_mov_b32_e32 v78, s29
	ds_read_b64 v[86:87], v0
	ds_read2_b64 v[78:81], v78 offset1:1
	s_sub_i32 s29, s28, 32
	s_waitcnt lgkmcnt(2)
	v_fma_f64 v[58:59], -v[54:55], v[84:85], v[58:59]
	v_mov_b32_e32 v0, s29
	s_waitcnt lgkmcnt(1)
	v_fma_f64 v[62:63], -v[6:7], v[86:87], v[62:63]
	v_mul_f64 v[58:59], v[82:83], v[58:59]
	s_waitcnt lgkmcnt(0)
	v_fma_f64 v[62:63], -v[10:11], v[80:81], v[62:63]
	ds_read2_b64 v[80:83], v0 offset1:1
	s_sub_i32 s29, s28, 48
	v_mov_b32_e32 v0, s29
	v_fma_f64 v[62:63], -v[8:9], v[78:79], v[62:63]
	ds_read2_b64 v[84:87], v0 offset1:1
	s_sub_i32 s29, s28, 64
	s_waitcnt lgkmcnt(1)
	v_fma_f64 v[62:63], -v[12:13], v[82:83], v[62:63]
	v_mov_b32_e32 v0, s29
	v_fma_f64 v[62:63], -v[14:15], v[80:81], v[62:63]
	ds_read2_b64 v[78:81], v0 offset1:1
	s_add_i32 s29, s28, 0xffffffb0
	v_mov_b32_e32 v0, s29
	s_waitcnt lgkmcnt(1)
	v_fma_f64 v[62:63], -v[18:19], v[86:87], v[62:63]
	ds_read2_b64 v[88:91], v0 offset1:1
	v_fma_f64 v[62:63], -v[20:21], v[84:85], v[62:63]
	s_add_i32 s29, s28, 0xffffffa0
	s_waitcnt lgkmcnt(1)
	v_fma_f64 v[62:63], -v[22:23], v[80:81], v[62:63]
	v_mov_b32_e32 v0, s29
	v_fma_f64 v[62:63], -v[24:25], v[78:79], v[62:63]
	ds_read2_b64 v[78:81], v0 offset1:1
	s_add_i32 s29, s28, 0xffffff90
	s_waitcnt lgkmcnt(1)
	v_fma_f64 v[62:63], -v[26:27], v[90:91], v[62:63]
	v_mov_b32_e32 v0, s29
	v_fma_f64 v[62:63], -v[30:31], v[88:89], v[62:63]
	ds_read2_b64 v[82:85], v0 offset1:1
	s_add_i32 s29, s28, 0xffffff80
	s_waitcnt lgkmcnt(1)
	v_fma_f64 v[62:63], -v[32:33], v[80:81], v[62:63]
	v_mov_b32_e32 v0, s29
	v_fma_f64 v[62:63], -v[36:37], v[78:79], v[62:63]
	ds_read2_b64 v[78:81], v0 offset1:1
	s_addk_i32 s28, 0xff70
	v_mov_b32_e32 v0, s28
	s_waitcnt lgkmcnt(1)
	v_fma_f64 v[62:63], -v[38:39], v[84:85], v[62:63]
	ds_read2_b64 v[86:89], v0 offset1:1
	v_fma_f64 v[62:63], -v[42:43], v[82:83], v[62:63]
	s_add_i32 s28, s12, 0xffffd760
	s_waitcnt lgkmcnt(1)
	v_fma_f64 v[62:63], -v[44:45], v[80:81], v[62:63]
	v_mov_b32_e32 v0, s28
	v_fma_f64 v[62:63], -v[48:49], v[78:79], v[62:63]
	ds_read2_b64 v[78:81], v0 offset1:1
	s_add_i32 s27, s27, s9
	s_lshl_b32 s27, s27, 3
	s_waitcnt lgkmcnt(1)
	v_fma_f64 v[62:63], -v[52:53], v[88:89], v[62:63]
	s_add_i32 s28, s27, -8
	v_fma_f64 v[62:63], -v[54:55], v[86:87], v[62:63]
	v_mov_b32_e32 v0, s28
	ds_read2_b64 v[82:85], v0 offset1:1
	s_waitcnt lgkmcnt(1)
	v_fma_f64 v[62:63], -v[58:59], v[80:81], v[62:63]
	s_sub_i32 s28, s27, 24
	v_mul_f64 v[62:63], v[78:79], v[62:63]
	v_mov_b32_e32 v0, s28
	ds_write_b64 v77, v[58:59] offset:32768
	ds_write_b64 v76, v[62:63] offset:32768
	ds_read2_b64 v[76:79], v0 offset1:1
	s_sub_i32 s28, s27, 40
	v_mov_b32_e32 v0, s28
	s_waitcnt lgkmcnt(3)
	v_fma_f64 v[64:65], -v[6:7], v[84:85], v[64:65]
	ds_read2_b64 v[86:89], v0 offset1:1
	v_fma_f64 v[64:65], -v[10:11], v[82:83], v[64:65]
	s_sub_i32 s28, s27, 56
	s_waitcnt lgkmcnt(1)
	v_fma_f64 v[64:65], -v[8:9], v[78:79], v[64:65]
	v_mov_b32_e32 v0, s28
	v_fma_f64 v[64:65], -v[12:13], v[76:77], v[64:65]
	ds_read2_b64 v[76:79], v0 offset1:1
	s_add_i32 s28, s27, 0xffffffb8
	s_waitcnt lgkmcnt(1)
	v_fma_f64 v[64:65], -v[14:15], v[88:89], v[64:65]
	v_mov_b32_e32 v0, s28
	v_fma_f64 v[64:65], -v[18:19], v[86:87], v[64:65]
	ds_read2_b64 v[80:83], v0 offset1:1
	s_add_i32 s28, s27, 0xffffffa8
	;; [unrolled: 6-line block ×3, first 2 shown]
	v_mov_b32_e32 v0, s28
	s_waitcnt lgkmcnt(1)
	v_fma_f64 v[64:65], -v[24:25], v[82:83], v[64:65]
	ds_read2_b64 v[84:87], v0 offset1:1
	v_fma_f64 v[64:65], -v[26:27], v[80:81], v[64:65]
	s_add_i32 s28, s27, 0xffffff88
	s_waitcnt lgkmcnt(1)
	v_fma_f64 v[64:65], -v[30:31], v[78:79], v[64:65]
	v_mov_b32_e32 v0, s28
	v_fma_f64 v[64:65], -v[32:33], v[76:77], v[64:65]
	ds_read2_b64 v[76:79], v0 offset1:1
	s_add_i32 s28, s27, 0xffffff78
	v_mov_b32_e32 v0, s28
	s_waitcnt lgkmcnt(1)
	v_fma_f64 v[64:65], -v[36:37], v[86:87], v[64:65]
	ds_read2_b64 v[80:83], v0 offset1:1
	v_fma_f64 v[64:65], -v[38:39], v[84:85], v[64:65]
	s_addk_i32 s27, 0xff68
	s_waitcnt lgkmcnt(1)
	v_fma_f64 v[64:65], -v[42:43], v[78:79], v[64:65]
	v_mov_b32_e32 v0, s27
	v_fma_f64 v[64:65], -v[44:45], v[76:77], v[64:65]
	s_add_i32 s27, s12, 0xffffd558
	ds_read2_b64 v[76:79], v0 offset1:1
	s_add_i32 s26, s26, s9
	v_mov_b32_e32 v0, s27
	s_lshl_b32 s26, s26, 3
	ds_read2_b64 v[84:87], v0 offset1:1
	s_waitcnt lgkmcnt(2)
	v_fma_f64 v[64:65], -v[48:49], v[82:83], v[64:65]
	v_mov_b32_e32 v0, s26
	v_fma_f64 v[64:65], -v[52:53], v[80:81], v[64:65]
	ds_read_b64 v[80:81], v0
	s_add_i32 s27, s26, -16
	s_waitcnt lgkmcnt(2)
	v_fma_f64 v[64:65], -v[54:55], v[78:79], v[64:65]
	v_mov_b32_e32 v0, s27
	v_fma_f64 v[64:65], -v[58:59], v[76:77], v[64:65]
	ds_read2_b64 v[76:79], v0 offset1:1
	s_sub_i32 s27, s26, 32
	v_mov_b32_e32 v0, s27
	s_waitcnt lgkmcnt(1)
	v_fma_f64 v[60:61], -v[6:7], v[80:81], v[60:61]
	s_sub_i32 s27, s26, 48
	ds_read2_b64 v[80:83], v0 offset1:1
	v_fma_f64 v[64:65], -v[62:63], v[86:87], v[64:65]
	v_mov_b32_e32 v0, s27
	v_mul_f64 v[64:65], v[84:85], v[64:65]
	ds_read2_b64 v[84:87], v0 offset1:1
	s_sub_i32 s27, s26, 64
	s_waitcnt lgkmcnt(2)
	v_fma_f64 v[60:61], -v[10:11], v[78:79], v[60:61]
	v_mov_b32_e32 v0, s27
	v_fma_f64 v[60:61], -v[8:9], v[76:77], v[60:61]
	ds_read2_b64 v[76:79], v0 offset1:1
	s_waitcnt lgkmcnt(2)
	v_fma_f64 v[60:61], -v[12:13], v[82:83], v[60:61]
	v_fma_f64 v[60:61], -v[14:15], v[80:81], v[60:61]
	s_add_i32 s27, s26, 0xffffffb0
	s_waitcnt lgkmcnt(1)
	v_fma_f64 v[60:61], -v[18:19], v[86:87], v[60:61]
	v_mov_b32_e32 v0, s27
	v_fma_f64 v[60:61], -v[20:21], v[84:85], v[60:61]
	ds_read2_b64 v[80:83], v0 offset1:1
	s_add_i32 s27, s26, 0xffffffa0
	s_waitcnt lgkmcnt(1)
	v_fma_f64 v[60:61], -v[22:23], v[78:79], v[60:61]
	v_mov_b32_e32 v0, s27
	v_fma_f64 v[60:61], -v[24:25], v[76:77], v[60:61]
	ds_read2_b64 v[76:79], v0 offset1:1
	s_add_i32 s27, s26, 0xffffff90
	v_mov_b32_e32 v0, s27
	s_waitcnt lgkmcnt(1)
	v_fma_f64 v[60:61], -v[26:27], v[82:83], v[60:61]
	ds_read2_b64 v[84:87], v0 offset1:1
	v_fma_f64 v[60:61], -v[30:31], v[80:81], v[60:61]
	s_add_i32 s27, s26, 0xffffff80
	s_waitcnt lgkmcnt(1)
	v_fma_f64 v[60:61], -v[32:33], v[78:79], v[60:61]
	v_mov_b32_e32 v0, s27
	v_fma_f64 v[60:61], -v[36:37], v[76:77], v[60:61]
	ds_read2_b64 v[76:79], v0 offset1:1
	s_add_i32 s27, s26, 0xffffff70
	s_waitcnt lgkmcnt(1)
	v_fma_f64 v[60:61], -v[38:39], v[86:87], v[60:61]
	v_mov_b32_e32 v0, s27
	v_fma_f64 v[60:61], -v[42:43], v[84:85], v[60:61]
	ds_read2_b64 v[80:83], v0 offset1:1
	s_addk_i32 s26, 0xff60
	s_waitcnt lgkmcnt(1)
	v_fma_f64 v[60:61], -v[44:45], v[78:79], v[60:61]
	v_mov_b32_e32 v0, s26
	v_fma_f64 v[60:61], -v[48:49], v[76:77], v[60:61]
	ds_read2_b64 v[76:79], v0 offset1:1
	s_add_i32 s25, s25, s9
	s_add_i32 s26, s12, 0xffffd350
	s_waitcnt lgkmcnt(1)
	v_fma_f64 v[60:61], -v[52:53], v[82:83], v[60:61]
	s_lshl_b32 s25, s25, 3
	v_mov_b32_e32 v0, s26
	v_fma_f64 v[60:61], -v[54:55], v[80:81], v[60:61]
	s_add_i32 s26, s25, -8
	ds_read2_b64 v[84:87], v0 offset1:1
	s_waitcnt lgkmcnt(1)
	v_fma_f64 v[60:61], -v[58:59], v[78:79], v[60:61]
	v_mov_b32_e32 v0, s26
	v_fma_f64 v[60:61], -v[62:63], v[76:77], v[60:61]
	ds_read2_b64 v[76:79], v0 offset1:1
	s_sub_i32 s26, s25, 24
	v_mov_b32_e32 v0, s26
	s_waitcnt lgkmcnt(1)
	v_fma_f64 v[60:61], -v[64:65], v[86:87], v[60:61]
	ds_read2_b64 v[80:83], v0 offset1:1
	s_sub_i32 s26, s25, 40
	v_mul_f64 v[60:61], v[84:85], v[60:61]
	s_waitcnt lgkmcnt(1)
	v_fma_f64 v[56:57], -v[6:7], v[78:79], v[56:57]
	v_mov_b32_e32 v0, s26
	ds_write_b64 v75, v[64:65] offset:32768
	ds_write_b64 v74, v[60:61] offset:32768
	v_fma_f64 v[56:57], -v[10:11], v[76:77], v[56:57]
	ds_read2_b64 v[74:77], v0 offset1:1
	s_sub_i32 s26, s25, 56
	v_mov_b32_e32 v0, s26
	s_waitcnt lgkmcnt(3)
	v_fma_f64 v[56:57], -v[8:9], v[82:83], v[56:57]
	ds_read2_b64 v[84:87], v0 offset1:1
	v_fma_f64 v[56:57], -v[12:13], v[80:81], v[56:57]
	s_add_i32 s26, s25, 0xffffffb8
	s_waitcnt lgkmcnt(1)
	v_fma_f64 v[56:57], -v[14:15], v[76:77], v[56:57]
	v_mov_b32_e32 v0, s26
	v_fma_f64 v[56:57], -v[18:19], v[74:75], v[56:57]
	ds_read2_b64 v[74:77], v0 offset1:1
	s_add_i32 s26, s25, 0xffffffa8
	s_waitcnt lgkmcnt(1)
	v_fma_f64 v[56:57], -v[20:21], v[86:87], v[56:57]
	v_mov_b32_e32 v0, s26
	v_fma_f64 v[56:57], -v[22:23], v[84:85], v[56:57]
	ds_read2_b64 v[78:81], v0 offset1:1
	;; [unrolled: 6-line block ×3, first 2 shown]
	s_add_i32 s26, s25, 0xffffff88
	v_mov_b32_e32 v0, s26
	s_waitcnt lgkmcnt(1)
	v_fma_f64 v[56:57], -v[30:31], v[80:81], v[56:57]
	ds_read2_b64 v[82:85], v0 offset1:1
	v_fma_f64 v[56:57], -v[32:33], v[78:79], v[56:57]
	s_add_i32 s26, s25, 0xffffff78
	s_waitcnt lgkmcnt(1)
	v_fma_f64 v[56:57], -v[36:37], v[76:77], v[56:57]
	v_mov_b32_e32 v0, s26
	v_fma_f64 v[56:57], -v[38:39], v[74:75], v[56:57]
	ds_read2_b64 v[74:77], v0 offset1:1
	s_add_i32 s26, s25, 0xffffff68
	v_mov_b32_e32 v0, s26
	s_waitcnt lgkmcnt(1)
	v_fma_f64 v[56:57], -v[42:43], v[84:85], v[56:57]
	ds_read2_b64 v[78:81], v0 offset1:1
	v_fma_f64 v[56:57], -v[44:45], v[82:83], v[56:57]
	s_addk_i32 s25, 0xff58
	s_waitcnt lgkmcnt(1)
	v_fma_f64 v[56:57], -v[48:49], v[76:77], v[56:57]
	v_mov_b32_e32 v0, s25
	v_fma_f64 v[56:57], -v[52:53], v[74:75], v[56:57]
	s_add_i32 s25, s12, 0xffffd148
	ds_read2_b64 v[74:77], v0 offset1:1
	s_add_i32 s21, s21, s9
	v_mov_b32_e32 v0, s25
	s_lshl_b32 s21, s21, 3
	ds_read2_b64 v[82:85], v0 offset1:1
	s_waitcnt lgkmcnt(2)
	v_fma_f64 v[56:57], -v[54:55], v[80:81], v[56:57]
	v_mov_b32_e32 v0, s21
	v_fma_f64 v[56:57], -v[58:59], v[78:79], v[56:57]
	ds_read_b64 v[78:79], v0
	s_add_i32 s25, s21, -16
	s_waitcnt lgkmcnt(2)
	v_fma_f64 v[56:57], -v[62:63], v[76:77], v[56:57]
	v_mov_b32_e32 v0, s25
	v_fma_f64 v[56:57], -v[64:65], v[74:75], v[56:57]
	ds_read2_b64 v[74:77], v0 offset1:1
	s_sub_i32 s25, s21, 32
	v_mov_b32_e32 v0, s25
	s_waitcnt lgkmcnt(1)
	v_fma_f64 v[50:51], -v[6:7], v[78:79], v[50:51]
	s_sub_i32 s25, s21, 48
	ds_read2_b64 v[78:81], v0 offset1:1
	v_fma_f64 v[56:57], -v[60:61], v[84:85], v[56:57]
	v_mov_b32_e32 v0, s25
	v_mul_f64 v[56:57], v[82:83], v[56:57]
	ds_read2_b64 v[82:85], v0 offset1:1
	s_sub_i32 s25, s21, 64
	s_waitcnt lgkmcnt(2)
	v_fma_f64 v[50:51], -v[10:11], v[76:77], v[50:51]
	v_mov_b32_e32 v0, s25
	v_fma_f64 v[50:51], -v[8:9], v[74:75], v[50:51]
	ds_read2_b64 v[74:77], v0 offset1:1
	s_waitcnt lgkmcnt(2)
	v_fma_f64 v[50:51], -v[12:13], v[80:81], v[50:51]
	v_fma_f64 v[50:51], -v[14:15], v[78:79], v[50:51]
	s_add_i32 s25, s21, 0xffffffb0
	s_waitcnt lgkmcnt(1)
	v_fma_f64 v[50:51], -v[18:19], v[84:85], v[50:51]
	v_mov_b32_e32 v0, s25
	v_fma_f64 v[50:51], -v[20:21], v[82:83], v[50:51]
	ds_read2_b64 v[78:81], v0 offset1:1
	s_add_i32 s25, s21, 0xffffffa0
	s_waitcnt lgkmcnt(1)
	v_fma_f64 v[50:51], -v[22:23], v[76:77], v[50:51]
	v_mov_b32_e32 v0, s25
	v_fma_f64 v[50:51], -v[24:25], v[74:75], v[50:51]
	ds_read2_b64 v[74:77], v0 offset1:1
	s_add_i32 s25, s21, 0xffffff90
	v_mov_b32_e32 v0, s25
	s_waitcnt lgkmcnt(1)
	v_fma_f64 v[50:51], -v[26:27], v[80:81], v[50:51]
	ds_read2_b64 v[82:85], v0 offset1:1
	v_fma_f64 v[50:51], -v[30:31], v[78:79], v[50:51]
	s_add_i32 s25, s21, 0xffffff80
	s_waitcnt lgkmcnt(1)
	v_fma_f64 v[50:51], -v[32:33], v[76:77], v[50:51]
	v_mov_b32_e32 v0, s25
	v_fma_f64 v[50:51], -v[36:37], v[74:75], v[50:51]
	ds_read2_b64 v[74:77], v0 offset1:1
	s_add_i32 s25, s21, 0xffffff70
	s_waitcnt lgkmcnt(1)
	v_fma_f64 v[50:51], -v[38:39], v[84:85], v[50:51]
	v_mov_b32_e32 v0, s25
	v_fma_f64 v[50:51], -v[42:43], v[82:83], v[50:51]
	ds_read2_b64 v[78:81], v0 offset1:1
	;; [unrolled: 6-line block ×3, first 2 shown]
	s_addk_i32 s21, 0xff50
	v_mov_b32_e32 v0, s21
	s_waitcnt lgkmcnt(1)
	v_fma_f64 v[50:51], -v[52:53], v[80:81], v[50:51]
	ds_read2_b64 v[82:85], v0 offset1:1
	v_fma_f64 v[50:51], -v[54:55], v[78:79], v[50:51]
	s_add_i32 s21, s12, 0xffffcf40
	s_waitcnt lgkmcnt(1)
	v_fma_f64 v[50:51], -v[58:59], v[76:77], v[50:51]
	v_mov_b32_e32 v0, s21
	v_fma_f64 v[50:51], -v[62:63], v[74:75], v[50:51]
	ds_read2_b64 v[74:77], v0 offset1:1
	s_add_i32 s20, s20, s9
	s_lshl_b32 s20, s20, 3
	s_waitcnt lgkmcnt(1)
	v_fma_f64 v[50:51], -v[64:65], v[84:85], v[50:51]
	s_add_i32 s21, s20, -8
	v_fma_f64 v[50:51], -v[60:61], v[82:83], v[50:51]
	v_mov_b32_e32 v0, s21
	ds_read2_b64 v[78:81], v0 offset1:1
	s_waitcnt lgkmcnt(1)
	v_fma_f64 v[50:51], -v[56:57], v[76:77], v[50:51]
	s_sub_i32 s21, s20, 24
	v_mul_f64 v[50:51], v[74:75], v[50:51]
	v_mov_b32_e32 v0, s21
	ds_write_b64 v73, v[56:57] offset:32768
	ds_write_b64 v72, v[50:51] offset:32768
	ds_read2_b64 v[72:75], v0 offset1:1
	s_sub_i32 s21, s20, 40
	v_mov_b32_e32 v0, s21
	s_waitcnt lgkmcnt(3)
	v_fma_f64 v[46:47], -v[6:7], v[80:81], v[46:47]
	ds_read2_b64 v[82:85], v0 offset1:1
	v_fma_f64 v[46:47], -v[10:11], v[78:79], v[46:47]
	s_sub_i32 s21, s20, 56
	s_waitcnt lgkmcnt(1)
	v_fma_f64 v[46:47], -v[8:9], v[74:75], v[46:47]
	v_mov_b32_e32 v0, s21
	v_fma_f64 v[46:47], -v[12:13], v[72:73], v[46:47]
	ds_read2_b64 v[72:75], v0 offset1:1
	s_add_i32 s21, s20, 0xffffffb8
	s_waitcnt lgkmcnt(1)
	v_fma_f64 v[46:47], -v[14:15], v[84:85], v[46:47]
	v_mov_b32_e32 v0, s21
	v_fma_f64 v[46:47], -v[18:19], v[82:83], v[46:47]
	ds_read2_b64 v[76:79], v0 offset1:1
	s_add_i32 s21, s20, 0xffffffa8
	;; [unrolled: 6-line block ×3, first 2 shown]
	v_mov_b32_e32 v0, s21
	s_waitcnt lgkmcnt(1)
	v_fma_f64 v[46:47], -v[24:25], v[78:79], v[46:47]
	ds_read2_b64 v[80:83], v0 offset1:1
	v_fma_f64 v[46:47], -v[26:27], v[76:77], v[46:47]
	s_add_i32 s21, s20, 0xffffff88
	s_waitcnt lgkmcnt(1)
	v_fma_f64 v[46:47], -v[30:31], v[74:75], v[46:47]
	v_mov_b32_e32 v0, s21
	v_fma_f64 v[46:47], -v[32:33], v[72:73], v[46:47]
	ds_read2_b64 v[72:75], v0 offset1:1
	s_add_i32 s21, s20, 0xffffff78
	s_waitcnt lgkmcnt(1)
	v_fma_f64 v[46:47], -v[36:37], v[82:83], v[46:47]
	v_mov_b32_e32 v0, s21
	v_fma_f64 v[46:47], -v[38:39], v[80:81], v[46:47]
	ds_read2_b64 v[76:79], v0 offset1:1
	;; [unrolled: 6-line block ×3, first 2 shown]
	s_add_i32 s21, s20, 0xffffff58
	v_mov_b32_e32 v0, s21
	s_waitcnt lgkmcnt(1)
	v_fma_f64 v[46:47], -v[48:49], v[78:79], v[46:47]
	ds_read2_b64 v[80:83], v0 offset1:1
	v_fma_f64 v[46:47], -v[52:53], v[76:77], v[46:47]
	s_addk_i32 s20, 0xff48
	s_waitcnt lgkmcnt(1)
	v_fma_f64 v[46:47], -v[54:55], v[74:75], v[46:47]
	v_mov_b32_e32 v0, s20
	v_fma_f64 v[46:47], -v[58:59], v[72:73], v[46:47]
	ds_read2_b64 v[72:75], v0 offset1:1
	s_waitcnt lgkmcnt(1)
	v_fma_f64 v[46:47], -v[62:63], v[82:83], v[46:47]
	s_add_i32 s19, s19, s9
	v_fma_f64 v[46:47], -v[64:65], v[80:81], v[46:47]
	s_add_i32 s20, s12, 0xffffcd38
	s_lshl_b32 s19, s19, 3
	v_mov_b32_e32 v0, s20
	s_waitcnt lgkmcnt(0)
	v_fma_f64 v[46:47], -v[60:61], v[74:75], v[46:47]
	s_add_i32 s20, s19, -16
	ds_read2_b64 v[76:79], v0 offset1:1
	v_fma_f64 v[46:47], -v[56:57], v[72:73], v[46:47]
	v_mov_b32_e32 v0, s19
	v_mov_b32_e32 v72, s20
	ds_read_b64 v[80:81], v0
	ds_read2_b64 v[72:75], v72 offset1:1
	s_sub_i32 s20, s19, 32
	s_waitcnt lgkmcnt(2)
	v_fma_f64 v[46:47], -v[50:51], v[78:79], v[46:47]
	v_mov_b32_e32 v0, s20
	s_waitcnt lgkmcnt(1)
	v_fma_f64 v[40:41], -v[6:7], v[80:81], v[40:41]
	v_mul_f64 v[46:47], v[76:77], v[46:47]
	s_waitcnt lgkmcnt(0)
	v_fma_f64 v[40:41], -v[10:11], v[74:75], v[40:41]
	ds_read2_b64 v[74:77], v0 offset1:1
	s_sub_i32 s20, s19, 48
	v_mov_b32_e32 v0, s20
	v_fma_f64 v[40:41], -v[8:9], v[72:73], v[40:41]
	ds_read2_b64 v[78:81], v0 offset1:1
	s_sub_i32 s20, s19, 64
	s_waitcnt lgkmcnt(1)
	v_fma_f64 v[40:41], -v[12:13], v[76:77], v[40:41]
	v_mov_b32_e32 v0, s20
	v_fma_f64 v[40:41], -v[14:15], v[74:75], v[40:41]
	ds_read2_b64 v[72:75], v0 offset1:1
	s_add_i32 s20, s19, 0xffffffb0
	v_mov_b32_e32 v0, s20
	s_waitcnt lgkmcnt(1)
	v_fma_f64 v[40:41], -v[18:19], v[80:81], v[40:41]
	ds_read2_b64 v[82:85], v0 offset1:1
	v_fma_f64 v[40:41], -v[20:21], v[78:79], v[40:41]
	s_add_i32 s20, s19, 0xffffffa0
	s_waitcnt lgkmcnt(1)
	v_fma_f64 v[40:41], -v[22:23], v[74:75], v[40:41]
	v_mov_b32_e32 v0, s20
	v_fma_f64 v[40:41], -v[24:25], v[72:73], v[40:41]
	ds_read2_b64 v[72:75], v0 offset1:1
	s_add_i32 s20, s19, 0xffffff90
	s_waitcnt lgkmcnt(1)
	v_fma_f64 v[40:41], -v[26:27], v[84:85], v[40:41]
	v_mov_b32_e32 v0, s20
	v_fma_f64 v[40:41], -v[30:31], v[82:83], v[40:41]
	ds_read2_b64 v[76:79], v0 offset1:1
	s_add_i32 s20, s19, 0xffffff80
	s_waitcnt lgkmcnt(1)
	v_fma_f64 v[40:41], -v[32:33], v[74:75], v[40:41]
	v_mov_b32_e32 v0, s20
	v_fma_f64 v[40:41], -v[36:37], v[72:73], v[40:41]
	ds_read2_b64 v[72:75], v0 offset1:1
	s_add_i32 s20, s19, 0xffffff70
	v_mov_b32_e32 v0, s20
	s_waitcnt lgkmcnt(1)
	v_fma_f64 v[40:41], -v[38:39], v[78:79], v[40:41]
	ds_read2_b64 v[80:83], v0 offset1:1
	v_fma_f64 v[40:41], -v[42:43], v[76:77], v[40:41]
	s_add_i32 s20, s19, 0xffffff60
	s_waitcnt lgkmcnt(1)
	v_fma_f64 v[40:41], -v[44:45], v[74:75], v[40:41]
	v_mov_b32_e32 v0, s20
	v_fma_f64 v[40:41], -v[48:49], v[72:73], v[40:41]
	ds_read2_b64 v[72:75], v0 offset1:1
	s_add_i32 s20, s19, 0xffffff50
	s_waitcnt lgkmcnt(1)
	v_fma_f64 v[40:41], -v[52:53], v[82:83], v[40:41]
	v_mov_b32_e32 v0, s20
	v_fma_f64 v[40:41], -v[54:55], v[80:81], v[40:41]
	ds_read2_b64 v[76:79], v0 offset1:1
	s_addk_i32 s19, 0xff40
	s_waitcnt lgkmcnt(1)
	v_fma_f64 v[40:41], -v[58:59], v[74:75], v[40:41]
	v_mov_b32_e32 v0, s19
	v_fma_f64 v[40:41], -v[62:63], v[72:73], v[40:41]
	ds_read2_b64 v[72:75], v0 offset1:1
	s_add_i32 s18, s18, s9
	s_add_i32 s19, s12, 0xffffcb30
	s_waitcnt lgkmcnt(1)
	v_fma_f64 v[40:41], -v[64:65], v[78:79], v[40:41]
	s_lshl_b32 s18, s18, 3
	v_mov_b32_e32 v0, s19
	v_fma_f64 v[40:41], -v[60:61], v[76:77], v[40:41]
	s_add_i32 s19, s18, -8
	ds_read2_b64 v[80:83], v0 offset1:1
	s_waitcnt lgkmcnt(1)
	v_fma_f64 v[40:41], -v[56:57], v[74:75], v[40:41]
	v_mov_b32_e32 v0, s19
	v_fma_f64 v[40:41], -v[50:51], v[72:73], v[40:41]
	ds_read2_b64 v[72:75], v0 offset1:1
	s_sub_i32 s19, s18, 24
	v_mov_b32_e32 v0, s19
	s_waitcnt lgkmcnt(1)
	v_fma_f64 v[40:41], -v[46:47], v[82:83], v[40:41]
	ds_read2_b64 v[76:79], v0 offset1:1
	s_sub_i32 s19, s18, 40
	v_mul_f64 v[40:41], v[80:81], v[40:41]
	s_waitcnt lgkmcnt(1)
	v_fma_f64 v[34:35], -v[6:7], v[74:75], v[34:35]
	v_mov_b32_e32 v0, s19
	ds_write_b64 v71, v[46:47] offset:32768
	ds_write_b64 v70, v[40:41] offset:32768
	v_fma_f64 v[34:35], -v[10:11], v[72:73], v[34:35]
	ds_read2_b64 v[70:73], v0 offset1:1
	s_sub_i32 s19, s18, 56
	v_mov_b32_e32 v0, s19
	s_waitcnt lgkmcnt(3)
	v_fma_f64 v[34:35], -v[8:9], v[78:79], v[34:35]
	ds_read2_b64 v[80:83], v0 offset1:1
	v_fma_f64 v[34:35], -v[12:13], v[76:77], v[34:35]
	s_add_i32 s19, s18, 0xffffffb8
	s_waitcnt lgkmcnt(1)
	v_fma_f64 v[34:35], -v[14:15], v[72:73], v[34:35]
	v_mov_b32_e32 v0, s19
	v_fma_f64 v[34:35], -v[18:19], v[70:71], v[34:35]
	ds_read2_b64 v[70:73], v0 offset1:1
	s_add_i32 s19, s18, 0xffffffa8
	s_waitcnt lgkmcnt(1)
	v_fma_f64 v[34:35], -v[20:21], v[82:83], v[34:35]
	v_mov_b32_e32 v0, s19
	v_fma_f64 v[34:35], -v[22:23], v[80:81], v[34:35]
	ds_read2_b64 v[74:77], v0 offset1:1
	;; [unrolled: 6-line block ×3, first 2 shown]
	s_add_i32 s19, s18, 0xffffff88
	v_mov_b32_e32 v0, s19
	s_waitcnt lgkmcnt(1)
	v_fma_f64 v[34:35], -v[30:31], v[76:77], v[34:35]
	ds_read2_b64 v[78:81], v0 offset1:1
	v_fma_f64 v[34:35], -v[32:33], v[74:75], v[34:35]
	s_add_i32 s19, s18, 0xffffff78
	s_waitcnt lgkmcnt(1)
	v_fma_f64 v[34:35], -v[36:37], v[72:73], v[34:35]
	v_mov_b32_e32 v0, s19
	v_fma_f64 v[34:35], -v[38:39], v[70:71], v[34:35]
	ds_read2_b64 v[70:73], v0 offset1:1
	s_add_i32 s19, s18, 0xffffff68
	s_waitcnt lgkmcnt(1)
	v_fma_f64 v[34:35], -v[42:43], v[80:81], v[34:35]
	v_mov_b32_e32 v0, s19
	v_fma_f64 v[34:35], -v[44:45], v[78:79], v[34:35]
	ds_read2_b64 v[74:77], v0 offset1:1
	s_add_i32 s19, s18, 0xffffff58
	s_waitcnt lgkmcnt(1)
	v_fma_f64 v[34:35], -v[48:49], v[72:73], v[34:35]
	v_mov_b32_e32 v0, s19
	v_fma_f64 v[34:35], -v[52:53], v[70:71], v[34:35]
	ds_read2_b64 v[70:73], v0 offset1:1
	s_add_i32 s19, s18, 0xffffff48
	v_mov_b32_e32 v0, s19
	s_waitcnt lgkmcnt(1)
	v_fma_f64 v[34:35], -v[54:55], v[76:77], v[34:35]
	ds_read2_b64 v[78:81], v0 offset1:1
	v_fma_f64 v[34:35], -v[58:59], v[74:75], v[34:35]
	s_addk_i32 s18, 0xff38
	s_waitcnt lgkmcnt(1)
	v_fma_f64 v[34:35], -v[62:63], v[72:73], v[34:35]
	v_mov_b32_e32 v0, s18
	v_fma_f64 v[34:35], -v[64:65], v[70:71], v[34:35]
	ds_read2_b64 v[70:73], v0 offset1:1
	s_waitcnt lgkmcnt(1)
	v_fma_f64 v[34:35], -v[60:61], v[80:81], v[34:35]
	s_add_i32 s17, s17, s9
	v_fma_f64 v[34:35], -v[56:57], v[78:79], v[34:35]
	s_add_i32 s18, s12, 0xffffc928
	s_lshl_b32 s17, s17, 3
	v_mov_b32_e32 v0, s18
	s_waitcnt lgkmcnt(0)
	v_fma_f64 v[34:35], -v[50:51], v[72:73], v[34:35]
	s_add_i32 s18, s17, -16
	ds_read2_b64 v[74:77], v0 offset1:1
	v_fma_f64 v[34:35], -v[46:47], v[70:71], v[34:35]
	v_mov_b32_e32 v0, s17
	v_mov_b32_e32 v70, s18
	ds_read_b64 v[78:79], v0
	ds_read2_b64 v[70:73], v70 offset1:1
	s_sub_i32 s18, s17, 32
	s_waitcnt lgkmcnt(2)
	v_fma_f64 v[34:35], -v[40:41], v[76:77], v[34:35]
	v_mov_b32_e32 v0, s18
	s_waitcnt lgkmcnt(1)
	v_fma_f64 v[28:29], -v[6:7], v[78:79], v[28:29]
	v_mul_f64 v[34:35], v[74:75], v[34:35]
	s_waitcnt lgkmcnt(0)
	v_fma_f64 v[28:29], -v[10:11], v[72:73], v[28:29]
	ds_read2_b64 v[72:75], v0 offset1:1
	s_sub_i32 s18, s17, 48
	v_mov_b32_e32 v0, s18
	v_fma_f64 v[28:29], -v[8:9], v[70:71], v[28:29]
	ds_read2_b64 v[76:79], v0 offset1:1
	s_sub_i32 s18, s17, 64
	s_waitcnt lgkmcnt(1)
	v_fma_f64 v[28:29], -v[12:13], v[74:75], v[28:29]
	v_mov_b32_e32 v0, s18
	v_fma_f64 v[28:29], -v[14:15], v[72:73], v[28:29]
	ds_read2_b64 v[70:73], v0 offset1:1
	s_add_i32 s18, s17, 0xffffffb0
	v_mov_b32_e32 v0, s18
	s_waitcnt lgkmcnt(1)
	v_fma_f64 v[28:29], -v[18:19], v[78:79], v[28:29]
	ds_read2_b64 v[80:83], v0 offset1:1
	v_fma_f64 v[28:29], -v[20:21], v[76:77], v[28:29]
	s_add_i32 s18, s17, 0xffffffa0
	s_waitcnt lgkmcnt(1)
	v_fma_f64 v[28:29], -v[22:23], v[72:73], v[28:29]
	v_mov_b32_e32 v0, s18
	v_fma_f64 v[28:29], -v[24:25], v[70:71], v[28:29]
	ds_read2_b64 v[70:73], v0 offset1:1
	s_add_i32 s18, s17, 0xffffff90
	s_waitcnt lgkmcnt(1)
	v_fma_f64 v[28:29], -v[26:27], v[82:83], v[28:29]
	v_mov_b32_e32 v0, s18
	v_fma_f64 v[28:29], -v[30:31], v[80:81], v[28:29]
	ds_read2_b64 v[74:77], v0 offset1:1
	;; [unrolled: 6-line block ×3, first 2 shown]
	s_add_i32 s18, s17, 0xffffff70
	v_mov_b32_e32 v0, s18
	s_waitcnt lgkmcnt(1)
	v_fma_f64 v[28:29], -v[38:39], v[76:77], v[28:29]
	ds_read2_b64 v[78:81], v0 offset1:1
	v_fma_f64 v[28:29], -v[42:43], v[74:75], v[28:29]
	s_add_i32 s18, s17, 0xffffff60
	s_waitcnt lgkmcnt(1)
	v_fma_f64 v[28:29], -v[44:45], v[72:73], v[28:29]
	v_mov_b32_e32 v0, s18
	v_fma_f64 v[28:29], -v[48:49], v[70:71], v[28:29]
	ds_read2_b64 v[70:73], v0 offset1:1
	s_add_i32 s18, s17, 0xffffff50
	s_waitcnt lgkmcnt(1)
	v_fma_f64 v[28:29], -v[52:53], v[80:81], v[28:29]
	v_mov_b32_e32 v0, s18
	v_fma_f64 v[28:29], -v[54:55], v[78:79], v[28:29]
	ds_read2_b64 v[74:77], v0 offset1:1
	;; [unrolled: 6-line block ×3, first 2 shown]
	s_addk_i32 s17, 0xff30
	v_mov_b32_e32 v0, s17
	s_waitcnt lgkmcnt(1)
	v_fma_f64 v[28:29], -v[64:65], v[76:77], v[28:29]
	ds_read2_b64 v[78:81], v0 offset1:1
	v_fma_f64 v[28:29], -v[60:61], v[74:75], v[28:29]
	s_add_i32 s17, s12, 0xffffc720
	s_waitcnt lgkmcnt(1)
	v_fma_f64 v[28:29], -v[56:57], v[72:73], v[28:29]
	v_mov_b32_e32 v0, s17
	v_fma_f64 v[28:29], -v[50:51], v[70:71], v[28:29]
	ds_read2_b64 v[70:73], v0 offset1:1
	s_add_i32 s16, s16, s9
	s_lshl_b32 s16, s16, 3
	s_waitcnt lgkmcnt(1)
	v_fma_f64 v[28:29], -v[46:47], v[80:81], v[28:29]
	s_add_i32 s17, s16, -8
	v_fma_f64 v[28:29], -v[40:41], v[78:79], v[28:29]
	v_mov_b32_e32 v0, s17
	ds_read2_b64 v[74:77], v0 offset1:1
	s_waitcnt lgkmcnt(1)
	v_fma_f64 v[28:29], -v[34:35], v[72:73], v[28:29]
	s_sub_i32 s17, s16, 24
	v_mul_f64 v[28:29], v[70:71], v[28:29]
	v_mov_b32_e32 v0, s17
	ds_write_b64 v69, v[34:35] offset:32768
	ds_write_b64 v68, v[28:29] offset:32768
	ds_read2_b64 v[68:71], v0 offset1:1
	s_sub_i32 s17, s16, 40
	v_mov_b32_e32 v0, s17
	s_waitcnt lgkmcnt(3)
	v_fma_f64 v[16:17], -v[6:7], v[76:77], v[16:17]
	ds_read2_b64 v[78:81], v0 offset1:1
	v_fma_f64 v[16:17], -v[10:11], v[74:75], v[16:17]
	s_sub_i32 s17, s16, 56
	s_waitcnt lgkmcnt(1)
	v_fma_f64 v[16:17], -v[8:9], v[70:71], v[16:17]
	v_mov_b32_e32 v0, s17
	v_fma_f64 v[16:17], -v[12:13], v[68:69], v[16:17]
	ds_read2_b64 v[68:71], v0 offset1:1
	s_add_i32 s17, s16, 0xffffffb8
	s_waitcnt lgkmcnt(1)
	v_fma_f64 v[16:17], -v[14:15], v[80:81], v[16:17]
	v_mov_b32_e32 v0, s17
	v_fma_f64 v[16:17], -v[18:19], v[78:79], v[16:17]
	ds_read2_b64 v[72:75], v0 offset1:1
	s_add_i32 s17, s16, 0xffffffa8
	;; [unrolled: 6-line block ×3, first 2 shown]
	v_mov_b32_e32 v0, s17
	s_waitcnt lgkmcnt(1)
	v_fma_f64 v[16:17], -v[24:25], v[74:75], v[16:17]
	ds_read2_b64 v[76:79], v0 offset1:1
	v_fma_f64 v[16:17], -v[26:27], v[72:73], v[16:17]
	s_add_i32 s17, s16, 0xffffff88
	s_waitcnt lgkmcnt(1)
	v_fma_f64 v[16:17], -v[30:31], v[70:71], v[16:17]
	v_mov_b32_e32 v0, s17
	v_fma_f64 v[16:17], -v[32:33], v[68:69], v[16:17]
	ds_read2_b64 v[68:71], v0 offset1:1
	s_add_i32 s17, s16, 0xffffff78
	s_waitcnt lgkmcnt(1)
	v_fma_f64 v[16:17], -v[36:37], v[78:79], v[16:17]
	v_mov_b32_e32 v0, s17
	v_fma_f64 v[16:17], -v[38:39], v[76:77], v[16:17]
	ds_read2_b64 v[72:75], v0 offset1:1
	;; [unrolled: 6-line block ×3, first 2 shown]
	s_add_i32 s17, s16, 0xffffff58
	v_mov_b32_e32 v0, s17
	s_waitcnt lgkmcnt(1)
	v_fma_f64 v[16:17], -v[48:49], v[74:75], v[16:17]
	ds_read2_b64 v[76:79], v0 offset1:1
	v_fma_f64 v[16:17], -v[52:53], v[72:73], v[16:17]
	s_add_i32 s17, s16, 0xffffff48
	s_waitcnt lgkmcnt(1)
	v_fma_f64 v[16:17], -v[54:55], v[70:71], v[16:17]
	v_mov_b32_e32 v0, s17
	v_fma_f64 v[16:17], -v[58:59], v[68:69], v[16:17]
	ds_read2_b64 v[68:71], v0 offset1:1
	s_add_i32 s17, s16, 0xffffff38
	v_mov_b32_e32 v0, s17
	s_waitcnt lgkmcnt(1)
	v_fma_f64 v[16:17], -v[62:63], v[78:79], v[16:17]
	ds_read2_b64 v[72:75], v0 offset1:1
	v_fma_f64 v[16:17], -v[64:65], v[76:77], v[16:17]
	s_addk_i32 s16, 0xff28
	s_waitcnt lgkmcnt(1)
	v_fma_f64 v[16:17], -v[60:61], v[70:71], v[16:17]
	v_mov_b32_e32 v0, s16
	v_fma_f64 v[16:17], -v[56:57], v[68:69], v[16:17]
	s_add_i32 s16, s12, 0xffffc518
	ds_read2_b64 v[68:71], v0 offset1:1
	s_add_i32 s13, s13, s9
	v_mov_b32_e32 v0, s16
	s_lshl_b32 s13, s13, 3
	ds_read2_b64 v[76:79], v0 offset1:1
	s_waitcnt lgkmcnt(2)
	v_fma_f64 v[16:17], -v[50:51], v[74:75], v[16:17]
	v_mov_b32_e32 v0, s13
	v_fma_f64 v[16:17], -v[46:47], v[72:73], v[16:17]
	ds_read_b64 v[72:73], v0
	s_add_i32 s16, s13, -16
	s_waitcnt lgkmcnt(2)
	v_fma_f64 v[16:17], -v[40:41], v[70:71], v[16:17]
	v_mov_b32_e32 v0, s16
	v_fma_f64 v[16:17], -v[34:35], v[68:69], v[16:17]
	ds_read2_b64 v[68:71], v0 offset1:1
	s_sub_i32 s16, s13, 32
	v_mov_b32_e32 v0, s16
	s_waitcnt lgkmcnt(1)
	v_fma_f64 v[4:5], -v[6:7], v[72:73], v[4:5]
	s_sub_i32 s16, s13, 48
	ds_read2_b64 v[72:75], v0 offset1:1
	v_fma_f64 v[16:17], -v[28:29], v[78:79], v[16:17]
	v_mov_b32_e32 v0, s16
	v_mul_f64 v[16:17], v[76:77], v[16:17]
	ds_read2_b64 v[76:79], v0 offset1:1
	s_sub_i32 s16, s13, 64
	s_waitcnt lgkmcnt(2)
	v_fma_f64 v[4:5], -v[10:11], v[70:71], v[4:5]
	v_mov_b32_e32 v0, s16
	v_fma_f64 v[4:5], -v[8:9], v[68:69], v[4:5]
	ds_read2_b64 v[68:71], v0 offset1:1
	s_waitcnt lgkmcnt(2)
	v_fma_f64 v[4:5], -v[12:13], v[74:75], v[4:5]
	v_fma_f64 v[4:5], -v[14:15], v[72:73], v[4:5]
	s_add_i32 s16, s13, 0xffffffb0
	s_waitcnt lgkmcnt(1)
	v_fma_f64 v[4:5], -v[18:19], v[78:79], v[4:5]
	v_mov_b32_e32 v0, s16
	v_fma_f64 v[4:5], -v[20:21], v[76:77], v[4:5]
	ds_read2_b64 v[72:75], v0 offset1:1
	s_add_i32 s16, s13, 0xffffffa0
	s_waitcnt lgkmcnt(1)
	v_fma_f64 v[4:5], -v[22:23], v[70:71], v[4:5]
	v_mov_b32_e32 v0, s16
	v_fma_f64 v[4:5], -v[24:25], v[68:69], v[4:5]
	ds_read2_b64 v[68:71], v0 offset1:1
	s_add_i32 s16, s13, 0xffffff90
	v_mov_b32_e32 v0, s16
	s_waitcnt lgkmcnt(1)
	v_fma_f64 v[4:5], -v[26:27], v[74:75], v[4:5]
	ds_read2_b64 v[76:79], v0 offset1:1
	v_fma_f64 v[4:5], -v[30:31], v[72:73], v[4:5]
	s_add_i32 s16, s13, 0xffffff80
	s_waitcnt lgkmcnt(1)
	v_fma_f64 v[4:5], -v[32:33], v[70:71], v[4:5]
	v_mov_b32_e32 v0, s16
	v_fma_f64 v[4:5], -v[36:37], v[68:69], v[4:5]
	ds_read2_b64 v[68:71], v0 offset1:1
	s_add_i32 s16, s13, 0xffffff70
	s_waitcnt lgkmcnt(1)
	v_fma_f64 v[4:5], -v[38:39], v[78:79], v[4:5]
	v_mov_b32_e32 v0, s16
	v_fma_f64 v[4:5], -v[42:43], v[76:77], v[4:5]
	ds_read2_b64 v[72:75], v0 offset1:1
	;; [unrolled: 6-line block ×3, first 2 shown]
	s_add_i32 s16, s13, 0xffffff50
	v_mov_b32_e32 v0, s16
	s_waitcnt lgkmcnt(1)
	v_fma_f64 v[4:5], -v[52:53], v[74:75], v[4:5]
	ds_read2_b64 v[76:79], v0 offset1:1
	v_fma_f64 v[4:5], -v[54:55], v[72:73], v[4:5]
	s_add_i32 s16, s13, 0xffffff40
	s_waitcnt lgkmcnt(1)
	v_fma_f64 v[4:5], -v[58:59], v[70:71], v[4:5]
	v_mov_b32_e32 v0, s16
	v_fma_f64 v[4:5], -v[62:63], v[68:69], v[4:5]
	ds_read2_b64 v[68:71], v0 offset1:1
	s_add_i32 s16, s13, 0xffffff30
	s_waitcnt lgkmcnt(1)
	v_fma_f64 v[4:5], -v[64:65], v[78:79], v[4:5]
	v_mov_b32_e32 v0, s16
	v_fma_f64 v[4:5], -v[60:61], v[76:77], v[4:5]
	ds_read2_b64 v[72:75], v0 offset1:1
	s_addk_i32 s13, 0xff20
	s_waitcnt lgkmcnt(1)
	v_fma_f64 v[4:5], -v[56:57], v[70:71], v[4:5]
	v_mov_b32_e32 v0, s13
	s_add_i32 s13, s12, 0xffffc310
	v_fma_f64 v[4:5], -v[50:51], v[68:69], v[4:5]
	ds_read2_b64 v[68:71], v0 offset1:1
	v_mov_b32_e32 v0, s13
	s_sub_i32 s13, s9, 31
	s_lshl_b32 s13, s13, 6
	s_add_i32 s16, s13, s9
	s_waitcnt lgkmcnt(1)
	v_fma_f64 v[4:5], -v[46:47], v[74:75], v[4:5]
	s_lshl_b32 s16, s16, 3
	v_fma_f64 v[4:5], -v[40:41], v[72:73], v[4:5]
	s_add_i32 s17, s16, -8
	ds_read2_b64 v[76:79], v0 offset1:1
	s_waitcnt lgkmcnt(1)
	v_fma_f64 v[4:5], -v[34:35], v[70:71], v[4:5]
	v_mov_b32_e32 v0, s17
	v_fma_f64 v[4:5], -v[28:29], v[68:69], v[4:5]
	ds_read2_b64 v[68:71], v0 offset1:1
	s_sub_i32 s17, s16, 24
	v_mov_b32_e32 v0, s17
	ds_read2_b64 v[72:75], v0 offset1:1
	s_sub_i32 s17, s16, 40
	s_waitcnt lgkmcnt(2)
	v_fma_f64 v[4:5], -v[16:17], v[78:79], v[4:5]
	s_waitcnt lgkmcnt(1)
	v_fma_f64 v[2:3], -v[6:7], v[70:71], v[2:3]
	v_mov_b32_e32 v0, s17
	v_mul_f64 v[76:77], v[76:77], v[4:5]
	v_fma_f64 v[6:7], -v[10:11], v[68:69], v[2:3]
	s_sub_i32 s17, s16, 56
	ds_read2_b64 v[2:5], v0 offset1:1
	v_mov_b32_e32 v0, s17
	ds_write_b64 v67, v[16:17] offset:32768
	ds_write_b64 v66, v[76:77] offset:32768
	ds_read2_b64 v[66:69], v0 offset1:1
	s_waitcnt lgkmcnt(4)
	v_fma_f64 v[6:7], -v[8:9], v[74:75], v[6:7]
	v_fma_f64 v[6:7], -v[12:13], v[72:73], v[6:7]
	s_waitcnt lgkmcnt(3)
	v_fma_f64 v[4:5], -v[14:15], v[4:5], v[6:7]
	s_add_i32 s17, s16, 0xffffffb8
	v_fma_f64 v[2:3], -v[18:19], v[2:3], v[4:5]
	v_mov_b32_e32 v0, s17
	s_waitcnt lgkmcnt(0)
	v_fma_f64 v[6:7], -v[20:21], v[68:69], v[2:3]
	ds_read2_b64 v[2:5], v0 offset1:1
	s_add_i32 s17, s16, 0xffffffa8
	v_mov_b32_e32 v0, s17
	v_fma_f64 v[10:11], -v[22:23], v[66:67], v[6:7]
	ds_read2_b64 v[6:9], v0 offset1:1
	s_add_i32 s17, s16, 0xffffff98
	s_waitcnt lgkmcnt(1)
	v_fma_f64 v[4:5], -v[24:25], v[4:5], v[10:11]
	v_mov_b32_e32 v0, s17
	v_fma_f64 v[14:15], -v[26:27], v[2:3], v[4:5]
	s_add_i32 s17, s16, 0xffffff88
	ds_read2_b64 v[2:5], v0 offset1:1
	v_mov_b32_e32 v0, s17
	ds_read2_b64 v[10:13], v0 offset1:1
	s_waitcnt lgkmcnt(2)
	v_fma_f64 v[8:9], -v[30:31], v[8:9], v[14:15]
	v_fma_f64 v[6:7], -v[32:33], v[6:7], v[8:9]
	s_waitcnt lgkmcnt(1)
	v_fma_f64 v[4:5], -v[36:37], v[4:5], v[6:7]
	s_add_i32 s17, s16, 0xffffff78
	v_fma_f64 v[2:3], -v[38:39], v[2:3], v[4:5]
	v_mov_b32_e32 v0, s17
	s_waitcnt lgkmcnt(0)
	v_fma_f64 v[6:7], -v[42:43], v[12:13], v[2:3]
	ds_read2_b64 v[2:5], v0 offset1:1
	s_add_i32 s17, s16, 0xffffff68
	v_mov_b32_e32 v0, s17
	v_fma_f64 v[10:11], -v[44:45], v[10:11], v[6:7]
	ds_read2_b64 v[6:9], v0 offset1:1
	s_add_i32 s17, s16, 0xffffff58
	s_waitcnt lgkmcnt(1)
	v_fma_f64 v[4:5], -v[48:49], v[4:5], v[10:11]
	v_mov_b32_e32 v0, s17
	v_fma_f64 v[14:15], -v[52:53], v[2:3], v[4:5]
	s_add_i32 s17, s16, 0xffffff48
	ds_read2_b64 v[2:5], v0 offset1:1
	v_mov_b32_e32 v0, s17
	ds_read2_b64 v[10:13], v0 offset1:1
	s_waitcnt lgkmcnt(2)
	v_fma_f64 v[8:9], -v[54:55], v[8:9], v[14:15]
	v_fma_f64 v[6:7], -v[58:59], v[6:7], v[8:9]
	s_waitcnt lgkmcnt(1)
	v_fma_f64 v[4:5], -v[62:63], v[4:5], v[6:7]
	s_add_i32 s17, s16, 0xffffff38
	v_fma_f64 v[2:3], -v[64:65], v[2:3], v[4:5]
	v_mov_b32_e32 v0, s17
	s_waitcnt lgkmcnt(0)
	v_fma_f64 v[6:7], -v[60:61], v[12:13], v[2:3]
	ds_read2_b64 v[2:5], v0 offset1:1
	s_add_i32 s17, s16, 0xffffff28
	v_mov_b32_e32 v0, s17
	v_fma_f64 v[10:11], -v[56:57], v[10:11], v[6:7]
	ds_read2_b64 v[6:9], v0 offset1:1
	s_addk_i32 s16, 0xff18
	s_waitcnt lgkmcnt(1)
	v_fma_f64 v[4:5], -v[50:51], v[4:5], v[10:11]
	v_mov_b32_e32 v0, s16
	v_fma_f64 v[14:15], -v[46:47], v[2:3], v[4:5]
	s_addk_i32 s12, 0xc108
	ds_read2_b64 v[2:5], v0 offset1:1
	v_mov_b32_e32 v0, s12
	ds_read2_b64 v[10:13], v0 offset1:1
	s_waitcnt lgkmcnt(2)
	v_fma_f64 v[8:9], -v[40:41], v[8:9], v[14:15]
	v_fma_f64 v[6:7], -v[34:35], v[6:7], v[8:9]
	s_waitcnt lgkmcnt(1)
	v_fma_f64 v[4:5], -v[28:29], v[4:5], v[6:7]
	v_fma_f64 v[2:3], -v[16:17], v[2:3], v[4:5]
	s_waitcnt lgkmcnt(0)
	v_fma_f64 v[2:3], -v[76:77], v[12:13], v[2:3]
	v_or_b32_e32 v0, s13, v176
	s_sub_i32 s12, s9, 32
	s_addk_i32 s8, 0xc000
	v_mul_f64 v[2:3], v[10:11], v[2:3]
	v_lshlrev_b32_e32 v0, 3, v0
	s_cmp_gt_i32 s9, 62
	ds_write_b64 v0, v[2:3] offset:32768
	s_cbranch_scc0 .LBB109_24
; %bb.23:                               ;   in Loop: Header=BB109_20 Depth=1
	s_mov_b32 s9, s12
	s_branch .LBB109_20
.LBB109_24:
	s_cmp_gt_i32 s12, -1
	s_cbranch_scc0 .LBB109_45
; %bb.25:
	s_cmp_lt_u32 s12, 3
	s_cbranch_scc1 .LBB109_31
; %bb.26:
	s_lshl_b32 s8, s12, 9
	s_lshl_b32 s9, s30, 3
	v_lshlrev_b32_e32 v0, 3, v176
	s_add_i32 s8, s8, s9
	v_lshl_or_b32 v0, s30, 9, v0
	s_addk_i32 s8, 0xf9f8
	v_add_u32_e32 v1, 0x7e00, v0
.LBB109_27:                             ; =>This Loop Header: Depth=1
                                        ;     Child Loop BB109_28 Depth 2
	s_lshl_b32 s9, s12, 6
	v_or_b32_e32 v0, s9, v176
	s_sub_i32 s13, s9, 64
	v_lshlrev_b32_e32 v12, 3, v0
	v_or_b32_e32 v0, s13, v176
	s_add_i32 s13, s9, 0xffffff80
	v_or_b32_e32 v2, s13, v176
	s_addk_i32 s9, 0xff40
	v_lshlrev_b32_e32 v11, 3, v2
	v_or_b32_e32 v2, s9, v176
	v_lshlrev_b32_e32 v0, 3, v0
	v_lshlrev_b32_e32 v10, 3, v2
	ds_read_b64 v[8:9], v12 offset:32768
	ds_read_b64 v[6:7], v0 offset:32768
	;; [unrolled: 1-line block ×4, first 2 shown]
	s_cmp_le_i32 s31, s12
	v_mov_b32_e32 v13, v1
	s_mov_b32 s16, s8
	s_mov_b32 s17, s31
	s_cbranch_scc1 .LBB109_29
.LBB109_28:                             ;   Parent Loop BB109_27 Depth=1
                                        ; =>  This Inner Loop Header: Depth=2
	v_mov_b32_e32 v0, s16
	ds_read_b64 v[22:23], v13
	ds_read2st64_b64 v[14:17], v0 offset0:2 offset1:3
	ds_read2st64_b64 v[18:21], v0 offset1:1
	s_add_i32 s17, s17, -1
	s_add_i32 s16, s16, -8
	v_add_u32_e32 v13, 0xfffffe00, v13
	s_cmp_gt_i32 s17, s12
	s_waitcnt lgkmcnt(1)
	v_fma_f64 v[8:9], -v[22:23], v[16:17], v[8:9]
	v_fma_f64 v[6:7], -v[22:23], v[14:15], v[6:7]
	s_waitcnt lgkmcnt(0)
	v_fma_f64 v[4:5], -v[22:23], v[20:21], v[4:5]
	v_fma_f64 v[2:3], -v[22:23], v[18:19], v[2:3]
	s_cbranch_scc1 .LBB109_28
.LBB109_29:                             ;   in Loop: Header=BB109_27 Depth=1
	s_mul_i32 s16, s12, 0x208
	v_mov_b32_e32 v0, s16
	s_add_i32 s17, s16, 0xfffffdf8
	ds_read_b64 v[18:19], v0
	v_mov_b32_e32 v0, s17
	ds_read2_b64 v[14:17], v0 offset1:1
	s_add_i32 s13, s13, s12
	s_lshl_b32 s13, s13, 3
	s_waitcnt lgkmcnt(1)
	v_mul_f64 v[20:21], v[18:19], v[8:9]
	v_add_u32_e32 v12, 0x8000, v12
	s_waitcnt lgkmcnt(0)
	v_fma_f64 v[6:7], -v[20:21], v[16:17], v[6:7]
	v_mov_b32_e32 v0, s13
	s_add_i32 s13, s16, 0xfffffbf0
	ds_write_b64 v12, v[20:21]
	v_mul_f64 v[22:23], v[14:15], v[6:7]
	v_mov_b32_e32 v6, s13
	s_lshl_b32 s17, s12, 9
	ds_read_b64 v[12:13], v0
	ds_read2_b64 v[6:9], v6 offset1:1
	s_add_i32 s9, s9, s12
	s_addk_i32 s17, 0xfe00
	s_lshl_b32 s9, s9, 3
	v_lshl_or_b32 v0, v176, 3, s17
	s_add_i32 s9, s9, -8
	ds_write_b64 v0, v[22:23] offset:32768
	v_mov_b32_e32 v0, s9
	s_waitcnt lgkmcnt(2)
	v_fma_f64 v[4:5], -v[20:21], v[12:13], v[4:5]
	s_add_i32 s9, s16, 0xfffff9e8
	ds_read2_b64 v[12:15], v0 offset1:1
	v_mov_b32_e32 v0, s9
	ds_read2_b64 v[16:19], v0 offset1:1
	s_waitcnt lgkmcnt(3)
	v_fma_f64 v[4:5], -v[22:23], v[8:9], v[4:5]
	v_mul_f64 v[4:5], v[6:7], v[4:5]
	s_waitcnt lgkmcnt(1)
	v_fma_f64 v[2:3], -v[20:21], v[14:15], v[2:3]
	v_fma_f64 v[2:3], -v[22:23], v[12:13], v[2:3]
	s_waitcnt lgkmcnt(0)
	v_fma_f64 v[2:3], -v[4:5], v[18:19], v[2:3]
	s_add_i32 s9, s12, -4
	s_addk_i32 s8, 0xf800
	v_mul_f64 v[2:3], v[16:17], v[2:3]
	s_cmp_gt_i32 s12, 6
	ds_write_b64 v11, v[4:5] offset:32768
	ds_write_b64 v10, v[2:3] offset:32768
	s_cbranch_scc0 .LBB109_32
; %bb.30:                               ;   in Loop: Header=BB109_27 Depth=1
	s_mov_b32 s12, s9
	s_branch .LBB109_27
.LBB109_31:
	s_mov_b32 s9, s12
.LBB109_32:
	s_cmp_lt_i32 s9, 0
	s_cbranch_scc1 .LBB109_45
; %bb.33:
	s_bitcmp1_b32 s9, 0
	s_cselect_b64 s[12:13], -1, 0
	s_and_b64 vcc, exec, s[12:13]
	s_mov_b32 s8, s9
	s_cbranch_vccnz .LBB109_38
; %bb.34:
	v_lshlrev_b32_e32 v4, 3, v176
	v_lshl_or_b32 v1, s9, 9, v4
	ds_read_b64 v[2:3], v1 offset:32768
	s_cmp_le_i32 s31, s9
	s_cbranch_scc1 .LBB109_37
; %bb.35:
	s_lshl_b32 s8, s9, 9
	s_lshl_b32 s12, s30, 3
	s_add_i32 s8, s8, s12
	v_lshl_or_b32 v0, s30, 9, v4
	s_add_i32 s8, s8, -8
	v_add_u32_e32 v4, 0x7e00, v0
	s_mov_b32 s12, s31
.LBB109_36:                             ; =>This Inner Loop Header: Depth=1
	v_mov_b32_e32 v0, s8
	ds_read_b64 v[6:7], v4
	ds_read_b64 v[8:9], v0
	s_add_i32 s12, s12, -1
	s_add_i32 s8, s8, -8
	v_add_u32_e32 v4, 0xfffffe00, v4
	s_cmp_gt_i32 s12, s9
	s_waitcnt lgkmcnt(0)
	v_fma_f64 v[2:3], -v[6:7], v[8:9], v[2:3]
	s_cbranch_scc1 .LBB109_36
.LBB109_37:
	s_mul_i32 s8, s9, 0x208
	v_mov_b32_e32 v0, s8
	ds_read_b64 v[4:5], v0
	v_add_u32_e32 v1, 0x8000, v1
	s_add_i32 s8, s9, -1
	s_waitcnt lgkmcnt(0)
	v_mul_f64 v[2:3], v[4:5], v[2:3]
	ds_write_b64 v1, v[2:3]
.LBB109_38:
	s_cmp_eq_u32 s9, 0
	s_cbranch_scc1 .LBB109_45
; %bb.39:
	s_lshl_b32 s9, s8, 9
	s_lshl_b32 s12, s30, 3
	v_lshlrev_b32_e32 v1, 3, v176
	s_add_i32 s12, s9, s12
	v_lshl_or_b32 v0, s30, 9, v1
	s_add_i32 s9, s12, -8
	v_add_u32_e32 v6, 0x7e00, v0
	s_addk_i32 s12, 0xfdf8
	s_branch .LBB109_41
.LBB109_40:                             ;   in Loop: Header=BB109_41 Depth=1
	s_addk_i32 s13, 0xfdf8
	v_mov_b32_e32 v0, s13
	ds_read_b64 v[8:9], v0
	s_add_i32 s13, s8, -2
	s_addk_i32 s9, 0xfc00
	s_addk_i32 s12, 0xfc00
	v_add_u32_e32 v4, 0x8000, v7
	s_cmp_lt_i32 s8, 2
	s_waitcnt lgkmcnt(0)
	v_mul_f64 v[2:3], v[8:9], v[2:3]
	s_mov_b32 s8, s13
	ds_write_b64 v4, v[2:3]
	s_cbranch_scc1 .LBB109_45
.LBB109_41:                             ; =>This Loop Header: Depth=1
                                        ;     Child Loop BB109_42 Depth 2
                                        ;     Child Loop BB109_44 Depth 2
	v_lshl_or_b32 v2, s8, 9, v1
	ds_read_b64 v[4:5], v2 offset:32768
	s_cmp_le_i32 s31, s8
	v_mov_b32_e32 v3, v6
	s_mov_b32 s13, s9
	s_mov_b32 s16, s31
	s_cbranch_scc1 .LBB109_43
.LBB109_42:                             ;   Parent Loop BB109_41 Depth=1
                                        ; =>  This Inner Loop Header: Depth=2
	v_mov_b32_e32 v0, s13
	ds_read_b64 v[8:9], v3
	ds_read_b64 v[10:11], v0
	s_add_i32 s16, s16, -1
	s_add_i32 s13, s13, -8
	v_add_u32_e32 v3, 0xfffffe00, v3
	s_cmp_gt_i32 s16, s8
	s_waitcnt lgkmcnt(0)
	v_fma_f64 v[4:5], -v[8:9], v[10:11], v[4:5]
	s_cbranch_scc1 .LBB109_42
.LBB109_43:                             ;   in Loop: Header=BB109_41 Depth=1
	s_mul_i32 s13, s8, 0x208
	v_mov_b32_e32 v0, s13
	s_lshl_b32 s16, s8, 9
	ds_read_b64 v[10:11], v0
	s_addk_i32 s16, 0xfe00
	v_lshl_or_b32 v7, v176, 3, s16
	v_add_u32_e32 v8, 0x8000, v2
	ds_read_b64 v[2:3], v7 offset:32768
	s_waitcnt lgkmcnt(1)
	v_mul_f64 v[4:5], v[10:11], v[4:5]
	ds_write_b64 v8, v[4:5]
	s_cmp_lt_i32 s31, s8
	v_mov_b32_e32 v4, v6
	s_mov_b32 s16, s12
	s_mov_b32 s17, s30
	s_cbranch_scc1 .LBB109_40
.LBB109_44:                             ;   Parent Loop BB109_41 Depth=1
                                        ; =>  This Inner Loop Header: Depth=2
	v_mov_b32_e32 v0, s16
	ds_read_b64 v[8:9], v4
	ds_read_b64 v[10:11], v0
	s_add_i32 s17, s17, -1
	s_add_i32 s16, s16, -8
	v_add_u32_e32 v4, 0xfffffe00, v4
	s_cmp_gt_i32 s17, s8
	s_waitcnt lgkmcnt(0)
	v_fma_f64 v[2:3], -v[8:9], v[10:11], v[2:3]
	s_cbranch_scc1 .LBB109_44
	s_branch .LBB109_40
.LBB109_45:
	s_mov_b64 s[8:9], 0
.LBB109_46:
	s_and_b64 vcc, exec, s[8:9]
	s_cbranch_vccz .LBB109_79
; %bb.47:
	s_cmp_lt_i32 s10, 32
	s_mov_b32 s12, 0
	s_cbranch_scc1 .LBB109_54
; %bb.48:
	v_mov_b32_e32 v0, 0x8000
	v_lshl_or_b32 v0, v176, 3, v0
	v_accvgpr_write_b32 a1, v0
	v_lshlrev_b32_e32 v0, 3, v176
	s_mov_b32 s8, 0
	s_mov_b32 s9, 0
	v_accvgpr_write_b32 a2, v0
.LBB109_49:                             ; =>This Loop Header: Depth=1
                                        ;     Child Loop BB109_51 Depth 2
	s_lshl_b32 s17, s9, 6
	v_or_b32_e32 v0, s17, v176
	v_lshlrev_b32_e32 v58, 3, v0
	ds_read2st64_b64 v[66:69], v58 offset0:64 offset1:65
	ds_read2st64_b64 v[62:65], v58 offset0:66 offset1:67
	;; [unrolled: 1-line block ×16, first 2 shown]
	s_cmp_eq_u32 s9, 0
	s_cbranch_scc1 .LBB109_52
; %bb.50:                               ;   in Loop: Header=BB109_49 Depth=1
	s_mov_b32 s12, 0
	v_accvgpr_read_b32 v59, a1
	s_mov_b32 s13, s8
.LBB109_51:                             ;   Parent Loop BB109_49 Depth=1
                                        ; =>  This Inner Loop Header: Depth=2
	v_mov_b32_e32 v60, s13
	ds_read_b64 v[0:1], v59
	ds_read_b128 v[70:73], v60
	ds_read_b128 v[74:77], v60 offset:16
	ds_read_b128 v[78:81], v60 offset:32
	ds_read_b128 v[82:85], v60 offset:48
	ds_read_b128 v[86:89], v60 offset:64
	ds_read_b128 v[90:93], v60 offset:80
	ds_read_b128 v[94:97], v60 offset:96
	ds_read_b128 v[98:101], v60 offset:112
	ds_read_b128 v[102:105], v60 offset:128
	ds_read_b128 v[106:109], v60 offset:144
	ds_read_b128 v[110:113], v60 offset:160
	ds_read_b128 v[114:117], v60 offset:176
	ds_read_b128 v[122:125], v60 offset:192
	ds_read_b128 v[126:129], v60 offset:208
	ds_read_b128 v[130:133], v60 offset:224
	ds_read_b128 v[134:137], v60 offset:240
	s_add_i32 s12, s12, 1
	s_addk_i32 s13, 0x200
	v_add_u32_e32 v59, 0x200, v59
	s_cmp_lt_u32 s12, s9
	s_waitcnt lgkmcnt(14)
	v_fma_f64 v[66:67], -v[0:1], v[70:71], v[66:67]
	v_fma_f64 v[68:69], -v[0:1], v[72:73], v[68:69]
	;; [unrolled: 1-line block ×4, first 2 shown]
	s_waitcnt lgkmcnt(13)
	v_fma_f64 v[54:55], -v[0:1], v[78:79], v[54:55]
	v_fma_f64 v[56:57], -v[0:1], v[80:81], v[56:57]
	s_waitcnt lgkmcnt(12)
	v_fma_f64 v[50:51], -v[0:1], v[82:83], v[50:51]
	v_fma_f64 v[52:53], -v[0:1], v[84:85], v[52:53]
	;; [unrolled: 3-line block ×14, first 2 shown]
	s_cbranch_scc1 .LBB109_51
.LBB109_52:                             ;   in Loop: Header=BB109_49 Depth=1
	s_mul_i32 s18, s9, 0x208
	v_mov_b32_e32 v88, s18
	ds_read_b128 v[70:73], v88
	v_add_u32_e32 v0, 0x8000, v58
	ds_read2_b64 v[74:77], v88 offset0:65 offset1:66
	ds_read_b128 v[78:81], v88 offset:16
	ds_read_b128 v[58:61], v88 offset:64
	v_accvgpr_write_b32 a3, v0
	s_or_b32 s12, s17, 64
	s_waitcnt lgkmcnt(3)
	v_mul_f64 v[82:83], v[70:71], v[66:67]
	v_fma_f64 v[0:1], -v[82:83], v[72:73], v[68:69]
	s_waitcnt lgkmcnt(2)
	v_mul_f64 v[84:85], v[74:75], v[0:1]
	s_waitcnt lgkmcnt(1)
	v_fma_f64 v[0:1], -v[82:83], v[78:79], v[62:63]
	s_add_i32 s13, s9, s12
	s_lshl_b32 s16, s13, 3
	v_fma_f64 v[0:1], -v[84:85], v[76:77], v[0:1]
	ds_read_b128 v[74:77], v88 offset:1040
	v_mov_b32_e32 v118, s16
	ds_read2_b64 v[90:93], v118 offset0:3 offset1:4
	ds_read2_b64 v[70:73], v88 offset0:195 offset1:196
	;; [unrolled: 1-line block ×3, first 2 shown]
	s_or_b32 s13, s17, 0x80
	s_waitcnt lgkmcnt(3)
	v_mul_f64 v[86:87], v[74:75], v[0:1]
	v_fma_f64 v[0:1], -v[82:83], v[80:81], v[64:65]
	s_waitcnt lgkmcnt(2)
	v_fma_f64 v[0:1], -v[84:85], v[90:91], v[0:1]
	v_fma_f64 v[0:1], -v[86:87], v[76:77], v[0:1]
	ds_read_b128 v[74:77], v88 offset:32
	s_add_i32 s16, s9, s13
	s_lshl_b32 s19, s16, 3
	v_mov_b32_e32 v119, s19
	s_or_b32 s16, s17, 0xc0
	s_waitcnt lgkmcnt(2)
	v_mul_f64 v[70:71], v[70:71], v[0:1]
	ds_read_b128 v[78:81], v119 offset:32
	ds_read_b128 v[62:65], v88 offset:48
	s_waitcnt lgkmcnt(2)
	v_fma_f64 v[0:1], -v[82:83], v[74:75], v[54:55]
	v_fma_f64 v[54:55], -v[84:85], v[92:93], v[0:1]
	s_add_i32 s19, s9, s16
	ds_read_b128 v[90:93], v88 offset:2080
	s_lshl_b32 s20, s19, 3
	v_mov_b32_e32 v123, s20
	s_waitcnt lgkmcnt(2)
	v_fma_f64 v[0:1], -v[86:87], v[78:79], v[54:55]
	ds_read_b64 v[54:55], v88 offset:4160
	ds_read2_b64 v[94:97], v123 offset0:5 offset1:6
	ds_read_b128 a[6:9], v119 offset:240
	v_fma_f64 v[0:1], -v[70:71], v[72:73], v[0:1]
	s_waitcnt lgkmcnt(3)
	v_mul_f64 v[72:73], v[90:91], v[0:1]
	v_fma_f64 v[0:1], -v[82:83], v[76:77], v[56:57]
	s_addk_i32 s18, 0xa28
	v_fma_f64 v[0:1], -v[84:85], v[66:67], v[0:1]
	v_mov_b32_e32 v56, s18
	v_fma_f64 v[0:1], -v[86:87], v[80:81], v[0:1]
	ds_read2_b64 v[78:81], v56 offset1:1
	s_or_b32 s19, s17, 0x100
	s_waitcnt lgkmcnt(2)
	v_fma_f64 v[0:1], -v[70:71], v[94:95], v[0:1]
	ds_read_b64 a[4:5], v118 offset:248
	s_add_i32 s20, s9, s19
	v_fma_f64 v[0:1], -v[72:73], v[92:93], v[0:1]
	ds_read_b128 v[90:93], v119 offset:48
	s_lshl_b32 s20, s20, 3
	v_mov_b32_e32 v125, s20
	ds_read_b64 a[10:11], v123 offset:248
	s_waitcnt lgkmcnt(3)
	v_mul_f64 v[66:67], v[78:79], v[0:1]
	v_fma_f64 v[0:1], -v[82:83], v[62:63], v[50:51]
	ds_read_b128 v[98:101], v125 offset:48
	ds_read_b128 v[102:105], v119 offset:64
	v_fma_f64 v[0:1], -v[84:85], v[68:69], v[0:1]
	s_waitcnt lgkmcnt(3)
	v_fma_f64 v[0:1], -v[86:87], v[90:91], v[0:1]
	v_fma_f64 v[0:1], -v[70:71], v[96:97], v[0:1]
	v_add_u32_e32 v50, 0x800, v88
	s_or_b32 s18, s17, 0x140
	s_waitcnt lgkmcnt(1)
	v_fma_f64 v[0:1], -v[72:73], v[98:99], v[0:1]
	ds_read2_b64 v[88:91], v50 offset0:134 offset1:199
	ds_read_b128 v[94:97], v125 offset:64
	s_add_i32 s20, s9, s18
	v_fma_f64 v[0:1], -v[66:67], v[80:81], v[0:1]
	ds_read2_b64 v[78:81], v118 offset0:7 offset1:8
	s_lshl_b32 s21, s20, 3
	s_or_b32 s20, s17, 0x180
	v_mov_b32_e32 v122, s21
	s_add_i32 s21, s9, s20
	ds_read2_b64 v[106:109], v123 offset0:7 offset1:8
	ds_read2_b64 v[110:113], v118 offset0:9 offset1:10
	s_lshl_b32 s21, s21, 3
	s_waitcnt lgkmcnt(4)
	v_mul_f64 v[62:63], v[88:89], v[0:1]
	v_fma_f64 v[0:1], -v[82:83], v[64:65], v[52:53]
	ds_read2_b64 v[114:117], v123 offset0:9 offset1:10
	ds_read2_b64 v[126:129], v122 offset0:7 offset1:8
	v_mov_b32_e32 v124, s21
	s_waitcnt lgkmcnt(4)
	v_fma_f64 v[0:1], -v[84:85], v[78:79], v[0:1]
	ds_read2_b64 v[130:133], v124 offset0:7 offset1:8
	ds_read_b64 v[68:69], v124 offset:248
	v_fma_f64 v[0:1], -v[86:87], v[92:93], v[0:1]
	s_waitcnt lgkmcnt(5)
	v_fma_f64 v[0:1], -v[70:71], v[106:107], v[0:1]
	v_fma_f64 v[0:1], -v[72:73], v[100:101], v[0:1]
	s_waitcnt lgkmcnt(2)
	v_fma_f64 v[0:1], -v[66:67], v[126:127], v[0:1]
	s_or_b32 s21, s17, 0x1c0
	s_waitcnt lgkmcnt(1)
	v_fma_f64 v[0:1], -v[62:63], v[130:131], v[0:1]
	s_add_i32 s25, s9, s21
	v_mul_f64 v[64:65], v[90:91], v[0:1]
	v_fma_f64 v[0:1], -v[82:83], v[58:59], v[46:47]
	s_lshl_b32 s25, s25, 3
	v_fma_f64 v[0:1], -v[84:85], v[80:81], v[0:1]
	v_mov_b32_e32 v127, s25
	ds_read_b128 a[12:15], v125 offset:240
	ds_read_b128 v[78:81], v127 offset:64
	v_fma_f64 v[0:1], -v[86:87], v[102:103], v[0:1]
	v_fma_f64 v[0:1], -v[70:71], v[108:109], v[0:1]
	;; [unrolled: 1-line block ×5, first 2 shown]
	s_waitcnt lgkmcnt(0)
	v_fma_f64 v[0:1], -v[64:65], v[78:79], v[0:1]
	ds_read2_b64 v[98:101], v124 offset0:9 offset1:10
	v_mul_f64 v[78:79], v[54:55], v[0:1]
	v_fma_f64 v[0:1], -v[82:83], v[60:61], v[48:49]
	ds_read2_b64 v[58:61], v122 offset0:9 offset1:10
	v_fma_f64 v[0:1], -v[84:85], v[110:111], v[0:1]
	s_or_b32 s25, s17, 0x200
	v_fma_f64 v[0:1], -v[86:87], v[104:105], v[0:1]
	v_fma_f64 v[0:1], -v[70:71], v[114:115], v[0:1]
	s_add_i32 s26, s9, s25
	s_or_b32 s27, s9, 9
	v_fma_f64 v[0:1], -v[72:73], v[96:97], v[0:1]
	s_lshl_b32 s26, s26, 3
	v_mov_b32_e32 v126, s26
	s_waitcnt lgkmcnt(0)
	v_fma_f64 v[0:1], -v[66:67], v[58:59], v[0:1]
	s_lshl_b32 s26, s27, 6
	s_mulk_i32 s27, 0x208
	s_add_i32 s17, s9, s17
	ds_read2_b64 v[90:93], v122 offset0:11 offset1:12
	ds_read2_b64 v[94:97], v126 offset0:9 offset1:10
	v_fma_f64 v[0:1], -v[62:63], v[98:99], v[0:1]
	v_mov_b32_e32 v46, s27
	s_lshl_b32 s17, s17, 3
	v_fma_f64 v[0:1], -v[64:65], v[80:81], v[0:1]
	ds_read_b128 a[16:19], v127 offset:240
	ds_read2_b64 v[102:105], v46 offset1:1
	v_mov_b32_e32 v130, s17
	ds_read_b64 v[80:81], v126 offset:248
	ds_read_b128 v[106:109], v130 offset:80
	ds_read_b128 v[132:135], v130 offset:96
	;; [unrolled: 1-line block ×3, first 2 shown]
	s_waitcnt lgkmcnt(6)
	v_fma_f64 v[0:1], -v[78:79], v[94:95], v[0:1]
	s_waitcnt lgkmcnt(4)
	v_mul_f64 v[88:89], v[102:103], v[0:1]
	s_or_b32 s17, s9, 10
	s_waitcnt lgkmcnt(2)
	v_fma_f64 v[0:1], -v[82:83], v[106:107], v[42:43]
	v_fma_f64 v[0:1], -v[84:85], v[112:113], v[0:1]
	ds_read_b128 v[110:113], v119 offset:96
	ds_read_b128 v[140:143], v125 offset:80
	s_waitcnt lgkmcnt(2)
	v_fma_f64 v[0:1], -v[86:87], v[136:137], v[0:1]
	v_fma_f64 v[0:1], -v[70:71], v[116:117], v[0:1]
	ds_read_b128 v[114:117], v125 offset:96
	ds_read_b128 v[144:147], v127 offset:80
	s_mul_i32 s28, s17, 0x208
	s_waitcnt lgkmcnt(2)
	v_fma_f64 v[0:1], -v[72:73], v[140:141], v[0:1]
	v_fma_f64 v[0:1], -v[66:67], v[60:61], v[0:1]
	;; [unrolled: 1-line block ×3, first 2 shown]
	s_waitcnt lgkmcnt(0)
	v_fma_f64 v[0:1], -v[64:65], v[144:145], v[0:1]
	v_mov_b32_e32 v42, s28
	v_fma_f64 v[0:1], -v[78:79], v[96:97], v[0:1]
	ds_read_b128 v[94:97], v42
	v_fma_f64 v[0:1], -v[88:89], v[104:105], v[0:1]
	ds_read2_b64 v[102:105], v118 offset0:11 offset1:12
	ds_read_b128 v[98:101], v127 offset:96
	ds_read_b128 v[74:77], v130 offset:240
	s_waitcnt lgkmcnt(3)
	v_mul_f64 v[42:43], v[94:95], v[0:1]
	v_fma_f64 v[0:1], -v[82:83], v[108:109], v[44:45]
	ds_read2_b64 v[106:109], v118 offset0:13 offset1:14
	ds_read2_b64 v[148:151], v123 offset0:11 offset1:12
	s_waitcnt lgkmcnt(4)
	v_fma_f64 v[0:1], -v[84:85], v[102:103], v[0:1]
	s_add_i32 s27, s9, s26
	v_fma_f64 v[0:1], -v[86:87], v[138:139], v[0:1]
	ds_read2_b64 v[136:139], v123 offset0:13 offset1:14
	ds_read2_b64 v[152:155], v124 offset0:11 offset1:12
	s_lshl_b32 s27, s27, 3
	s_or_b32 s28, s9, 11
	s_waitcnt lgkmcnt(2)
	v_fma_f64 v[0:1], -v[70:71], v[148:149], v[0:1]
	ds_read2_b64 v[156:159], v126 offset0:11 offset1:12
	v_mov_b32_e32 v129, s27
	v_fma_f64 v[0:1], -v[72:73], v[142:143], v[0:1]
	ds_read2_b64 v[160:163], v129 offset0:11 offset1:12
	ds_read2_b64 v[164:167], v129 offset0:13 offset1:14
	s_mul_i32 s29, s28, 0x208
	v_fma_f64 v[0:1], -v[66:67], v[90:91], v[0:1]
	v_mov_b32_e32 v44, s29
	s_waitcnt lgkmcnt(3)
	v_fma_f64 v[0:1], -v[62:63], v[152:153], v[0:1]
	ds_read2_b64 v[168:171], v44 offset1:1
	v_fma_f64 v[0:1], -v[64:65], v[146:147], v[0:1]
	s_waitcnt lgkmcnt(3)
	v_fma_f64 v[0:1], -v[78:79], v[156:157], v[0:1]
	s_waitcnt lgkmcnt(2)
	v_fma_f64 v[0:1], -v[88:89], v[160:161], v[0:1]
	v_fma_f64 v[0:1], -v[42:43], v[96:97], v[0:1]
	s_waitcnt lgkmcnt(0)
	v_mul_f64 v[44:45], v[168:169], v[0:1]
	v_fma_f64 v[0:1], -v[82:83], v[132:133], v[38:39]
	s_lshl_b32 s17, s17, 6
	v_fma_f64 v[0:1], -v[84:85], v[104:105], v[0:1]
	s_add_i32 s27, s9, s17
	v_fma_f64 v[0:1], -v[86:87], v[110:111], v[0:1]
	s_lshl_b32 s29, s27, 3
	v_fma_f64 v[0:1], -v[70:71], v[150:151], v[0:1]
	s_lshl_b32 s27, s28, 6
	s_or_b32 s28, s9, 12
	v_fma_f64 v[0:1], -v[72:73], v[114:115], v[0:1]
	v_mov_b32_e32 v128, s29
	v_fma_f64 v[0:1], -v[66:67], v[92:93], v[0:1]
	ds_read_b128 v[92:95], v128 offset:96
	ds_read_b128 v[102:105], v128 offset:112
	s_mul_i32 s31, s28, 0x208
	v_fma_f64 v[0:1], -v[62:63], v[154:155], v[0:1]
	v_mov_b32_e32 v38, s31
	ds_read2_b64 v[140:143], v124 offset0:13 offset1:14
	v_fma_f64 v[0:1], -v[64:65], v[98:99], v[0:1]
	ds_read_b128 v[96:99], v38
	v_fma_f64 v[0:1], -v[78:79], v[158:159], v[0:1]
	v_fma_f64 v[0:1], -v[88:89], v[162:163], v[0:1]
	s_waitcnt lgkmcnt(3)
	v_fma_f64 v[0:1], -v[42:43], v[92:93], v[0:1]
	v_fma_f64 v[0:1], -v[44:45], v[170:171], v[0:1]
	ds_read2_b64 v[144:147], v126 offset0:13 offset1:14
	s_waitcnt lgkmcnt(1)
	v_mul_f64 v[92:93], v[96:97], v[0:1]
	v_fma_f64 v[0:1], -v[82:83], v[134:135], v[40:41]
	ds_read2_b64 v[38:41], v122 offset0:13 offset1:14
	v_fma_f64 v[0:1], -v[84:85], v[106:107], v[0:1]
	v_fma_f64 v[0:1], -v[86:87], v[112:113], v[0:1]
	s_add_i32 s29, s9, s27
	v_fma_f64 v[0:1], -v[70:71], v[136:137], v[0:1]
	s_lshl_b32 s29, s29, 3
	v_fma_f64 v[0:1], -v[72:73], v[116:117], v[0:1]
	v_mov_b32_e32 v131, s29
	s_waitcnt lgkmcnt(0)
	v_fma_f64 v[0:1], -v[66:67], v[38:39], v[0:1]
	ds_read_b64 v[90:91], v129 offset:248
	ds_read2_b64 v[148:151], v131 offset0:13 offset1:14
	v_fma_f64 v[0:1], -v[62:63], v[140:141], v[0:1]
	v_fma_f64 v[0:1], -v[64:65], v[100:101], v[0:1]
	;; [unrolled: 1-line block ×3, first 2 shown]
	s_or_b32 s29, s9, 13
	v_fma_f64 v[0:1], -v[88:89], v[164:165], v[0:1]
	v_fma_f64 v[0:1], -v[42:43], v[94:95], v[0:1]
	s_mul_i32 s33, s29, 0x208
	s_waitcnt lgkmcnt(0)
	v_fma_f64 v[0:1], -v[44:45], v[148:149], v[0:1]
	v_mov_b32_e32 v38, s33
	ds_read2_b64 v[110:113], v122 offset0:15 offset1:16
	ds_read2_b64 v[114:117], v38 offset1:1
	v_fma_f64 v[0:1], -v[92:93], v[98:99], v[0:1]
	ds_read_b64 v[96:97], v131 offset:248
	ds_read_b128 v[98:101], v130 offset:112
	ds_read_b128 v[132:135], v130 offset:128
	;; [unrolled: 1-line block ×3, first 2 shown]
	s_lshl_b32 s28, s28, 6
	s_waitcnt lgkmcnt(4)
	v_mul_f64 v[94:95], v[114:115], v[0:1]
	s_add_i32 s31, s9, s28
	s_waitcnt lgkmcnt(2)
	v_fma_f64 v[0:1], -v[82:83], v[98:99], v[34:35]
	v_fma_f64 v[0:1], -v[84:85], v[108:109], v[0:1]
	ds_read_b128 v[106:109], v119 offset:128
	ds_read_b128 v[156:159], v125 offset:112
	s_waitcnt lgkmcnt(2)
	v_fma_f64 v[0:1], -v[86:87], v[152:153], v[0:1]
	v_fma_f64 v[0:1], -v[70:71], v[138:139], v[0:1]
	ds_read_b128 v[136:139], v125 offset:128
	ds_read_b128 v[160:163], v127 offset:112
	s_lshl_b32 s31, s31, 3
	s_waitcnt lgkmcnt(2)
	v_fma_f64 v[0:1], -v[72:73], v[156:157], v[0:1]
	v_fma_f64 v[0:1], -v[66:67], v[40:41], v[0:1]
	;; [unrolled: 1-line block ×3, first 2 shown]
	s_waitcnt lgkmcnt(0)
	v_fma_f64 v[0:1], -v[64:65], v[160:161], v[0:1]
	v_mov_b32_e32 v252, s31
	ds_read_b128 v[140:143], v127 offset:128
	v_fma_f64 v[0:1], -v[78:79], v[146:147], v[0:1]
	ds_read_b128 v[144:147], v252 offset:112
	s_or_b32 s33, s9, 14
	v_fma_f64 v[0:1], -v[88:89], v[166:167], v[0:1]
	s_mul_i32 s34, s33, 0x208
	v_fma_f64 v[0:1], -v[42:43], v[102:103], v[0:1]
	v_mov_b32_e32 v34, s34
	v_fma_f64 v[0:1], -v[44:45], v[150:151], v[0:1]
	ds_read_b128 v[164:167], v34
	s_waitcnt lgkmcnt(1)
	v_fma_f64 v[0:1], -v[92:93], v[144:145], v[0:1]
	v_fma_f64 v[0:1], -v[94:95], v[116:117], v[0:1]
	ds_read2_b64 v[114:117], v118 offset0:15 offset1:16
	ds_read_b128 v[148:151], v252 offset:128
	ds_read_b128 v[46:49], v252 offset:240
	s_waitcnt lgkmcnt(3)
	v_mul_f64 v[34:35], v[164:165], v[0:1]
	v_fma_f64 v[0:1], -v[82:83], v[100:101], v[36:37]
	ds_read2_b64 v[98:101], v123 offset0:15 offset1:16
	ds_read2_b64 v[168:171], v118 offset0:17 offset1:18
	s_waitcnt lgkmcnt(4)
	v_fma_f64 v[0:1], -v[84:85], v[114:115], v[0:1]
	v_fma_f64 v[0:1], -v[86:87], v[154:155], v[0:1]
	ds_read2_b64 v[152:155], v123 offset0:17 offset1:18
	ds_read2_b64 v[172:175], v124 offset0:15 offset1:16
	s_waitcnt lgkmcnt(3)
	v_fma_f64 v[0:1], -v[70:71], v[98:99], v[0:1]
	v_accvgpr_write_b32 a0, v176
	v_fma_f64 v[0:1], -v[72:73], v[158:159], v[0:1]
	ds_read2_b64 v[156:159], v124 offset0:17 offset1:18
	ds_read2_b64 v[176:179], v126 offset0:15 offset1:16
	;; [unrolled: 1-line block ×3, first 2 shown]
	v_fma_f64 v[0:1], -v[66:67], v[110:111], v[0:1]
	s_waitcnt lgkmcnt(3)
	v_fma_f64 v[0:1], -v[62:63], v[172:173], v[0:1]
	ds_read2_b64 v[184:187], v129 offset0:17 offset1:18
	ds_read2_b64 v[188:191], v131 offset0:15 offset1:16
	s_lshl_b32 s29, s29, 6
	v_fma_f64 v[0:1], -v[64:65], v[162:163], v[0:1]
	s_add_i32 s31, s9, s29
	s_waitcnt lgkmcnt(3)
	v_fma_f64 v[0:1], -v[78:79], v[176:177], v[0:1]
	s_lshl_b32 s34, s31, 3
	s_lshl_b32 s31, s33, 6
	s_or_b32 s33, s9, 15
	ds_read2_b64 v[160:163], v126 offset0:17 offset1:18
	s_waitcnt lgkmcnt(3)
	v_fma_f64 v[0:1], -v[88:89], v[180:181], v[0:1]
	v_fma_f64 v[0:1], -v[42:43], v[104:105], v[0:1]
	v_mov_b32_e32 v253, s34
	s_mul_i32 s35, s33, 0x208
	ds_read2_b64 v[102:105], v253 offset0:15 offset1:16
	ds_read2_b64 v[192:195], v131 offset0:17 offset1:18
	s_waitcnt lgkmcnt(3)
	v_fma_f64 v[0:1], -v[44:45], v[188:189], v[0:1]
	v_mov_b32_e32 v36, s35
	v_fma_f64 v[0:1], -v[92:93], v[146:147], v[0:1]
	ds_read2_b64 v[144:147], v253 offset0:17 offset1:18
	ds_read2_b64 v[196:199], v36 offset1:1
	s_waitcnt lgkmcnt(3)
	v_fma_f64 v[0:1], -v[94:95], v[102:103], v[0:1]
	v_fma_f64 v[0:1], -v[34:35], v[166:167], v[0:1]
	s_add_i32 s34, s9, s31
	s_lshl_b32 s34, s34, 3
	s_waitcnt lgkmcnt(0)
	v_mul_f64 v[36:37], v[196:197], v[0:1]
	v_fma_f64 v[0:1], -v[82:83], v[132:133], v[30:31]
	v_fma_f64 v[0:1], -v[84:85], v[116:117], v[0:1]
	;; [unrolled: 1-line block ×6, first 2 shown]
	ds_read_b128 v[100:103], v128 offset:128
	v_fma_f64 v[0:1], -v[62:63], v[174:175], v[0:1]
	v_fma_f64 v[0:1], -v[64:65], v[140:141], v[0:1]
	;; [unrolled: 1-line block ×3, first 2 shown]
	s_lshl_b32 s33, s33, 6
	v_fma_f64 v[0:1], -v[88:89], v[182:183], v[0:1]
	v_mov_b32_e32 v132, s34
	ds_read_b128 v[114:117], v132 offset:128
	s_or_b32 s35, s9, 16
	s_waitcnt lgkmcnt(1)
	v_fma_f64 v[0:1], -v[42:43], v[100:101], v[0:1]
	s_add_i32 s34, s9, s33
	v_fma_f64 v[0:1], -v[44:45], v[190:191], v[0:1]
	s_lshl_b32 s36, s34, 3
	s_mul_i32 s34, s35, 0x208
	v_fma_f64 v[0:1], -v[92:93], v[148:149], v[0:1]
	v_mov_b32_e32 v30, s34
	ds_read_b128 v[110:113], v128 offset:144
	v_fma_f64 v[0:1], -v[94:95], v[104:105], v[0:1]
	ds_read_b128 v[104:107], v30
	s_waitcnt lgkmcnt(2)
	v_fma_f64 v[0:1], -v[34:35], v[114:115], v[0:1]
	v_fma_f64 v[0:1], -v[36:37], v[198:199], v[0:1]
	ds_read_b128 v[164:167], v132 offset:144
	v_mov_b32_e32 v133, s36
	s_waitcnt lgkmcnt(1)
	v_mul_f64 v[100:101], v[104:105], v[0:1]
	v_fma_f64 v[0:1], -v[82:83], v[134:135], v[32:33]
	ds_read2_b64 v[30:33], v122 offset0:17 offset1:18
	v_fma_f64 v[0:1], -v[84:85], v[168:169], v[0:1]
	v_fma_f64 v[0:1], -v[86:87], v[108:109], v[0:1]
	;; [unrolled: 1-line block ×4, first 2 shown]
	s_waitcnt lgkmcnt(0)
	v_fma_f64 v[0:1], -v[66:67], v[30:31], v[0:1]
	v_fma_f64 v[0:1], -v[62:63], v[156:157], v[0:1]
	;; [unrolled: 1-line block ×5, first 2 shown]
	ds_read_b64 v[98:99], v253 offset:248
	ds_read2_b64 v[172:175], v133 offset0:17 offset1:18
	v_fma_f64 v[0:1], -v[42:43], v[102:103], v[0:1]
	v_fma_f64 v[0:1], -v[44:45], v[192:193], v[0:1]
	;; [unrolled: 1-line block ×3, first 2 shown]
	s_lshl_b32 s34, s35, 6
	s_or_b32 s35, s9, 17
	v_fma_f64 v[0:1], -v[94:95], v[144:145], v[0:1]
	v_fma_f64 v[0:1], -v[34:35], v[116:117], v[0:1]
	s_mul_i32 s37, s35, 0x208
	s_waitcnt lgkmcnt(0)
	v_fma_f64 v[0:1], -v[36:37], v[172:173], v[0:1]
	v_mov_b32_e32 v30, s37
	ds_read2_b64 v[134:137], v122 offset0:19 offset1:20
	ds_read2_b64 v[114:117], v30 offset1:1
	v_fma_f64 v[0:1], -v[100:101], v[106:107], v[0:1]
	ds_read_b64 v[104:105], v133 offset:248
	ds_read_b128 v[106:109], v130 offset:144
	ds_read_b128 v[138:141], v130 offset:160
	ds_read_b128 v[142:145], v119 offset:144
	s_add_i32 s36, s9, s34
	s_waitcnt lgkmcnt(4)
	v_mul_f64 v[102:103], v[114:115], v[0:1]
	s_lshl_b32 s36, s36, 3
	s_waitcnt lgkmcnt(2)
	v_fma_f64 v[0:1], -v[82:83], v[106:107], v[26:27]
	v_fma_f64 v[0:1], -v[84:85], v[170:171], v[0:1]
	ds_read_b128 v[148:151], v119 offset:160
	ds_read_b128 v[168:171], v125 offset:144
	s_waitcnt lgkmcnt(2)
	v_fma_f64 v[0:1], -v[86:87], v[142:143], v[0:1]
	v_fma_f64 v[0:1], -v[70:71], v[154:155], v[0:1]
	ds_read_b128 v[152:155], v125 offset:160
	ds_read_b128 v[176:179], v127 offset:144
	v_mov_b32_e32 v254, s36
	s_waitcnt lgkmcnt(2)
	v_fma_f64 v[0:1], -v[72:73], v[168:169], v[0:1]
	v_fma_f64 v[0:1], -v[66:67], v[32:33], v[0:1]
	;; [unrolled: 1-line block ×3, first 2 shown]
	s_waitcnt lgkmcnt(0)
	v_fma_f64 v[0:1], -v[64:65], v[176:177], v[0:1]
	ds_read_b128 v[156:159], v127 offset:160
	v_fma_f64 v[0:1], -v[78:79], v[162:163], v[0:1]
	ds_read_b128 v[160:163], v252 offset:144
	v_fma_f64 v[0:1], -v[88:89], v[186:187], v[0:1]
	v_fma_f64 v[0:1], -v[42:43], v[110:111], v[0:1]
	;; [unrolled: 1-line block ×3, first 2 shown]
	ds_read_b128 v[180:183], v252 offset:160
	ds_read_b128 v[184:187], v254 offset:144
	s_waitcnt lgkmcnt(2)
	v_fma_f64 v[0:1], -v[92:93], v[160:161], v[0:1]
	v_fma_f64 v[0:1], -v[94:95], v[146:147], v[0:1]
	s_or_b32 s37, s9, 18
	v_fma_f64 v[0:1], -v[34:35], v[164:165], v[0:1]
	v_fma_f64 v[0:1], -v[36:37], v[174:175], v[0:1]
	s_mul_i32 s38, s37, 0x208
	s_waitcnt lgkmcnt(0)
	v_fma_f64 v[0:1], -v[100:101], v[184:185], v[0:1]
	v_mov_b32_e32 v26, s38
	ds_read_b128 v[188:191], v26
	v_fma_f64 v[0:1], -v[102:103], v[116:117], v[0:1]
	ds_read2_b64 v[114:117], v118 offset0:19 offset1:20
	ds_read_b128 v[172:175], v254 offset:160
	ds_read_b128 v[50:53], v254 offset:240
	v_fma_f64 v[26:27], -v[82:83], v[108:109], v[28:29]
	ds_read2_b64 v[106:109], v123 offset0:19 offset1:20
	ds_read2_b64 v[192:195], v118 offset0:21 offset1:22
	s_waitcnt lgkmcnt(4)
	v_fma_f64 v[26:27], -v[84:85], v[114:115], v[26:27]
	v_fma_f64 v[26:27], -v[86:87], v[144:145], v[26:27]
	ds_read2_b64 v[142:145], v123 offset0:21 offset1:22
	ds_read2_b64 v[196:199], v124 offset0:19 offset1:20
	s_waitcnt lgkmcnt(3)
	v_fma_f64 v[26:27], -v[70:71], v[106:107], v[26:27]
	v_fma_f64 v[26:27], -v[72:73], v[170:171], v[26:27]
	;; [unrolled: 1-line block ×3, first 2 shown]
	ds_read2_b64 v[168:171], v124 offset0:21 offset1:22
	ds_read2_b64 v[200:203], v126 offset0:19 offset1:20
	s_waitcnt lgkmcnt(2)
	v_fma_f64 v[26:27], -v[62:63], v[196:197], v[26:27]
	v_fma_f64 v[26:27], -v[64:65], v[178:179], v[26:27]
	ds_read2_b64 v[176:179], v129 offset0:19 offset1:20
	ds_read2_b64 v[204:207], v126 offset0:21 offset1:22
	;; [unrolled: 1-line block ×4, first 2 shown]
	s_waitcnt lgkmcnt(4)
	v_fma_f64 v[26:27], -v[78:79], v[200:201], v[26:27]
	v_fma_f64 v[22:23], -v[82:83], v[138:139], v[22:23]
	s_waitcnt lgkmcnt(3)
	v_fma_f64 v[26:27], -v[88:89], v[176:177], v[26:27]
	v_fma_f64 v[26:27], -v[42:43], v[112:113], v[26:27]
	ds_read2_b64 v[110:113], v253 offset0:19 offset1:20
	ds_read2_b64 v[216:219], v131 offset0:21 offset1:22
	s_lshl_b32 s35, s35, 6
	v_fma_f64 v[22:23], -v[84:85], v[116:117], v[22:23]
	s_add_i32 s36, s9, s35
	s_waitcnt lgkmcnt(2)
	v_fma_f64 v[26:27], -v[44:45], v[212:213], v[26:27]
	v_fma_f64 v[22:23], -v[86:87], v[148:149], v[22:23]
	s_lshl_b32 s38, s36, 3
	v_fma_f64 v[26:27], -v[92:93], v[162:163], v[26:27]
	v_fma_f64 v[22:23], -v[70:71], v[108:109], v[22:23]
	s_waitcnt lgkmcnt(1)
	v_fma_f64 v[26:27], -v[94:95], v[110:111], v[26:27]
	v_mov_b32_e32 v28, s38
	v_fma_f64 v[22:23], -v[72:73], v[152:153], v[22:23]
	ds_read2_b64 v[160:163], v253 offset0:21 offset1:22
	ds_read2_b64 v[220:223], v133 offset0:19 offset1:20
	v_fma_f64 v[26:27], -v[34:35], v[166:167], v[26:27]
	ds_read2_b64 v[164:167], v28 offset0:19 offset1:20
	ds_read2_b64 v[224:227], v133 offset0:21 offset1:22
	v_fma_f64 v[22:23], -v[66:67], v[136:137], v[22:23]
	ds_read_b128 v[108:111], v128 offset:160
	ds_read_b128 v[114:117], v128 offset:176
	v_fma_f64 v[22:23], -v[62:63], v[198:199], v[22:23]
	v_fma_f64 v[22:23], -v[64:65], v[156:157], v[22:23]
	;; [unrolled: 1-line block ×3, first 2 shown]
	s_lshl_b32 s36, s37, 6
	v_fma_f64 v[22:23], -v[88:89], v[178:179], v[22:23]
	ds_read_b128 v[134:137], v132 offset:160
	ds_read_b128 v[146:149], v132 offset:176
	s_or_b32 s37, s9, 19
	s_add_i32 s38, s9, s36
	s_waitcnt lgkmcnt(3)
	v_fma_f64 v[22:23], -v[42:43], v[108:109], v[22:23]
	s_mul_i32 s39, s37, 0x208
	s_lshl_b32 s38, s38, 3
	s_lshl_b32 s37, s37, 6
	v_fma_f64 v[22:23], -v[44:45], v[214:215], v[22:23]
	v_mul_f64 v[32:33], v[188:189], v[0:1]
	v_fma_f64 v[26:27], -v[36:37], v[220:221], v[26:27]
	v_mov_b32_e32 v29, s39
	s_or_b32 s39, s9, 20
	v_fma_f64 v[22:23], -v[92:93], v[180:181], v[22:23]
	v_mov_b32_e32 v0, s38
	s_add_i32 s38, s9, s37
	v_fma_f64 v[26:27], -v[100:101], v[186:187], v[26:27]
	ds_read2_b64 v[228:231], v29 offset1:1
	ds_read_b64 v[40:41], v28 offset:248
	v_fma_f64 v[22:23], -v[94:95], v[112:113], v[22:23]
	ds_read_b128 v[176:179], v0 offset:160
	s_lshl_b32 s40, s38, 3
	s_mul_i32 s38, s39, 0x208
	v_fma_f64 v[26:27], -v[102:103], v[164:165], v[26:27]
	s_waitcnt lgkmcnt(4)
	v_fma_f64 v[22:23], -v[34:35], v[134:135], v[22:23]
	v_mov_b32_e32 v1, s38
	ds_read2_b64 v[184:187], v28 offset0:21 offset1:22
	v_fma_f64 v[26:27], -v[32:33], v[190:191], v[26:27]
	ds_read_b128 v[188:191], v1
	v_fma_f64 v[22:23], -v[36:37], v[222:223], v[22:23]
	v_fma_f64 v[22:23], -v[100:101], v[172:173], v[22:23]
	;; [unrolled: 1-line block ×3, first 2 shown]
	s_waitcnt lgkmcnt(4)
	v_mul_f64 v[30:31], v[228:229], v[26:27]
	ds_read_b128 v[164:167], v0 offset:176
	s_waitcnt lgkmcnt(3)
	v_fma_f64 v[22:23], -v[32:33], v[176:177], v[22:23]
	v_fma_f64 v[22:23], -v[30:31], v[230:231], v[22:23]
	s_waitcnt lgkmcnt(1)
	v_mul_f64 v[38:39], v[188:189], v[22:23]
	v_fma_f64 v[22:23], -v[82:83], v[140:141], v[24:25]
	ds_read2_b64 v[138:141], v122 offset0:21 offset1:22
	v_fma_f64 v[22:23], -v[84:85], v[192:193], v[22:23]
	v_fma_f64 v[22:23], -v[86:87], v[150:151], v[22:23]
	ds_read2_b64 v[150:153], v122 offset0:23 offset1:24
	v_fma_f64 v[22:23], -v[70:71], v[142:143], v[22:23]
	v_fma_f64 v[22:23], -v[72:73], v[154:155], v[22:23]
	s_waitcnt lgkmcnt(1)
	v_fma_f64 v[22:23], -v[66:67], v[138:139], v[22:23]
	v_fma_f64 v[22:23], -v[62:63], v[168:169], v[22:23]
	;; [unrolled: 1-line block ×6, first 2 shown]
	s_lshl_b32 s38, s39, 6
	s_or_b32 s39, s9, 21
	v_fma_f64 v[22:23], -v[44:45], v[216:217], v[22:23]
	v_fma_f64 v[22:23], -v[92:93], v[182:183], v[22:23]
	s_mul_i32 s41, s39, 0x208
	v_mov_b32_e32 v1, s40
	v_fma_f64 v[22:23], -v[94:95], v[160:161], v[22:23]
	v_mov_b32_e32 v24, s41
	ds_read2_b64 v[196:199], v1 offset0:21 offset1:22
	ds_read2_b64 v[110:113], v24 offset1:1
	v_fma_f64 v[22:23], -v[34:35], v[136:137], v[22:23]
	ds_read_b64 v[58:59], v1 offset:248
	ds_read_b128 v[134:137], v130 offset:176
	v_fma_f64 v[22:23], -v[36:37], v[224:225], v[22:23]
	ds_read_b128 v[154:157], v130 offset:192
	ds_read_b128 v[158:161], v119 offset:176
	v_fma_f64 v[22:23], -v[100:101], v[174:175], v[22:23]
	v_fma_f64 v[22:23], -v[102:103], v[184:185], v[22:23]
	;; [unrolled: 1-line block ×3, first 2 shown]
	s_waitcnt lgkmcnt(2)
	v_fma_f64 v[18:19], -v[82:83], v[134:135], v[18:19]
	ds_read_b128 v[172:175], v119 offset:192
	ds_read_b128 v[176:179], v125 offset:176
	v_fma_f64 v[18:19], -v[84:85], v[194:195], v[18:19]
	s_waitcnt lgkmcnt(2)
	v_fma_f64 v[18:19], -v[86:87], v[158:159], v[18:19]
	v_fma_f64 v[18:19], -v[70:71], v[144:145], v[18:19]
	ds_read_b128 v[142:145], v125 offset:192
	ds_read_b128 v[180:183], v127 offset:176
	s_waitcnt lgkmcnt(2)
	v_fma_f64 v[18:19], -v[72:73], v[176:177], v[18:19]
	v_fma_f64 v[18:19], -v[66:67], v[140:141], v[18:19]
	;; [unrolled: 1-line block ×3, first 2 shown]
	ds_read_b128 v[138:141], v127 offset:192
	ds_read_b128 v[168:171], v252 offset:176
	s_waitcnt lgkmcnt(2)
	v_fma_f64 v[18:19], -v[64:65], v[180:181], v[18:19]
	v_fma_f64 v[18:19], -v[78:79], v[206:207], v[18:19]
	;; [unrolled: 1-line block ×7, first 2 shown]
	ds_read_b128 v[188:191], v252 offset:192
	ds_read_b128 v[192:195], v254 offset:176
	s_add_i32 s40, s9, s38
	s_waitcnt lgkmcnt(2)
	v_fma_f64 v[18:19], -v[92:93], v[168:169], v[18:19]
	s_lshl_b32 s40, s40, 3
	v_fma_f64 v[18:19], -v[94:95], v[162:163], v[18:19]
	v_mul_f64 v[54:55], v[110:111], v[22:23]
	v_fma_f64 v[18:19], -v[34:35], v[146:147], v[18:19]
	v_mov_b32_e32 v22, s40
	v_fma_f64 v[18:19], -v[36:37], v[226:227], v[18:19]
	ds_read_b128 v[204:207], v22 offset:176
	s_waitcnt lgkmcnt(1)
	v_fma_f64 v[18:19], -v[100:101], v[192:193], v[18:19]
	v_fma_f64 v[18:19], -v[102:103], v[186:187], v[18:19]
	;; [unrolled: 1-line block ×3, first 2 shown]
	ds_read_b128 v[162:165], v22 offset:192
	s_or_b32 s41, s9, 22
	v_fma_f64 v[18:19], -v[30:31], v[198:199], v[18:19]
	s_waitcnt lgkmcnt(1)
	v_fma_f64 v[18:19], -v[38:39], v[204:205], v[18:19]
	s_mul_i32 s42, s41, 0x208
	ds_read_b128 v[200:203], v254 offset:192
	v_fma_f64 v[18:19], -v[54:55], v[112:113], v[18:19]
	v_mov_b32_e32 v23, s42
	ds_read2_b64 v[110:113], v118 offset0:23 offset1:24
	ds_read_b128 v[184:187], v23
	v_fma_f64 v[20:21], -v[82:83], v[136:137], v[20:21]
	ds_read2_b64 v[134:137], v123 offset0:23 offset1:24
	ds_read2_b64 v[196:199], v118 offset0:25 offset1:26
	;; [unrolled: 1-line block ×3, first 2 shown]
	s_waitcnt lgkmcnt(4)
	v_fma_f64 v[20:21], -v[84:85], v[110:111], v[20:21]
	v_fma_f64 v[20:21], -v[86:87], v[160:161], v[20:21]
	ds_read2_b64 v[158:161], v123 offset0:25 offset1:26
	s_waitcnt lgkmcnt(3)
	v_fma_f64 v[20:21], -v[70:71], v[134:135], v[20:21]
	v_fma_f64 v[20:21], -v[72:73], v[178:179], v[20:21]
	v_fma_f64 v[20:21], -v[66:67], v[150:151], v[20:21]
	ds_read2_b64 v[176:179], v124 offset0:25 offset1:26
	ds_read2_b64 v[212:215], v126 offset0:23 offset1:24
	s_waitcnt lgkmcnt(3)
	v_fma_f64 v[20:21], -v[62:63], v[208:209], v[20:21]
	v_fma_f64 v[20:21], -v[64:65], v[182:183], v[20:21]
	ds_read2_b64 v[180:183], v129 offset0:23 offset1:24
	ds_read2_b64 v[216:219], v126 offset0:25 offset1:26
	;; [unrolled: 1-line block ×4, first 2 shown]
	s_waitcnt lgkmcnt(4)
	v_fma_f64 v[20:21], -v[78:79], v[212:213], v[20:21]
	v_fma_f64 v[14:15], -v[82:83], v[154:155], v[14:15]
	s_waitcnt lgkmcnt(3)
	v_fma_f64 v[20:21], -v[88:89], v[180:181], v[20:21]
	v_fma_f64 v[20:21], -v[42:43], v[116:117], v[20:21]
	ds_read2_b64 v[228:231], v131 offset0:25 offset1:26
	ds_read2_b64 v[114:117], v253 offset0:23 offset1:24
	s_waitcnt lgkmcnt(2)
	v_fma_f64 v[20:21], -v[44:45], v[224:225], v[20:21]
	v_fma_f64 v[20:21], -v[92:93], v[170:171], v[20:21]
	ds_read2_b64 v[168:171], v253 offset0:25 offset1:26
	ds_read2_b64 v[232:235], v133 offset0:23 offset1:24
	s_lshl_b32 s39, s39, 6
	s_waitcnt lgkmcnt(2)
	v_fma_f64 v[20:21], -v[94:95], v[114:115], v[20:21]
	v_fma_f64 v[20:21], -v[34:35], v[148:149], v[20:21]
	ds_read2_b64 v[146:149], v133 offset0:25 offset1:26
	ds_read2_b64 v[236:239], v28 offset0:23 offset1:24
	s_waitcnt lgkmcnt(2)
	v_fma_f64 v[20:21], -v[36:37], v[232:233], v[20:21]
	v_fma_f64 v[20:21], -v[100:101], v[194:195], v[20:21]
	ds_read2_b64 v[192:195], v1 offset0:23 offset1:24
	ds_read2_b64 v[240:243], v28 offset0:25 offset1:26
	v_fma_f64 v[14:15], -v[84:85], v[112:113], v[14:15]
	s_add_i32 s40, s9, s39
	s_waitcnt lgkmcnt(2)
	v_fma_f64 v[20:21], -v[102:103], v[236:237], v[20:21]
	v_fma_f64 v[14:15], -v[86:87], v[172:173], v[14:15]
	s_lshl_b32 s40, s40, 3
	v_fma_f64 v[20:21], -v[32:33], v[166:167], v[20:21]
	v_fma_f64 v[14:15], -v[70:71], v[136:137], v[14:15]
	s_waitcnt lgkmcnt(1)
	v_fma_f64 v[20:21], -v[30:31], v[192:193], v[20:21]
	v_mov_b32_e32 v23, s40
	v_fma_f64 v[14:15], -v[72:73], v[142:143], v[14:15]
	ds_read2_b64 v[244:247], v1 offset0:25 offset1:26
	ds_read_b128 v[106:109], v22 offset:240
	v_fma_f64 v[20:21], -v[38:39], v[206:207], v[20:21]
	ds_read2_b64 v[204:207], v23 offset0:23 offset1:24
	ds_read2_b64 v[248:251], v23 offset0:25 offset1:26
	v_fma_f64 v[14:15], -v[66:67], v[152:153], v[14:15]
	ds_read_b128 v[112:115], v128 offset:192
	ds_read_b128 v[134:137], v128 offset:208
	v_fma_f64 v[14:15], -v[62:63], v[210:211], v[14:15]
	v_fma_f64 v[14:15], -v[64:65], v[138:139], v[14:15]
	v_fma_f64 v[14:15], -v[78:79], v[214:215], v[14:15]
	v_fma_f64 v[14:15], -v[88:89], v[182:183], v[14:15]
	ds_read_b128 v[150:153], v132 offset:192
	s_lshl_b32 s40, s41, 6
	s_waitcnt lgkmcnt(2)
	v_fma_f64 v[14:15], -v[42:43], v[112:113], v[14:15]
	s_or_b32 s42, s9, 23
	s_add_i32 s41, s9, s40
	v_fma_f64 v[14:15], -v[44:45], v[226:227], v[14:15]
	v_mul_f64 v[110:111], v[184:185], v[18:19]
	v_fma_f64 v[18:19], -v[54:55], v[204:205], v[20:21]
	s_lshl_b32 s43, s41, 3
	s_lshl_b32 s41, s42, 6
	s_mulk_i32 s42, 0x208
	v_fma_f64 v[14:15], -v[92:93], v[188:189], v[14:15]
	v_fma_f64 v[18:19], -v[110:111], v[186:187], v[18:19]
	v_mov_b32_e32 v20, s42
	v_fma_f64 v[14:15], -v[94:95], v[116:117], v[14:15]
	ds_read_b128 v[180:183], v132 offset:208
	ds_read2_b64 v[184:187], v20 offset1:1
	ds_read_b64 v[112:113], v23 offset:248
	ds_read_b128 v[208:211], v0 offset:192
	s_waitcnt lgkmcnt(4)
	v_fma_f64 v[14:15], -v[34:35], v[150:151], v[14:15]
	v_fma_f64 v[14:15], -v[36:37], v[234:235], v[14:15]
	;; [unrolled: 1-line block ×4, first 2 shown]
	s_waitcnt lgkmcnt(0)
	v_fma_f64 v[14:15], -v[32:33], v[208:209], v[14:15]
	v_mov_b32_e32 v60, s43
	v_fma_f64 v[14:15], -v[30:31], v[194:195], v[14:15]
	ds_read_b128 v[192:195], v60 offset:192
	s_or_b32 s42, s9, 24
	v_fma_f64 v[14:15], -v[38:39], v[162:163], v[14:15]
	v_fma_f64 v[14:15], -v[54:55], v[206:207], v[14:15]
	s_mul_i32 s44, s42, 0x208
	v_mul_f64 v[120:121], v[184:185], v[18:19]
	s_waitcnt lgkmcnt(0)
	v_fma_f64 v[14:15], -v[110:111], v[192:193], v[14:15]
	v_mov_b32_e32 v18, s44
	ds_read_b128 v[204:207], v60 offset:208
	v_fma_f64 v[14:15], -v[120:121], v[186:187], v[14:15]
	ds_read_b128 v[184:187], v18
	s_add_i32 s43, s9, s41
	s_lshl_b32 s43, s43, 3
	v_fma_f64 v[16:17], -v[82:83], v[156:157], v[16:17]
	v_mov_b32_e32 v18, s43
	s_waitcnt lgkmcnt(0)
	v_mul_f64 v[56:57], v[184:185], v[14:15]
	v_fma_f64 v[14:15], -v[84:85], v[196:197], v[16:17]
	ds_read2_b64 v[154:157], v18 offset0:25 offset1:26
	v_fma_f64 v[14:15], -v[86:87], v[174:175], v[14:15]
	ds_read2_b64 v[172:175], v122 offset0:25 offset1:26
	v_fma_f64 v[14:15], -v[70:71], v[158:159], v[14:15]
	v_fma_f64 v[14:15], -v[72:73], v[144:145], v[14:15]
	s_or_b32 s43, s9, 25
	s_mul_i32 s45, s43, 0x208
	s_waitcnt lgkmcnt(0)
	v_fma_f64 v[14:15], -v[66:67], v[172:173], v[14:15]
	v_fma_f64 v[14:15], -v[62:63], v[176:177], v[14:15]
	;; [unrolled: 1-line block ×15, first 2 shown]
	v_mov_b32_e32 v16, s45
	ds_read_b128 v[212:215], v0 offset:208
	ds_read2_b64 v[138:141], v16 offset1:1
	ds_read2_b64 v[142:145], v122 offset0:27 offset1:28
	v_fma_f64 v[14:15], -v[38:39], v[164:165], v[14:15]
	ds_read_b128 v[150:153], v130 offset:208
	ds_read_b64 v[116:117], v18 offset:248
	v_fma_f64 v[14:15], -v[54:55], v[248:249], v[14:15]
	ds_read_b128 v[162:165], v130 offset:224
	ds_read_b128 v[166:169], v119 offset:208
	v_fma_f64 v[14:15], -v[110:111], v[194:195], v[14:15]
	v_fma_f64 v[14:15], -v[120:121], v[154:155], v[14:15]
	;; [unrolled: 1-line block ×3, first 2 shown]
	s_waitcnt lgkmcnt(3)
	v_fma_f64 v[10:11], -v[82:83], v[150:151], v[10:11]
	ds_read_b128 v[184:187], v119 offset:224
	ds_read_b128 v[188:191], v125 offset:208
	v_fma_f64 v[10:11], -v[84:85], v[198:199], v[10:11]
	s_waitcnt lgkmcnt(2)
	v_fma_f64 v[10:11], -v[86:87], v[166:167], v[10:11]
	v_fma_f64 v[10:11], -v[70:71], v[160:161], v[10:11]
	ds_read_b128 v[158:161], v125 offset:224
	ds_read_b128 v[192:195], v127 offset:208
	s_waitcnt lgkmcnt(2)
	v_fma_f64 v[10:11], -v[72:73], v[188:189], v[10:11]
	v_fma_f64 v[10:11], -v[66:67], v[174:175], v[10:11]
	;; [unrolled: 1-line block ×3, first 2 shown]
	ds_read_b128 v[176:179], v252 offset:208
	ds_read_b128 v[196:199], v252 offset:224
	s_waitcnt lgkmcnt(2)
	v_fma_f64 v[10:11], -v[64:65], v[192:193], v[10:11]
	v_fma_f64 v[10:11], -v[78:79], v[218:219], v[10:11]
	;; [unrolled: 1-line block ×5, first 2 shown]
	ds_read_b128 v[200:203], v254 offset:208
	s_waitcnt lgkmcnt(2)
	v_fma_f64 v[10:11], -v[92:93], v[176:177], v[10:11]
	v_fma_f64 v[10:11], -v[94:95], v[170:171], v[10:11]
	;; [unrolled: 1-line block ×3, first 2 shown]
	s_lshl_b32 s42, s42, 6
	v_fma_f64 v[10:11], -v[36:37], v[148:149], v[10:11]
	ds_read_b128 v[146:149], v254 offset:224
	ds_read_b128 v[208:211], v22 offset:208
	;; [unrolled: 1-line block ×3, first 2 shown]
	s_add_i32 s44, s9, s42
	s_waitcnt lgkmcnt(3)
	v_fma_f64 v[10:11], -v[100:101], v[200:201], v[10:11]
	s_lshl_b32 s44, s44, 3
	v_fma_f64 v[10:11], -v[102:103], v[242:243], v[10:11]
	v_mul_f64 v[114:115], v[138:139], v[14:15]
	v_fma_f64 v[10:11], -v[32:33], v[212:213], v[10:11]
	v_mov_b32_e32 v14, s44
	v_fma_f64 v[10:11], -v[30:31], v[246:247], v[10:11]
	ds_read_b128 v[220:223], v14 offset:208
	s_waitcnt lgkmcnt(2)
	v_fma_f64 v[10:11], -v[38:39], v[208:209], v[10:11]
	ds_read_b128 v[172:175], v127 offset:224
	ds_read2_b64 v[224:227], v118 offset0:27 offset1:28
	v_fma_f64 v[10:11], -v[54:55], v[250:251], v[10:11]
	v_fma_f64 v[10:11], -v[110:111], v[204:205], v[10:11]
	;; [unrolled: 1-line block ×3, first 2 shown]
	ds_read_b128 v[154:157], v14 offset:224
	s_waitcnt lgkmcnt(3)
	v_fma_f64 v[10:11], -v[56:57], v[220:221], v[10:11]
	v_fma_f64 v[10:11], -v[114:115], v[140:141], v[10:11]
	;; [unrolled: 1-line block ×3, first 2 shown]
	ds_read2_b64 v[138:141], v123 offset0:27 offset1:28
	ds_read2_b64 v[150:153], v118 offset0:29 offset1:30
	s_waitcnt lgkmcnt(3)
	v_fma_f64 v[12:13], -v[84:85], v[224:225], v[12:13]
	v_fma_f64 v[12:13], -v[86:87], v[168:169], v[12:13]
	ds_read2_b64 v[166:169], v123 offset0:29 offset1:30
	ds_read2_b64 v[228:231], v124 offset0:27 offset1:28
	s_waitcnt lgkmcnt(3)
	v_fma_f64 v[12:13], -v[70:71], v[138:139], v[12:13]
	v_fma_f64 v[12:13], -v[72:73], v[190:191], v[12:13]
	;; [unrolled: 1-line block ×3, first 2 shown]
	ds_read2_b64 v[188:191], v124 offset0:29 offset1:30
	ds_read2_b64 v[232:235], v126 offset0:27 offset1:28
	s_waitcnt lgkmcnt(2)
	v_fma_f64 v[12:13], -v[62:63], v[228:229], v[12:13]
	v_fma_f64 v[12:13], -v[64:65], v[194:195], v[12:13]
	ds_read2_b64 v[192:195], v129 offset0:27 offset1:28
	ds_read2_b64 v[124:127], v126 offset0:29 offset1:30
	;; [unrolled: 1-line block ×4, first 2 shown]
	s_waitcnt lgkmcnt(4)
	v_fma_f64 v[12:13], -v[78:79], v[232:233], v[12:13]
	s_or_b32 s44, s9, 26
	s_waitcnt lgkmcnt(3)
	v_fma_f64 v[12:13], -v[88:89], v[192:193], v[12:13]
	v_fma_f64 v[12:13], -v[42:43], v[136:137], v[12:13]
	ds_read2_b64 v[134:137], v131 offset0:29 offset1:30
	ds_read2_b64 v[244:247], v253 offset0:27 offset1:28
	s_waitcnt lgkmcnt(2)
	v_fma_f64 v[12:13], -v[44:45], v[240:241], v[12:13]
	v_fma_f64 v[12:13], -v[92:93], v[178:179], v[12:13]
	ds_read2_b64 v[176:179], v133 offset0:27 offset1:28
	ds_read2_b64 v[248:251], v253 offset0:29 offset1:30
	s_mul_i32 s46, s44, 0x208
	s_waitcnt lgkmcnt(2)
	v_fma_f64 v[12:13], -v[94:95], v[244:245], v[12:13]
	v_fma_f64 v[12:13], -v[34:35], v[182:183], v[12:13]
	s_waitcnt lgkmcnt(1)
	v_fma_f64 v[12:13], -v[36:37], v[176:177], v[12:13]
	ds_read2_b64 v[180:183], v133 offset0:29 offset1:30
	v_fma_f64 v[12:13], -v[100:101], v[202:203], v[12:13]
	ds_read2_b64 v[200:203], v28 offset0:27 offset1:28
	ds_read2_b64 v[252:255], v28 offset0:29 offset1:30
	s_lshl_b32 s43, s43, 6
	s_add_i32 s45, s9, s43
	s_lshl_b32 s45, s45, 3
	s_waitcnt lgkmcnt(1)
	v_fma_f64 v[12:13], -v[102:103], v[200:201], v[12:13]
	v_fma_f64 v[12:13], -v[32:33], v[214:215], v[12:13]
	ds_read2_b64 v[212:215], v1 offset0:27 offset1:28
	ds_read2_b64 v[26:29], v1 offset0:29 offset1:30
	v_mov_b32_e32 v1, s46
	v_fma_f64 v[6:7], -v[82:83], v[162:163], v[6:7]
	v_fma_f64 v[6:7], -v[84:85], v[226:227], v[6:7]
	s_waitcnt lgkmcnt(1)
	v_fma_f64 v[12:13], -v[30:31], v[212:213], v[12:13]
	v_fma_f64 v[12:13], -v[38:39], v[210:211], v[12:13]
	ds_read2_b64 v[208:211], v23 offset0:27 offset1:28
	ds_read2_b64 v[22:25], v23 offset0:29 offset1:30
	v_fma_f64 v[6:7], -v[86:87], v[184:185], v[6:7]
	v_fma_f64 v[6:7], -v[70:71], v[140:141], v[6:7]
	;; [unrolled: 1-line block ×3, first 2 shown]
	s_waitcnt lgkmcnt(1)
	v_fma_f64 v[12:13], -v[54:55], v[208:209], v[12:13]
	v_fma_f64 v[12:13], -v[110:111], v[206:207], v[12:13]
	ds_read2_b64 v[206:209], v18 offset0:27 offset1:28
	ds_read2_b64 v[18:21], v18 offset0:29 offset1:30
	v_fma_f64 v[6:7], -v[66:67], v[144:145], v[6:7]
	v_fma_f64 v[6:7], -v[62:63], v[230:231], v[6:7]
	;; [unrolled: 1-line block ×3, first 2 shown]
	s_waitcnt lgkmcnt(1)
	v_fma_f64 v[12:13], -v[120:121], v[206:207], v[12:13]
	v_fma_f64 v[130:131], -v[56:57], v[222:223], v[12:13]
	ds_read_b128 v[220:223], v1
	ds_read_b128 v[204:207], v14 offset:240
	v_mov_b32_e32 v1, s45
	v_fma_f64 v[6:7], -v[78:79], v[234:235], v[6:7]
	v_fma_f64 v[6:7], -v[88:89], v[194:195], v[6:7]
	s_waitcnt lgkmcnt(1)
	v_mul_f64 v[118:119], v[220:221], v[10:11]
	ds_read2_b64 v[10:13], v1 offset0:27 offset1:28
	ds_read2_b64 v[14:17], v1 offset0:29 offset1:30
	s_or_b32 s45, s9, 27
	s_mul_i32 s46, s45, 0x208
	s_lshl_b32 s44, s44, 6
	s_waitcnt lgkmcnt(1)
	v_fma_f64 v[10:11], -v[114:115], v[10:11], v[130:131]
	ds_read_b128 v[138:141], v128 offset:224
	ds_read_b128 v[128:131], v128 offset:240
	;; [unrolled: 1-line block ×5, first 2 shown]
	v_fma_f64 v[10:11], -v[118:119], v[222:223], v[10:11]
	s_waitcnt lgkmcnt(4)
	v_fma_f64 v[6:7], -v[42:43], v[138:139], v[6:7]
	v_fma_f64 v[6:7], -v[44:45], v[242:243], v[6:7]
	;; [unrolled: 1-line block ×4, first 2 shown]
	s_waitcnt lgkmcnt(2)
	v_fma_f64 v[6:7], -v[34:35], v[142:143], v[6:7]
	v_fma_f64 v[6:7], -v[36:37], v[178:179], v[6:7]
	ds_read_b128 v[176:179], v0 offset:224
	v_fma_f64 v[6:7], -v[100:101], v[146:147], v[6:7]
	v_fma_f64 v[6:7], -v[102:103], v[202:203], v[6:7]
	ds_read_b128 v[200:203], v60 offset:224
	v_mov_b32_e32 v0, s46
	s_waitcnt lgkmcnt(1)
	v_fma_f64 v[6:7], -v[32:33], v[176:177], v[6:7]
	v_fma_f64 v[6:7], -v[30:31], v[214:215], v[6:7]
	;; [unrolled: 1-line block ×3, first 2 shown]
	ds_read2_b64 v[214:217], v0 offset1:1
	ds_read_b64 v[132:133], v1 offset:248
	v_fma_f64 v[6:7], -v[54:55], v[210:211], v[6:7]
	ds_read_b128 v[210:213], v60 offset:240
	s_waitcnt lgkmcnt(3)
	v_fma_f64 v[6:7], -v[110:111], v[200:201], v[6:7]
	s_add_i32 s46, s9, s44
	v_fma_f64 v[6:7], -v[120:121], v[208:209], v[6:7]
	s_lshl_b32 s46, s46, 3
	v_fma_f64 v[6:7], -v[56:57], v[154:155], v[6:7]
	v_mov_b32_e32 v0, s46
	s_waitcnt lgkmcnt(2)
	v_mul_f64 v[138:139], v[214:215], v[10:11]
	v_fma_f64 v[6:7], -v[114:115], v[12:13], v[6:7]
	ds_read_b128 v[10:13], v0 offset:224
	ds_read_b128 v[220:223], v0 offset:240
	v_accvgpr_read_b32 v0, a3
	v_accvgpr_read_b32 v176, a0
	ds_write_b64 v0, v[82:83]
	v_or_b32_e32 v0, s12, v176
	v_lshlrev_b32_e32 v0, 3, v0
	ds_write_b64 v0, v[84:85] offset:32768
	v_or_b32_e32 v0, s13, v176
	v_lshlrev_b32_e32 v0, 3, v0
	ds_write_b64 v0, v[86:87] offset:32768
	;; [unrolled: 3-line block ×25, first 2 shown]
	v_or_b32_e32 v0, s44, v176
	v_lshlrev_b32_e32 v0, 3, v0
	s_lshl_b32 s12, s45, 6
	ds_write_b64 v0, v[118:119] offset:32768
	v_or_b32_e32 v0, s12, v176
	s_or_b32 s13, s9, 28
	v_lshlrev_b32_e32 v0, 3, v0
	s_lshl_b32 s16, s13, 6
	s_mulk_i32 s13, 0x208
	s_waitcnt lgkmcnt(14)
	v_fma_f64 v[6:7], -v[118:119], v[10:11], v[6:7]
	ds_write_b64 v0, v[138:139] offset:32768
	v_mov_b32_e32 v0, s13
	v_fma_f64 v[10:11], -v[138:139], v[216:217], v[6:7]
	v_fma_f64 v[142:143], -v[82:83], v[164:165], v[8:9]
	ds_read_b128 v[6:9], v0
	v_fma_f64 v[142:143], -v[84:85], v[150:151], v[142:143]
	v_fma_f64 v[142:143], -v[86:87], v[186:187], v[142:143]
	;; [unrolled: 1-line block ×4, first 2 shown]
	s_waitcnt lgkmcnt(0)
	v_mul_f64 v[146:147], v[6:7], v[10:11]
	v_fma_f64 v[6:7], -v[70:71], v[166:167], v[142:143]
	v_fma_f64 v[6:7], -v[72:73], v[160:161], v[6:7]
	ds_read2_b64 v[158:161], v122 offset0:29 offset1:30
	v_accvgpr_read_b32 v155, a19
	v_accvgpr_read_b32 v153, a17
	;; [unrolled: 1-line block ×3, first 2 shown]
	s_add_i32 s12, s9, s12
	s_waitcnt lgkmcnt(0)
	v_fma_f64 v[6:7], -v[66:67], v[158:159], v[6:7]
	v_fma_f64 v[6:7], -v[62:63], v[188:189], v[6:7]
	;; [unrolled: 1-line block ×10, first 2 shown]
	v_accvgpr_read_b32 v143, a9
	v_fma_f64 v[6:7], -v[36:37], v[180:181], v[6:7]
	v_accvgpr_read_b32 v141, a7
	v_accvgpr_read_b32 v140, a6
	v_fma_f64 v[6:7], -v[100:101], v[148:149], v[6:7]
	v_fma_f64 v[2:3], -v[86:87], v[140:141], v[2:3]
	v_accvgpr_read_b32 v151, a15
	v_fma_f64 v[2:3], -v[70:71], v[168:169], v[2:3]
	v_accvgpr_read_b32 v149, a13
	v_accvgpr_read_b32 v148, a12
	v_fma_f64 v[2:3], -v[72:73], v[148:149], v[2:3]
	v_fma_f64 v[2:3], -v[66:67], v[160:161], v[2:3]
	;; [unrolled: 1-line block ×13, first 2 shown]
	s_lshl_b32 s12, s12, 3
	v_fma_f64 v[6:7], -v[110:111], v[202:203], v[6:7]
	v_fma_f64 v[2:3], -v[92:93], v[46:47], v[2:3]
	v_mov_b32_e32 v0, s12
	v_or_b32_e32 v1, s16, v176
	s_or_b32 s12, s9, 29
	v_fma_f64 v[6:7], -v[120:121], v[18:19], v[6:7]
	v_fma_f64 v[2:3], -v[94:95], v[250:251], v[2:3]
	ds_read2_b64 v[162:165], v0 offset0:29 offset1:30
	ds_read_b64 v[18:19], v0 offset:248
	v_lshlrev_b32_e32 v1, 3, v1
	v_fma_f64 v[6:7], -v[56:57], v[156:157], v[6:7]
	s_add_i32 s13, s9, s16
	s_mul_i32 s16, s12, 0x208
	v_fma_f64 v[2:3], -v[34:35], v[170:171], v[2:3]
	ds_write_b64 v1, v[146:147] offset:32768
	v_fma_f64 v[6:7], -v[114:115], v[14:15], v[6:7]
	v_mov_b32_e32 v1, s16
	v_fma_f64 v[2:3], -v[36:37], v[182:183], v[2:3]
	v_fma_f64 v[6:7], -v[118:119], v[12:13], v[6:7]
	ds_read2_b64 v[10:13], v1 offset1:1
	v_fma_f64 v[2:3], -v[100:101], v[50:51], v[2:3]
	v_fma_f64 v[2:3], -v[102:103], v[254:255], v[2:3]
	;; [unrolled: 1-line block ×3, first 2 shown]
	s_waitcnt lgkmcnt(3)
	v_fma_f64 v[6:7], -v[138:139], v[162:163], v[6:7]
	s_lshl_b32 s12, s12, 6
	v_fma_f64 v[2:3], -v[30:31], v[28:29], v[2:3]
	v_fma_f64 v[6:7], -v[146:147], v[8:9], v[6:7]
	v_or_b32_e32 v0, s12, v176
	v_fma_f64 v[2:3], -v[38:39], v[106:107], v[2:3]
	s_lshl_b32 s13, s13, 3
	s_waitcnt lgkmcnt(0)
	v_mul_f64 v[10:11], v[10:11], v[6:7]
	v_lshlrev_b32_e32 v0, 3, v0
	v_fma_f64 v[2:3], -v[54:55], v[24:25], v[2:3]
	ds_write_b64 v0, v[10:11] offset:32768
	s_or_b32 s16, s9, 30
	v_fma_f64 v[2:3], -v[110:111], v[210:211], v[2:3]
	v_mov_b32_e32 v0, s13
	v_fma_f64 v[2:3], -v[120:121], v[20:21], v[2:3]
	ds_read_b128 v[6:9], v0 offset:240
	s_mul_i32 s13, s16, 0x208
	v_fma_f64 v[2:3], -v[56:57], v[204:205], v[2:3]
	v_mov_b32_e32 v0, s13
	ds_read_b64 v[122:123], v122 offset:248
	v_fma_f64 v[2:3], -v[114:115], v[16:17], v[2:3]
	ds_read_b128 v[14:17], v0
	v_fma_f64 v[2:3], -v[118:119], v[220:221], v[2:3]
	v_fma_f64 v[2:3], -v[138:139], v[164:165], v[2:3]
	s_waitcnt lgkmcnt(2)
	v_fma_f64 v[2:3], -v[146:147], v[6:7], v[2:3]
	v_fma_f64 v[2:3], -v[10:11], v[12:13], v[2:3]
	v_accvgpr_read_b32 v12, a2
	s_waitcnt lgkmcnt(0)
	v_mul_f64 v[2:3], v[14:15], v[2:3]
	v_lshl_or_b32 v0, s16, 9, v12
	ds_write_b64 v0, v[2:3] offset:32768
	v_accvgpr_read_b32 v0, a4
	v_fma_f64 v[4:5], -v[82:83], v[76:77], v[4:5]
	v_accvgpr_read_b32 v1, a5
	v_accvgpr_read_b32 v142, a8
	v_fma_f64 v[4:5], -v[84:85], v[0:1], v[4:5]
	v_accvgpr_read_b32 v0, a10
	v_fma_f64 v[4:5], -v[86:87], v[142:143], v[4:5]
	v_accvgpr_read_b32 v1, a11
	v_accvgpr_read_b32 v150, a14
	v_fma_f64 v[4:5], -v[70:71], v[0:1], v[4:5]
	v_fma_f64 v[4:5], -v[72:73], v[150:151], v[4:5]
	;; [unrolled: 1-line block ×3, first 2 shown]
	v_accvgpr_read_b32 v154, a18
	v_fma_f64 v[4:5], -v[62:63], v[68:69], v[4:5]
	v_fma_f64 v[4:5], -v[64:65], v[154:155], v[4:5]
	;; [unrolled: 1-line block ×15, first 2 shown]
	s_add_i32 s12, s9, s12
	v_fma_f64 v[0:1], -v[54:55], v[112:113], v[0:1]
	s_lshl_b32 s12, s12, 3
	v_fma_f64 v[0:1], -v[110:111], v[212:213], v[0:1]
	s_or_b32 s13, s9, 31
	v_fma_f64 v[0:1], -v[120:121], v[116:117], v[0:1]
	v_mov_b32_e32 v4, s12
	v_fma_f64 v[0:1], -v[56:57], v[206:207], v[0:1]
	s_mul_i32 s12, s13, 0x208
	ds_read_b64 v[4:5], v4 offset:248
	v_fma_f64 v[0:1], -v[114:115], v[132:133], v[0:1]
	v_mov_b32_e32 v6, s12
	ds_read_b64 v[6:7], v6
	v_fma_f64 v[0:1], -v[118:119], v[222:223], v[0:1]
	v_fma_f64 v[0:1], -v[138:139], v[18:19], v[0:1]
	;; [unrolled: 1-line block ×3, first 2 shown]
	s_waitcnt lgkmcnt(1)
	v_fma_f64 v[0:1], -v[10:11], v[4:5], v[0:1]
	v_fma_f64 v[0:1], -v[2:3], v[16:17], v[0:1]
	s_add_i32 s12, s9, 32
	s_add_i32 s9, s9, 63
	s_addk_i32 s8, 0x100
	s_waitcnt lgkmcnt(0)
	v_mul_f64 v[0:1], v[6:7], v[0:1]
	v_lshl_or_b32 v2, s13, 9, v12
	s_cmp_lt_i32 s9, s30
	ds_write_b64 v2, v[0:1] offset:32768
	s_cbranch_scc0 .LBB109_54
; %bb.53:                               ;   in Loop: Header=BB109_49 Depth=1
	s_mov_b32 s9, s12
	s_branch .LBB109_49
.LBB109_54:
	s_cmp_lt_i32 s12, s30
	s_cbranch_scc0 .LBB109_79
; %bb.55:
	s_add_i32 s8, s12, 3
	s_cmp_ge_i32 s8, s30
	s_cbranch_scc1 .LBB109_67
; %bb.56:
	v_mov_b32_e32 v0, 0x8000
	s_add_i32 s8, s12, -1
	s_lshl_b32 s9, s12, 3
	v_lshl_or_b32 v1, v176, 3, v0
	s_and_b32 s13, s12, -4
	s_and_b32 s16, s12, 3
	s_mov_b32 s17, 0
	v_lshlrev_b32_e32 v10, 3, v176
.LBB109_57:                             ; =>This Loop Header: Depth=1
                                        ;     Child Loop BB109_60 Depth 2
                                        ;     Child Loop BB109_64 Depth 2
	v_lshl_or_b32 v11, s12, 9, v10
	ds_read2st64_b64 v[6:9], v11 offset0:64 offset1:65
	ds_read2st64_b64 v[2:5], v11 offset0:66 offset1:67
	s_cmp_eq_u32 s12, 0
	s_cbranch_scc1 .LBB109_65
; %bb.58:                               ;   in Loop: Header=BB109_57 Depth=1
	s_lshl_b32 s18, s17, 2
	s_add_i32 s18, s8, s18
	s_cmp_lt_u32 s18, 3
	s_cbranch_scc1 .LBB109_62
; %bb.59:                               ;   in Loop: Header=BB109_57 Depth=1
	s_mov_b32 s18, 0
	v_mov_b32_e32 v12, v1
	s_mov_b32 s19, s9
.LBB109_60:                             ;   Parent Loop BB109_57 Depth=1
                                        ; =>  This Inner Loop Header: Depth=2
	ds_read2st64_b64 v[14:17], v12 offset1:1
	ds_read2st64_b64 v[18:21], v12 offset0:2 offset1:3
	v_mov_b32_e32 v0, s19
	ds_read2_b64 v[22:25], v0 offset1:1
	ds_read2_b64 v[26:29], v0 offset0:2 offset1:3
	ds_read2_b64 v[30:33], v0 offset0:64 offset1:65
	;; [unrolled: 1-line block ×7, first 2 shown]
	s_add_i32 s18, s18, 4
	s_waitcnt lgkmcnt(7)
	v_fma_f64 v[6:7], -v[14:15], v[22:23], v[6:7]
	v_fma_f64 v[8:9], -v[14:15], v[24:25], v[8:9]
	s_waitcnt lgkmcnt(6)
	v_fma_f64 v[2:3], -v[14:15], v[26:27], v[2:3]
	v_fma_f64 v[4:5], -v[14:15], v[28:29], v[4:5]
	;; [unrolled: 3-line block ×4, first 2 shown]
	s_addk_i32 s19, 0x800
	s_waitcnt lgkmcnt(3)
	v_fma_f64 v[6:7], -v[18:19], v[38:39], v[6:7]
	v_fma_f64 v[8:9], -v[18:19], v[40:41], v[8:9]
	s_waitcnt lgkmcnt(2)
	v_fma_f64 v[2:3], -v[18:19], v[42:43], v[2:3]
	v_fma_f64 v[4:5], -v[18:19], v[44:45], v[4:5]
	v_add_u32_e32 v12, 0x800, v12
	s_cmp_lg_u32 s13, s18
	s_waitcnt lgkmcnt(1)
	v_fma_f64 v[6:7], -v[20:21], v[46:47], v[6:7]
	v_fma_f64 v[8:9], -v[20:21], v[48:49], v[8:9]
	s_waitcnt lgkmcnt(0)
	v_fma_f64 v[2:3], -v[20:21], v[50:51], v[2:3]
	v_fma_f64 v[4:5], -v[20:21], v[52:53], v[4:5]
	s_cbranch_scc1 .LBB109_60
; %bb.61:                               ;   in Loop: Header=BB109_57 Depth=1
	s_mov_b32 s18, s13
	s_and_b32 s19, s12, 3
	s_cmp_eq_u32 s19, 0
	s_cbranch_scc0 .LBB109_63
	s_branch .LBB109_65
.LBB109_62:                             ;   in Loop: Header=BB109_57 Depth=1
	s_mov_b32 s18, 0
	s_and_b32 s19, s12, 3
	s_cmp_eq_u32 s19, 0
	s_cbranch_scc1 .LBB109_65
.LBB109_63:                             ;   in Loop: Header=BB109_57 Depth=1
	s_lshl_b32 s18, s18, 9
	s_mov_b32 s19, s16
.LBB109_64:                             ;   Parent Loop BB109_57 Depth=1
                                        ; =>  This Inner Loop Header: Depth=2
	v_add_u32_e32 v0, s18, v1
	s_add_i32 s20, s9, s18
	ds_read_b64 v[20:21], v0
	v_mov_b32_e32 v0, s20
	ds_read2_b64 v[12:15], v0 offset1:1
	ds_read2_b64 v[16:19], v0 offset0:2 offset1:3
	s_add_i32 s19, s19, -1
	s_addk_i32 s18, 0x200
	s_cmp_lg_u32 s19, 0
	s_waitcnt lgkmcnt(1)
	v_fma_f64 v[6:7], -v[20:21], v[12:13], v[6:7]
	v_fma_f64 v[8:9], -v[20:21], v[14:15], v[8:9]
	s_waitcnt lgkmcnt(0)
	v_fma_f64 v[2:3], -v[20:21], v[16:17], v[2:3]
	v_fma_f64 v[4:5], -v[20:21], v[18:19], v[4:5]
	s_cbranch_scc1 .LBB109_64
.LBB109_65:                             ;   in Loop: Header=BB109_57 Depth=1
	s_mul_i32 s18, s12, 0x208
	v_mov_b32_e32 v0, s18
	ds_read2_b64 v[12:15], v0 offset1:1
	ds_read2_b64 v[16:19], v0 offset0:2 offset1:3
	ds_read2_b64 v[20:23], v0 offset0:65 offset1:66
	s_lshl_b32 s18, s12, 6
	v_add_u32_e32 v11, 0x8000, v11
	s_waitcnt lgkmcnt(2)
	v_mul_f64 v[12:13], v[12:13], v[6:7]
	v_fma_f64 v[14:15], -v[12:13], v[14:15], v[8:9]
	ds_read2_b64 v[6:9], v0 offset0:130 offset1:131
	s_add_i32 s18, s18, 64
	ds_write_b64 v11, v[12:13]
	s_waitcnt lgkmcnt(2)
	v_mul_f64 v[14:15], v[20:21], v[14:15]
	v_or_b32_e32 v11, s18, v176
	v_fma_f64 v[2:3], -v[12:13], v[16:17], v[2:3]
	s_add_i32 s18, s12, s18
	s_lshl_b32 s18, s18, 3
	v_fma_f64 v[2:3], -v[14:15], v[22:23], v[2:3]
	s_waitcnt lgkmcnt(1)
	v_mul_f64 v[2:3], v[6:7], v[2:3]
	v_mov_b32_e32 v6, s18
	ds_read_b64 v[6:7], v6 offset:24
	ds_read_b64 v[16:17], v0 offset:1560
	s_lshl_b32 s19, s12, 9
	v_lshlrev_b32_e32 v11, 3, v11
	s_add_i32 s20, s19, 0x400
	v_fma_f64 v[4:5], -v[12:13], v[18:19], v[4:5]
	ds_write_b64 v11, v[14:15] offset:32768
	v_or_b32_e32 v11, s20, v10
	s_waitcnt lgkmcnt(2)
	v_fma_f64 v[4:5], -v[14:15], v[6:7], v[4:5]
	ds_write_b64 v11, v[2:3] offset:32768
	v_fma_f64 v[2:3], -v[2:3], v[8:9], v[4:5]
	s_addk_i32 s19, 0x600
	s_add_i32 s18, s12, 4
	s_add_i32 s12, s12, 7
	;; [unrolled: 1-line block ×5, first 2 shown]
	s_waitcnt lgkmcnt(2)
	v_mul_f64 v[2:3], v[16:17], v[2:3]
	v_or_b32_e32 v0, s19, v10
	s_cmp_lt_i32 s12, s30
	ds_write_b64 v0, v[2:3] offset:32768
	s_cbranch_scc0 .LBB109_68
; %bb.66:                               ;   in Loop: Header=BB109_57 Depth=1
	s_mov_b32 s12, s18
	s_branch .LBB109_57
.LBB109_67:
	s_mov_b32 s18, s12
.LBB109_68:
	s_cmp_ge_i32 s18, s30
	s_cbranch_scc1 .LBB109_79
; %bb.69:
	v_mov_b32_e32 v0, 0x8000
	s_add_i32 s8, s18, -1
	s_lshl_b32 s9, s18, 3
	v_lshl_or_b32 v1, v176, 3, v0
	s_mov_b32 s12, 0
	v_lshlrev_b32_e32 v4, 3, v176
	s_mov_b32 s13, s18
	s_branch .LBB109_71
.LBB109_70:                             ;   in Loop: Header=BB109_71 Depth=1
	s_mul_i32 s16, s18, 0x208
	v_mov_b32_e32 v0, s16
	ds_read_b64 v[6:7], v0
	s_add_i32 s18, s18, 1
	s_add_i32 s12, s12, 1
	;; [unrolled: 1-line block ×3, first 2 shown]
	v_add_u16_e64 v0, s13, 1
	v_add_u32_e32 v5, 0x8000, v5
	s_waitcnt lgkmcnt(0)
	v_mul_f64 v[2:3], v[6:7], v[2:3]
	s_cmp_ge_i32 s18, s30
	v_readfirstlane_b32 s13, v0
	ds_write_b64 v5, v[2:3]
	s_cbranch_scc1 .LBB109_79
.LBB109_71:                             ; =>This Loop Header: Depth=1
                                        ;     Child Loop BB109_74 Depth 2
                                        ;     Child Loop BB109_78 Depth 2
	v_lshl_or_b32 v5, s18, 9, v4
	ds_read_b64 v[2:3], v5 offset:32768
	s_cmp_eq_u32 s18, 0
	s_cbranch_scc1 .LBB109_70
; %bb.72:                               ;   in Loop: Header=BB109_71 Depth=1
	s_add_i32 s16, s8, s12
	s_cmp_lt_u32 s16, 7
	s_cbranch_scc1 .LBB109_76
; %bb.73:                               ;   in Loop: Header=BB109_71 Depth=1
	s_and_b32 s16, s18, -8
	s_mov_b32 s17, 0
	v_mov_b32_e32 v6, v1
	s_mov_b32 s19, s9
.LBB109_74:                             ;   Parent Loop BB109_71 Depth=1
                                        ; =>  This Inner Loop Header: Depth=2
	v_mov_b32_e32 v0, s19
	ds_read2st64_b64 v[8:11], v6 offset1:1
	ds_read2st64_b64 v[12:15], v6 offset0:2 offset1:3
	ds_read2st64_b64 v[16:19], v6 offset0:4 offset1:5
	;; [unrolled: 1-line block ×3, first 2 shown]
	ds_read2st64_b64 v[24:27], v0 offset1:1
	ds_read2st64_b64 v[28:31], v0 offset0:2 offset1:3
	ds_read2st64_b64 v[32:35], v0 offset0:4 offset1:5
	ds_read2st64_b64 v[36:39], v0 offset0:6 offset1:7
	s_add_i32 s17, s17, 8
	s_waitcnt lgkmcnt(3)
	v_fma_f64 v[2:3], -v[8:9], v[24:25], v[2:3]
	v_fma_f64 v[2:3], -v[10:11], v[26:27], v[2:3]
	s_waitcnt lgkmcnt(2)
	v_fma_f64 v[2:3], -v[12:13], v[28:29], v[2:3]
	v_fma_f64 v[2:3], -v[14:15], v[30:31], v[2:3]
	;; [unrolled: 3-line block ×3, first 2 shown]
	s_addk_i32 s19, 0x1000
	s_waitcnt lgkmcnt(0)
	v_fma_f64 v[2:3], -v[20:21], v[36:37], v[2:3]
	v_add_u32_e32 v6, 0x1000, v6
	s_cmp_lg_u32 s16, s17
	v_fma_f64 v[2:3], -v[22:23], v[38:39], v[2:3]
	s_cbranch_scc1 .LBB109_74
; %bb.75:                               ;   in Loop: Header=BB109_71 Depth=1
	s_and_b32 s17, s18, 7
	s_cmp_eq_u32 s17, 0
	s_cbranch_scc0 .LBB109_77
	s_branch .LBB109_70
.LBB109_76:                             ;   in Loop: Header=BB109_71 Depth=1
	s_mov_b32 s16, 0
	s_and_b32 s17, s18, 7
	s_cmp_eq_u32 s17, 0
	s_cbranch_scc1 .LBB109_70
.LBB109_77:                             ;   in Loop: Header=BB109_71 Depth=1
	s_and_b32 s17, s13, 7
	s_lshl_b32 s16, s16, 9
.LBB109_78:                             ;   Parent Loop BB109_71 Depth=1
                                        ; =>  This Inner Loop Header: Depth=2
	v_add_u32_e32 v0, s16, v1
	s_add_i32 s19, s9, s16
	ds_read_b64 v[6:7], v0
	v_mov_b32_e32 v0, s19
	ds_read_b64 v[8:9], v0
	s_addk_i32 s16, 0x200
	s_add_i32 s17, s17, -1
	s_cmp_lg_u32 s17, 0
	s_waitcnt lgkmcnt(0)
	v_fma_f64 v[2:3], -v[6:7], v[8:9], v[2:3]
	s_cbranch_scc1 .LBB109_78
	s_branch .LBB109_70
.LBB109_79:
	s_waitcnt lgkmcnt(0)
	; wave barrier
	s_waitcnt lgkmcnt(0)
	s_and_saveexec_b64 s[8:9], s[6:7]
	s_cbranch_execz .LBB109_86
; %bb.80:
	s_cmp_lt_i32 s10, 8
	s_mov_b32 s6, 0
	s_cbranch_scc1 .LBB109_83
; %bb.81:
	v_mad_i64_i32 v[0:1], s[6:7], s22, v176, 0
	v_lshlrev_b64 v[2:3], 3, v[0:1]
	v_mov_b32_e32 v0, s24
	v_add_co_u32_e32 v1, vcc, s11, v2
	v_addc_co_u32_e32 v2, vcc, v0, v3, vcc
	v_mov_b32_e32 v0, 0x8000
	s_lshl_b32 s6, s30, 3
	v_lshl_or_b32 v3, v176, 3, v0
	s_and_b32 s7, s6, 0x3c0
	s_mov_b32 s6, 0
	s_mov_b64 s[8:9], 0
.LBB109_82:                             ; =>This Inner Loop Header: Depth=1
	ds_read2st64_b64 v[4:7], v3 offset1:1
	ds_read2st64_b64 v[8:11], v3 offset0:2 offset1:3
	ds_read2st64_b64 v[12:15], v3 offset0:4 offset1:5
	;; [unrolled: 1-line block ×3, first 2 shown]
	s_add_i32 s6, s6, 8
	v_add_co_u32_e32 v20, vcc, s8, v1
	s_add_u32 s8, s8, 64
	v_mov_b32_e32 v0, s9
	s_addc_u32 s9, s9, 0
	v_add_u32_e32 v3, 0x1000, v3
	v_addc_co_u32_e32 v21, vcc, v2, v0, vcc
	s_cmp_lg_u32 s7, s8
	s_waitcnt lgkmcnt(3)
	global_store_dwordx4 v[20:21], v[4:7], off
	s_waitcnt lgkmcnt(2)
	global_store_dwordx4 v[20:21], v[8:11], off offset:16
	s_waitcnt lgkmcnt(1)
	global_store_dwordx4 v[20:21], v[12:15], off offset:32
	;; [unrolled: 2-line block ×3, first 2 shown]
	s_cbranch_scc1 .LBB109_82
.LBB109_83:
	s_and_b32 s8, s30, 7
	s_cmp_eq_u32 s8, 0
	s_mov_b32 s7, 0
	s_cbranch_scc1 .LBB109_86
; %bb.84:
	s_lshl_b64 s[10:11], s[14:15], 3
	v_lshlrev_b32_e32 v2, 3, v176
	v_mov_b32_e32 v0, s11
	v_add_co_u32_e32 v3, vcc, s10, v2
	s_lshl_b64 s[10:11], s[6:7], 3
	s_add_u32 s2, s2, s10
	s_addc_u32 s3, s3, s11
	s_add_u32 s2, s2, s4
	s_addc_u32 s3, s3, s5
	;; [unrolled: 2-line block ×3, first 2 shown]
	v_addc_co_u32_e32 v4, vcc, 0, v0, vcc
	v_pk_mov_b32 v[0:1], s[0:1], s[0:1] op_sel:[0,1]
	v_mad_u64_u32 v[0:1], s[0:1], v3, s22, v[0:1]
	v_mul_lo_u32 v3, v3, s23
	v_mul_lo_u32 v4, v4, s22
	v_lshl_or_b32 v2, s6, 9, v2
	v_add3_u32 v1, v4, v1, v3
	v_add_u32_e32 v2, 0x8000, v2
.LBB109_85:                             ; =>This Inner Loop Header: Depth=1
	ds_read_b64 v[4:5], v2
	s_add_i32 s8, s8, -1
	v_add_u32_e32 v2, 0x200, v2
	s_cmp_lg_u32 s8, 0
	s_waitcnt lgkmcnt(0)
	global_store_dwordx2 v[0:1], v[4:5], off
	v_add_co_u32_e32 v0, vcc, 8, v0
	v_addc_co_u32_e32 v1, vcc, 0, v1, vcc
	s_cbranch_scc1 .LBB109_85
.LBB109_86:
	s_endpgm
	.section	.rodata,"a",@progbits
	.p2align	6, 0x0
	.amdhsa_kernel _ZL38rocblas_trsm_small_left_device_sharedBILi64ELi32ELb1EddPKdPdEv13rocblas_fill_18rocblas_operation_17rocblas_diagonal_iiT3_T4_lilT5_lili
		.amdhsa_group_segment_fixed_size 65536
		.amdhsa_private_segment_fixed_size 0
		.amdhsa_kernarg_size 360
		.amdhsa_user_sgpr_count 6
		.amdhsa_user_sgpr_private_segment_buffer 1
		.amdhsa_user_sgpr_dispatch_ptr 0
		.amdhsa_user_sgpr_queue_ptr 0
		.amdhsa_user_sgpr_kernarg_segment_ptr 1
		.amdhsa_user_sgpr_dispatch_id 0
		.amdhsa_user_sgpr_flat_scratch_init 0
		.amdhsa_user_sgpr_kernarg_preload_length 0
		.amdhsa_user_sgpr_kernarg_preload_offset 0
		.amdhsa_user_sgpr_private_segment_size 0
		.amdhsa_uses_dynamic_stack 0
		.amdhsa_system_sgpr_private_segment_wavefront_offset 0
		.amdhsa_system_sgpr_workgroup_id_x 1
		.amdhsa_system_sgpr_workgroup_id_y 0
		.amdhsa_system_sgpr_workgroup_id_z 1
		.amdhsa_system_sgpr_workgroup_info 0
		.amdhsa_system_vgpr_workitem_id 0
		.amdhsa_next_free_vgpr 276
		.amdhsa_next_free_sgpr 51
		.amdhsa_accum_offset 256
		.amdhsa_reserve_vcc 1
		.amdhsa_reserve_flat_scratch 0
		.amdhsa_float_round_mode_32 0
		.amdhsa_float_round_mode_16_64 0
		.amdhsa_float_denorm_mode_32 3
		.amdhsa_float_denorm_mode_16_64 3
		.amdhsa_dx10_clamp 1
		.amdhsa_ieee_mode 1
		.amdhsa_fp16_overflow 0
		.amdhsa_tg_split 0
		.amdhsa_exception_fp_ieee_invalid_op 0
		.amdhsa_exception_fp_denorm_src 0
		.amdhsa_exception_fp_ieee_div_zero 0
		.amdhsa_exception_fp_ieee_overflow 0
		.amdhsa_exception_fp_ieee_underflow 0
		.amdhsa_exception_fp_ieee_inexact 0
		.amdhsa_exception_int_div_zero 0
	.end_amdhsa_kernel
	.section	.text._ZL38rocblas_trsm_small_left_device_sharedBILi64ELi32ELb1EddPKdPdEv13rocblas_fill_18rocblas_operation_17rocblas_diagonal_iiT3_T4_lilT5_lili,"axG",@progbits,_ZL38rocblas_trsm_small_left_device_sharedBILi64ELi32ELb1EddPKdPdEv13rocblas_fill_18rocblas_operation_17rocblas_diagonal_iiT3_T4_lilT5_lili,comdat
.Lfunc_end109:
	.size	_ZL38rocblas_trsm_small_left_device_sharedBILi64ELi32ELb1EddPKdPdEv13rocblas_fill_18rocblas_operation_17rocblas_diagonal_iiT3_T4_lilT5_lili, .Lfunc_end109-_ZL38rocblas_trsm_small_left_device_sharedBILi64ELi32ELb1EddPKdPdEv13rocblas_fill_18rocblas_operation_17rocblas_diagonal_iiT3_T4_lilT5_lili
                                        ; -- End function
	.section	.AMDGPU.csdata,"",@progbits
; Kernel info:
; codeLenInByte = 25216
; NumSgprs: 55
; NumVgprs: 256
; NumAgprs: 20
; TotalNumVgprs: 276
; ScratchSize: 0
; MemoryBound: 0
; FloatMode: 240
; IeeeMode: 1
; LDSByteSize: 65536 bytes/workgroup (compile time only)
; SGPRBlocks: 6
; VGPRBlocks: 34
; NumSGPRsForWavesPerEU: 55
; NumVGPRsForWavesPerEU: 276
; AccumOffset: 256
; Occupancy: 1
; WaveLimiterHint : 0
; COMPUTE_PGM_RSRC2:SCRATCH_EN: 0
; COMPUTE_PGM_RSRC2:USER_SGPR: 6
; COMPUTE_PGM_RSRC2:TRAP_HANDLER: 0
; COMPUTE_PGM_RSRC2:TGID_X_EN: 1
; COMPUTE_PGM_RSRC2:TGID_Y_EN: 0
; COMPUTE_PGM_RSRC2:TGID_Z_EN: 1
; COMPUTE_PGM_RSRC2:TIDIG_COMP_CNT: 0
; COMPUTE_PGM_RSRC3_GFX90A:ACCUM_OFFSET: 63
; COMPUTE_PGM_RSRC3_GFX90A:TG_SPLIT: 0
	.section	.text._ZL30rocblas_trsm_small_left_deviceILi64ELi32ELb1EddPKdPdEv13rocblas_fill_18rocblas_operation_17rocblas_diagonal_iiT3_T4_lilT5_lili,"axG",@progbits,_ZL30rocblas_trsm_small_left_deviceILi64ELi32ELb1EddPKdPdEv13rocblas_fill_18rocblas_operation_17rocblas_diagonal_iiT3_T4_lilT5_lili,comdat
	.globl	_ZL30rocblas_trsm_small_left_deviceILi64ELi32ELb1EddPKdPdEv13rocblas_fill_18rocblas_operation_17rocblas_diagonal_iiT3_T4_lilT5_lili ; -- Begin function _ZL30rocblas_trsm_small_left_deviceILi64ELi32ELb1EddPKdPdEv13rocblas_fill_18rocblas_operation_17rocblas_diagonal_iiT3_T4_lilT5_lili
	.p2align	8
	.type	_ZL30rocblas_trsm_small_left_deviceILi64ELi32ELb1EddPKdPdEv13rocblas_fill_18rocblas_operation_17rocblas_diagonal_iiT3_T4_lilT5_lili,@function
_ZL30rocblas_trsm_small_left_deviceILi64ELi32ELb1EddPKdPdEv13rocblas_fill_18rocblas_operation_17rocblas_diagonal_iiT3_T4_lilT5_lili: ; @_ZL30rocblas_trsm_small_left_deviceILi64ELi32ELb1EddPKdPdEv13rocblas_fill_18rocblas_operation_17rocblas_diagonal_iiT3_T4_lilT5_lili
; %bb.0:
	s_load_dwordx4 s[12:15], s[4:5], 0x4
	s_load_dwordx4 s[0:3], s[4:5], 0x18
	s_load_dwordx2 s[22:23], s[4:5], 0x28
	s_load_dwordx4 s[8:11], s[4:5], 0x38
	s_load_dwordx2 s[18:19], s[4:5], 0x48
	s_waitcnt lgkmcnt(0)
	s_min_i32 s33, s14, 64
	s_mov_b32 s17, 0
	s_add_i32 s16, s33, -1
	v_cmp_gt_i32_e32 vcc, s33, v0
	s_and_saveexec_b64 s[20:21], vcc
	s_cbranch_execz .LBB110_10
; %bb.1:
	s_load_dword s24, s[4:5], 0x30
	s_mul_i32 s9, s7, s9
	s_mul_hi_u32 s25, s7, s8
	s_add_i32 s9, s25, s9
	s_mul_i32 s8, s7, s8
	s_waitcnt lgkmcnt(0)
	s_ashr_i32 s25, s24, 31
	s_cmp_lt_u32 s16, 3
	v_lshlrev_b32_e32 v1, 3, v0
	s_cbranch_scc1 .LBB110_4
; %bb.2:
	s_lshl_b64 s[26:27], s[8:9], 3
	s_add_u32 s17, s2, s26
	s_addc_u32 s28, s3, s27
	s_lshl_b64 s[26:27], s[22:23], 3
	s_add_u32 s17, s17, s26
	s_addc_u32 s26, s28, s27
	v_mov_b32_e32 v3, s26
	v_add_co_u32_e32 v2, vcc, s17, v1
	s_mul_hi_i32 s36, s24, 24
	s_lshl_b64 s[26:27], s[24:25], 5
	s_lshl_b64 s[28:29], s[24:25], 4
	;; [unrolled: 1-line block ×3, first 2 shown]
	v_addc_co_u32_e32 v3, vcc, 0, v3, vcc
	s_and_b32 s17, s33, -4
	s_mul_i32 s34, s24, 24
	s_mov_b32 s35, 0
	v_mov_b32_e32 v4, s31
	v_mov_b32_e32 v5, s29
	;; [unrolled: 1-line block ×5, first 2 shown]
.LBB110_3:                              ; =>This Inner Loop Header: Depth=1
	v_add_co_u32_e32 v12, vcc, s30, v2
	v_addc_co_u32_e32 v13, vcc, v3, v4, vcc
	v_add_co_u32_e32 v14, vcc, s28, v2
	v_addc_co_u32_e32 v15, vcc, v3, v5, vcc
	v_add_co_u32_e32 v16, vcc, s34, v2
	global_load_dwordx2 v[10:11], v[2:3], off
	v_addc_co_u32_e32 v17, vcc, v3, v6, vcc
	global_load_dwordx2 v[18:19], v[12:13], off
	global_load_dwordx2 v[20:21], v[14:15], off
	;; [unrolled: 1-line block ×3, first 2 shown]
	s_add_i32 s35, s35, 4
	v_add_co_u32_e32 v2, vcc, s26, v2
	v_addc_co_u32_e32 v3, vcc, v3, v7, vcc
	s_cmp_eq_u32 s17, s35
	s_waitcnt vmcnt(2)
	ds_write2st64_b64 v8, v[10:11], v[18:19] offset1:1
	s_waitcnt vmcnt(0)
	ds_write2st64_b64 v8, v[20:21], v[22:23] offset0:2 offset1:3
	v_add_u32_e32 v8, 0x800, v8
	s_cbranch_scc0 .LBB110_3
.LBB110_4:
	s_and_b32 s26, s33, 3
	s_cmp_eq_u32 s26, 0
	s_cbranch_scc1 .LBB110_7
; %bb.5:
	s_mul_i32 s27, s25, s17
	s_mul_hi_u32 s28, s24, s17
	s_add_i32 s29, s28, s27
	s_mul_i32 s28, s24, s17
	s_lshl_b64 s[8:9], s[8:9], 3
	s_lshl_b64 s[28:29], s[28:29], 3
	v_lshl_or_b32 v4, s17, 9, v1
	s_add_u32 s17, s8, s28
	s_addc_u32 s27, s9, s29
	s_lshl_b64 s[8:9], s[22:23], 3
	s_add_u32 s8, s17, s8
	s_addc_u32 s9, s27, s9
	s_add_u32 s2, s2, s8
	s_addc_u32 s3, s3, s9
	v_mov_b32_e32 v3, s3
	v_add_co_u32_e32 v2, vcc, s2, v1
	s_lshl_b64 s[2:3], s[24:25], 3
	v_addc_co_u32_e32 v3, vcc, 0, v3, vcc
	v_mov_b32_e32 v1, s3
.LBB110_6:                              ; =>This Inner Loop Header: Depth=1
	global_load_dwordx2 v[6:7], v[2:3], off
	v_add_co_u32_e32 v2, vcc, s2, v2
	s_add_i32 s26, s26, -1
	v_addc_co_u32_e32 v3, vcc, v3, v1, vcc
	s_cmp_lg_u32 s26, 0
	s_waitcnt vmcnt(0)
	ds_write_b64 v4, v[6:7]
	v_add_u32_e32 v4, 0x200, v4
	s_cbranch_scc1 .LBB110_6
.LBB110_7:
	v_mul_u32_u24_e32 v1, 0x41, v0
	v_mov_b32_e32 v2, 0
	s_cmpk_lg_i32 s13, 0x84
	v_lshlrev_b32_e32 v1, 3, v1
	v_mov_b32_e32 v3, 0x3ff00000
	s_cbranch_scc0 .LBB110_9
; %bb.8:
	ds_read_b64 v[2:3], v1
	s_waitcnt lgkmcnt(0)
	v_div_scale_f64 v[4:5], s[2:3], v[2:3], v[2:3], 1.0
	v_rcp_f64_e32 v[6:7], v[4:5]
	v_div_scale_f64 v[8:9], vcc, 1.0, v[2:3], 1.0
	v_fma_f64 v[10:11], -v[4:5], v[6:7], 1.0
	v_fmac_f64_e32 v[6:7], v[6:7], v[10:11]
	v_fma_f64 v[10:11], -v[4:5], v[6:7], 1.0
	v_fmac_f64_e32 v[6:7], v[6:7], v[10:11]
	v_mul_f64 v[10:11], v[8:9], v[6:7]
	v_fma_f64 v[4:5], -v[4:5], v[10:11], v[8:9]
	v_div_fmas_f64 v[4:5], v[4:5], v[6:7], v[10:11]
	v_div_fixup_f64 v[2:3], v[4:5], v[2:3], 1.0
.LBB110_9:
	ds_write_b64 v1, v[2:3]
.LBB110_10:
	s_or_b64 exec, exec, s[20:21]
	s_load_dword s2, s[4:5], 0x68
	s_lshl_b32 s8, s6, 6
	s_sub_i32 s3, s15, s8
	s_waitcnt lgkmcnt(0)
	; wave barrier
	s_waitcnt lgkmcnt(0)
	s_add_i32 s2, s2, -1
	s_cmp_ge_u32 s6, s2
	s_cselect_b32 s2, s3, 64
	v_cmp_gt_i32_e32 vcc, s2, v0
	s_and_saveexec_b64 s[2:3], vcc
	s_cbranch_execz .LBB110_79
; %bb.11:
	s_load_dwordx2 s[2:3], s[4:5], 0x58
	s_load_dword s6, s[4:5], 0x50
	v_add_u32_e32 v0, s8, v0
	s_waitcnt lgkmcnt(0)
	s_mul_i32 s3, s7, s3
	s_mul_hi_u32 s4, s7, s2
	s_mul_i32 s2, s7, s2
	s_add_i32 s3, s4, s3
	s_lshl_b64 s[2:3], s[2:3], 3
	s_add_u32 s7, s10, s2
	s_addc_u32 s9, s11, s3
	s_lshl_b64 s[4:5], s[18:19], 3
	s_add_u32 s13, s7, s4
	v_mad_i64_i32 v[0:1], s[6:7], s6, v0, 0
	s_addc_u32 s9, s9, s5
	v_lshlrev_b64 v[56:57], 3, v[0:1]
	v_mov_b32_e32 v0, s9
	v_add_co_u32_e32 v98, vcc, s13, v56
	v_addc_co_u32_e32 v99, vcc, v0, v57, vcc
	s_cmpk_eq_i32 s12, 0x6f
	s_mov_b64 s[6:7], -1
	s_cbranch_scc1 .LBB110_45
; %bb.12:
	s_cmp_gt_i32 s14, 31
	s_mov_b32 s8, s16
	s_cbranch_scc0 .LBB110_19
; %bb.13:
	s_mul_i32 s6, s33, 0x208
	s_ashr_i32 s17, s16, 31
	s_add_i32 s9, s6, 0xffffbff8
	s_lshl_b64 s[6:7], s[16:17], 3
	s_add_u32 s6, s10, s6
	s_addc_u32 s7, s11, s7
	s_add_u32 s6, s6, s4
	s_addc_u32 s7, s7, s5
	;; [unrolled: 2-line block ×3, first 2 shown]
	v_mov_b32_e32 v0, s7
	v_add_co_u32_e32 v60, vcc, s6, v56
	v_pk_mov_b32 v[140:141], v[56:57], v[56:57] op_sel:[0,1]
	v_addc_co_u32_e32 v61, vcc, v0, v57, vcc
	s_mov_b32 s6, s16
.LBB110_14:                             ; =>This Loop Header: Depth=1
                                        ;     Child Loop BB110_15 Depth 2
	s_ashr_i32 s7, s6, 31
	s_lshl_b64 s[12:13], s[6:7], 3
	v_mov_b32_e32 v0, s13
	v_add_co_u32_e32 v62, vcc, s12, v98
	v_addc_co_u32_e32 v63, vcc, v99, v0, vcc
	global_load_dwordx4 v[0:3], v[62:63], off offset:-8
	global_load_dwordx4 v[4:7], v[62:63], off offset:-24
	;; [unrolled: 1-line block ×16, first 2 shown]
	v_pk_mov_b32 v[68:69], v[60:61], v[60:61] op_sel:[0,1]
	s_mov_b32 s7, s9
	s_cmp_le_i32 s16, s6
	s_mov_b32 s8, s16
	s_waitcnt vmcnt(15)
	v_mul_f64 v[2:3], v[2:3], s[0:1]
	v_mul_f64 v[0:1], v[0:1], s[0:1]
	s_waitcnt vmcnt(14)
	v_mul_f64 v[6:7], v[6:7], s[0:1]
	v_mul_f64 v[4:5], v[4:5], s[0:1]
	;; [unrolled: 3-line block ×16, first 2 shown]
	s_cbranch_scc1 .LBB110_16
.LBB110_15:                             ;   Parent Loop BB110_14 Depth=1
                                        ; =>  This Inner Loop Header: Depth=2
	global_load_dwordx2 v[94:95], v[68:69], off
	v_mov_b32_e32 v96, s7
	ds_read2st64_b64 v[70:73], v96 offset0:30 offset1:31
	ds_read2st64_b64 v[74:77], v96 offset0:28 offset1:29
	ds_read2st64_b64 v[78:81], v96 offset0:26 offset1:27
	ds_read2st64_b64 v[82:85], v96 offset0:24 offset1:25
	ds_read2st64_b64 v[86:89], v96 offset0:22 offset1:23
	ds_read2st64_b64 v[90:93], v96 offset0:20 offset1:21
	ds_read2st64_b64 v[100:103], v96 offset0:18 offset1:19
	ds_read2st64_b64 v[104:107], v96 offset0:16 offset1:17
	ds_read2st64_b64 v[108:111], v96 offset0:14 offset1:15
	ds_read2st64_b64 v[112:115], v96 offset0:12 offset1:13
	ds_read2st64_b64 v[116:119], v96 offset0:10 offset1:11
	ds_read2st64_b64 v[120:123], v96 offset0:8 offset1:9
	ds_read2st64_b64 v[124:127], v96 offset0:6 offset1:7
	ds_read2st64_b64 v[128:131], v96 offset0:4 offset1:5
	ds_read2st64_b64 v[132:135], v96 offset0:2 offset1:3
	ds_read2st64_b64 v[136:139], v96 offset1:1
	s_add_i32 s8, s8, -1
	s_add_i32 s7, s7, -8
	v_add_co_u32_e32 v68, vcc, -8, v68
	v_addc_co_u32_e32 v69, vcc, -1, v69, vcc
	s_cmp_gt_i32 s8, s6
	s_waitcnt vmcnt(0) lgkmcnt(14)
	v_fma_f64 v[2:3], -v[94:95], v[72:73], v[2:3]
	v_fma_f64 v[0:1], -v[94:95], v[70:71], v[0:1]
	;; [unrolled: 1-line block ×4, first 2 shown]
	s_waitcnt lgkmcnt(13)
	v_fma_f64 v[10:11], -v[94:95], v[80:81], v[10:11]
	v_fma_f64 v[8:9], -v[94:95], v[78:79], v[8:9]
	s_waitcnt lgkmcnt(12)
	v_fma_f64 v[14:15], -v[94:95], v[84:85], v[14:15]
	v_fma_f64 v[12:13], -v[94:95], v[82:83], v[12:13]
	s_waitcnt lgkmcnt(11)
	v_fma_f64 v[18:19], -v[94:95], v[88:89], v[18:19]
	v_fma_f64 v[16:17], -v[94:95], v[86:87], v[16:17]
	s_waitcnt lgkmcnt(10)
	v_fma_f64 v[22:23], -v[94:95], v[92:93], v[22:23]
	v_fma_f64 v[20:21], -v[94:95], v[90:91], v[20:21]
	s_waitcnt lgkmcnt(9)
	v_fma_f64 v[26:27], -v[94:95], v[102:103], v[26:27]
	v_fma_f64 v[24:25], -v[94:95], v[100:101], v[24:25]
	s_waitcnt lgkmcnt(8)
	v_fma_f64 v[30:31], -v[94:95], v[106:107], v[30:31]
	v_fma_f64 v[28:29], -v[94:95], v[104:105], v[28:29]
	s_waitcnt lgkmcnt(7)
	v_fma_f64 v[34:35], -v[94:95], v[110:111], v[34:35]
	v_fma_f64 v[32:33], -v[94:95], v[108:109], v[32:33]
	s_waitcnt lgkmcnt(6)
	v_fma_f64 v[38:39], -v[94:95], v[114:115], v[38:39]
	v_fma_f64 v[36:37], -v[94:95], v[112:113], v[36:37]
	s_waitcnt lgkmcnt(5)
	v_fma_f64 v[42:43], -v[94:95], v[118:119], v[42:43]
	v_fma_f64 v[40:41], -v[94:95], v[116:117], v[40:41]
	s_waitcnt lgkmcnt(4)
	v_fma_f64 v[46:47], -v[94:95], v[122:123], v[46:47]
	v_fma_f64 v[44:45], -v[94:95], v[120:121], v[44:45]
	s_waitcnt lgkmcnt(3)
	v_fma_f64 v[50:51], -v[94:95], v[126:127], v[50:51]
	v_fma_f64 v[48:49], -v[94:95], v[124:125], v[48:49]
	s_waitcnt lgkmcnt(2)
	v_fma_f64 v[54:55], -v[94:95], v[130:131], v[54:55]
	v_fma_f64 v[52:53], -v[94:95], v[128:129], v[52:53]
	s_waitcnt lgkmcnt(1)
	v_fma_f64 v[58:59], -v[94:95], v[134:135], v[58:59]
	v_fma_f64 v[56:57], -v[94:95], v[132:133], v[56:57]
	s_waitcnt lgkmcnt(0)
	v_fma_f64 v[66:67], -v[94:95], v[138:139], v[66:67]
	v_fma_f64 v[64:65], -v[94:95], v[136:137], v[64:65]
	s_cbranch_scc1 .LBB110_15
.LBB110_16:                             ;   in Loop: Header=BB110_14 Depth=1
	s_mul_i32 s7, s6, 0x208
	v_mov_b32_e32 v68, s7
	ds_read_b64 v[72:73], v68
	s_add_i32 s12, s7, 0xfffffdf8
	s_lshl_b32 s8, s6, 6
	v_mov_b32_e32 v68, s12
	ds_read2_b64 v[68:71], v68 offset1:1
	s_add_i32 s8, s8, s6
	s_lshl_b32 s8, s8, 3
	s_add_i32 s12, s8, 0xfffffc00
	s_waitcnt lgkmcnt(1)
	v_mul_f64 v[2:3], v[72:73], v[2:3]
	v_mov_b32_e32 v72, s12
	s_add_i32 s12, s7, 0xfffffbf0
	v_mov_b32_e32 v73, s12
	ds_read_b64 v[76:77], v72
	ds_read2_b64 v[72:75], v73 offset1:1
	s_waitcnt lgkmcnt(2)
	v_fma_f64 v[0:1], -v[2:3], v[70:71], v[0:1]
	s_add_i32 s12, s8, 0xfffff9f8
	v_mul_f64 v[0:1], v[68:69], v[0:1]
	v_mov_b32_e32 v68, s12
	ds_read2_b64 v[68:71], v68 offset1:1
	s_waitcnt lgkmcnt(2)
	v_fma_f64 v[6:7], -v[2:3], v[76:77], v[6:7]
	s_waitcnt lgkmcnt(1)
	v_fma_f64 v[6:7], -v[0:1], v[74:75], v[6:7]
	s_add_i32 s12, s7, 0xfffff9e8
	v_mul_f64 v[6:7], v[72:73], v[6:7]
	v_mov_b32_e32 v72, s12
	ds_read2_b64 v[72:75], v72 offset1:1
	s_waitcnt lgkmcnt(1)
	v_fma_f64 v[4:5], -v[2:3], v[70:71], v[4:5]
	s_add_i32 s12, s8, 0xfffff800
	v_fma_f64 v[4:5], -v[0:1], v[68:69], v[4:5]
	v_mov_b32_e32 v68, s12
	s_add_i32 s12, s8, 0xfffff7f0
	global_store_dwordx4 v[62:63], v[0:3], off offset:-8
	v_mov_b32_e32 v69, s12
	ds_read_b64 v[76:77], v68
	ds_read2_b64 v[68:71], v69 offset1:1
	s_add_i32 s12, s7, 0xfffff7e0
	s_waitcnt lgkmcnt(2)
	v_fma_f64 v[4:5], -v[6:7], v[74:75], v[4:5]
	v_mul_f64 v[4:5], v[72:73], v[4:5]
	s_waitcnt lgkmcnt(1)
	v_fma_f64 v[10:11], -v[2:3], v[76:77], v[10:11]
	s_waitcnt lgkmcnt(0)
	v_fma_f64 v[10:11], -v[0:1], v[70:71], v[10:11]
	v_mov_b32_e32 v70, s12
	ds_read2_b64 v[70:73], v70 offset1:1
	s_add_i32 s12, s8, 0xfffff5f8
	v_fma_f64 v[10:11], -v[6:7], v[68:69], v[10:11]
	v_mov_b32_e32 v68, s12
	ds_read2_b64 v[74:77], v68 offset1:1
	s_add_i32 s12, s8, 0xfffff5e8
	s_waitcnt lgkmcnt(1)
	v_fma_f64 v[10:11], -v[4:5], v[72:73], v[10:11]
	v_mov_b32_e32 v68, s12
	v_mul_f64 v[10:11], v[70:71], v[10:11]
	s_add_i32 s12, s7, 0xfffff5d8
	ds_read2_b64 v[68:71], v68 offset1:1
	v_mov_b32_e32 v72, s12
	ds_read2_b64 v[78:81], v72 offset1:1
	s_waitcnt lgkmcnt(2)
	v_fma_f64 v[8:9], -v[2:3], v[76:77], v[8:9]
	v_fma_f64 v[8:9], -v[0:1], v[74:75], v[8:9]
	s_waitcnt lgkmcnt(1)
	v_fma_f64 v[8:9], -v[6:7], v[70:71], v[8:9]
	v_fma_f64 v[8:9], -v[4:5], v[68:69], v[8:9]
	s_waitcnt lgkmcnt(0)
	v_fma_f64 v[8:9], -v[10:11], v[80:81], v[8:9]
	s_add_i32 s12, s8, 0xfffff3f8
	v_mul_f64 v[8:9], v[78:79], v[8:9]
	v_mov_b32_e32 v68, s12
	s_add_i32 s12, s8, 0xfffff3e8
	global_store_dwordx4 v[62:63], v[4:7], off offset:-24
	global_store_dwordx4 v[62:63], v[8:11], off offset:-40
	v_mov_b32_e32 v72, s12
	ds_read2_b64 v[68:71], v68 offset1:1
	ds_read2_b64 v[72:75], v72 offset1:1
	s_add_i32 s12, s8, 0xfffff3d8
	v_mov_b32_e32 v76, s12
	ds_read2_b64 v[76:79], v76 offset1:1
	s_waitcnt lgkmcnt(2)
	v_fma_f64 v[14:15], -v[2:3], v[70:71], v[14:15]
	s_add_i32 s12, s7, 0xfffff3d0
	v_fma_f64 v[14:15], -v[0:1], v[68:69], v[14:15]
	v_mov_b32_e32 v68, s12
	ds_read_b64 v[68:69], v68
	s_add_i32 s12, s8, 0xfffff200
	s_waitcnt lgkmcnt(2)
	v_fma_f64 v[14:15], -v[6:7], v[74:75], v[14:15]
	v_mov_b32_e32 v70, s12
	v_fma_f64 v[14:15], -v[4:5], v[72:73], v[14:15]
	ds_read_b64 v[72:73], v70
	s_waitcnt lgkmcnt(2)
	v_fma_f64 v[14:15], -v[10:11], v[78:79], v[14:15]
	v_fma_f64 v[14:15], -v[8:9], v[76:77], v[14:15]
	s_add_i32 s12, s8, 0xfffff1f0
	s_waitcnt lgkmcnt(1)
	v_mul_f64 v[14:15], v[68:69], v[14:15]
	v_mov_b32_e32 v68, s12
	ds_read2_b64 v[68:71], v68 offset1:1
	s_add_i32 s12, s8, 0xfffff1e0
	s_waitcnt lgkmcnt(1)
	v_fma_f64 v[12:13], -v[2:3], v[72:73], v[12:13]
	v_mov_b32_e32 v72, s12
	ds_read2_b64 v[72:75], v72 offset1:1
	s_add_i32 s12, s8, 0xfffff1d0
	v_mov_b32_e32 v76, s12
	ds_read2_b64 v[76:79], v76 offset1:1
	s_waitcnt lgkmcnt(2)
	v_fma_f64 v[12:13], -v[0:1], v[70:71], v[12:13]
	v_fma_f64 v[12:13], -v[6:7], v[68:69], v[12:13]
	s_waitcnt lgkmcnt(1)
	v_fma_f64 v[12:13], -v[4:5], v[74:75], v[12:13]
	v_fma_f64 v[12:13], -v[10:11], v[72:73], v[12:13]
	s_add_i32 s12, s7, 0xfffff1c8
	s_waitcnt lgkmcnt(0)
	v_fma_f64 v[12:13], -v[8:9], v[78:79], v[12:13]
	v_mov_b32_e32 v68, s12
	s_add_i32 s12, s8, 0xffffeff8
	v_fma_f64 v[12:13], -v[14:15], v[76:77], v[12:13]
	ds_read_b64 v[76:77], v68
	v_mov_b32_e32 v68, s12
	ds_read2_b64 v[68:71], v68 offset1:1
	s_add_i32 s12, s8, 0xffffefe8
	v_mov_b32_e32 v72, s12
	ds_read2_b64 v[72:75], v72 offset1:1
	s_add_i32 s12, s8, 0xffffefd8
	s_waitcnt lgkmcnt(1)
	v_fma_f64 v[18:19], -v[2:3], v[70:71], v[18:19]
	v_fma_f64 v[18:19], -v[0:1], v[68:69], v[18:19]
	v_mov_b32_e32 v68, s12
	ds_read2_b64 v[68:71], v68 offset1:1
	s_waitcnt lgkmcnt(1)
	v_fma_f64 v[18:19], -v[6:7], v[74:75], v[18:19]
	s_add_i32 s12, s8, 0xffffefc8
	v_fma_f64 v[18:19], -v[4:5], v[72:73], v[18:19]
	v_mov_b32_e32 v72, s12
	ds_read2_b64 v[72:75], v72 offset1:1
	s_waitcnt lgkmcnt(1)
	v_fma_f64 v[18:19], -v[10:11], v[70:71], v[18:19]
	s_add_i32 s12, s7, 0xffffefc0
	v_fma_f64 v[18:19], -v[8:9], v[68:69], v[18:19]
	v_mov_b32_e32 v68, s12
	s_add_i32 s12, s8, 0xffffee00
	v_mul_f64 v[12:13], v[76:77], v[12:13]
	ds_read_b64 v[76:77], v68
	v_mov_b32_e32 v68, s12
	s_add_i32 s12, s8, 0xffffedf0
	global_store_dwordx4 v[62:63], v[12:15], off offset:-56
	v_mov_b32_e32 v69, s12
	ds_read_b64 v[78:79], v68
	ds_read2_b64 v[68:71], v69 offset1:1
	s_add_i32 s12, s8, 0xffffede0
	s_waitcnt lgkmcnt(3)
	v_fma_f64 v[18:19], -v[14:15], v[74:75], v[18:19]
	v_fma_f64 v[18:19], -v[12:13], v[72:73], v[18:19]
	s_waitcnt lgkmcnt(1)
	v_fma_f64 v[16:17], -v[2:3], v[78:79], v[16:17]
	s_waitcnt lgkmcnt(0)
	v_fma_f64 v[16:17], -v[0:1], v[70:71], v[16:17]
	v_fma_f64 v[16:17], -v[6:7], v[68:69], v[16:17]
	v_mov_b32_e32 v68, s12
	s_add_i32 s12, s8, 0xffffedd0
	v_mov_b32_e32 v72, s12
	ds_read2_b64 v[68:71], v68 offset1:1
	ds_read2_b64 v[72:75], v72 offset1:1
	s_add_i32 s12, s8, 0xffffedc0
	v_mul_f64 v[18:19], v[76:77], v[18:19]
	v_mov_b32_e32 v76, s12
	ds_read2_b64 v[76:79], v76 offset1:1
	s_waitcnt lgkmcnt(2)
	v_fma_f64 v[16:17], -v[4:5], v[70:71], v[16:17]
	v_fma_f64 v[16:17], -v[10:11], v[68:69], v[16:17]
	s_waitcnt lgkmcnt(1)
	v_fma_f64 v[16:17], -v[8:9], v[74:75], v[16:17]
	v_fma_f64 v[16:17], -v[14:15], v[72:73], v[16:17]
	s_add_i32 s12, s7, 0xffffedb8
	s_waitcnt lgkmcnt(0)
	v_fma_f64 v[16:17], -v[12:13], v[78:79], v[16:17]
	v_mov_b32_e32 v68, s12
	s_add_i32 s12, s8, 0xffffebf8
	v_fma_f64 v[16:17], -v[18:19], v[76:77], v[16:17]
	ds_read_b64 v[76:77], v68
	v_mov_b32_e32 v68, s12
	s_add_i32 s12, s8, 0xffffebe8
	ds_read2_b64 v[68:71], v68 offset1:1
	v_mov_b32_e32 v72, s12
	ds_read2_b64 v[72:75], v72 offset1:1
	s_add_i32 s12, s8, 0xffffebd8
	s_waitcnt lgkmcnt(2)
	v_mul_f64 v[16:17], v[76:77], v[16:17]
	s_waitcnt lgkmcnt(1)
	v_fma_f64 v[22:23], -v[2:3], v[70:71], v[22:23]
	v_fma_f64 v[22:23], -v[0:1], v[68:69], v[22:23]
	s_waitcnt lgkmcnt(0)
	v_fma_f64 v[22:23], -v[6:7], v[74:75], v[22:23]
	v_mov_b32_e32 v68, s12
	s_add_i32 s12, s8, 0xffffebc8
	global_store_dwordx4 v[62:63], v[16:19], off offset:-72
	v_fma_f64 v[22:23], -v[4:5], v[72:73], v[22:23]
	v_mov_b32_e32 v72, s12
	ds_read2_b64 v[68:71], v68 offset1:1
	ds_read2_b64 v[72:75], v72 offset1:1
	s_add_i32 s12, s8, 0xffffebb8
	v_mov_b32_e32 v76, s12
	ds_read2_b64 v[76:79], v76 offset1:1
	s_waitcnt lgkmcnt(2)
	v_fma_f64 v[22:23], -v[10:11], v[70:71], v[22:23]
	v_fma_f64 v[22:23], -v[8:9], v[68:69], v[22:23]
	s_add_i32 s12, s7, 0xffffebb0
	s_waitcnt lgkmcnt(1)
	v_fma_f64 v[22:23], -v[14:15], v[74:75], v[22:23]
	v_mov_b32_e32 v68, s12
	s_add_i32 s12, s8, 0xffffe9f8
	v_fma_f64 v[22:23], -v[12:13], v[72:73], v[22:23]
	ds_read_b64 v[72:73], v68
	v_mov_b32_e32 v68, s12
	ds_read2_b64 v[68:71], v68 offset1:1
	s_waitcnt lgkmcnt(2)
	v_fma_f64 v[22:23], -v[18:19], v[78:79], v[22:23]
	v_fma_f64 v[22:23], -v[16:17], v[76:77], v[22:23]
	s_add_i32 s12, s8, 0xffffe9e8
	s_waitcnt lgkmcnt(1)
	v_mul_f64 v[22:23], v[72:73], v[22:23]
	v_mov_b32_e32 v72, s12
	ds_read2_b64 v[72:75], v72 offset1:1
	s_waitcnt lgkmcnt(1)
	v_fma_f64 v[20:21], -v[2:3], v[70:71], v[20:21]
	s_add_i32 s12, s8, 0xffffe9d8
	v_fma_f64 v[20:21], -v[0:1], v[68:69], v[20:21]
	v_mov_b32_e32 v68, s12
	ds_read2_b64 v[68:71], v68 offset1:1
	s_add_i32 s12, s8, 0xffffe9c8
	s_waitcnt lgkmcnt(1)
	v_fma_f64 v[20:21], -v[6:7], v[74:75], v[20:21]
	v_mov_b32_e32 v76, s12
	ds_read2_b64 v[76:79], v76 offset1:1
	v_fma_f64 v[20:21], -v[4:5], v[72:73], v[20:21]
	s_waitcnt lgkmcnt(1)
	v_fma_f64 v[20:21], -v[10:11], v[70:71], v[20:21]
	s_add_i32 s12, s8, 0xffffe9b8
	v_fma_f64 v[20:21], -v[8:9], v[68:69], v[20:21]
	v_mov_b32_e32 v68, s12
	ds_read2_b64 v[68:71], v68 offset1:1
	s_waitcnt lgkmcnt(1)
	v_fma_f64 v[20:21], -v[14:15], v[78:79], v[20:21]
	s_add_i32 s12, s7, 0xffffe9a8
	v_fma_f64 v[20:21], -v[12:13], v[76:77], v[20:21]
	v_mov_b32_e32 v72, s12
	ds_read2_b64 v[72:75], v72 offset1:1
	s_waitcnt lgkmcnt(1)
	v_fma_f64 v[20:21], -v[18:19], v[70:71], v[20:21]
	s_add_i32 s12, s8, 0xffffe800
	v_fma_f64 v[20:21], -v[16:17], v[68:69], v[20:21]
	v_mov_b32_e32 v68, s12
	s_add_i32 s12, s8, 0xffffe7f0
	v_mov_b32_e32 v69, s12
	ds_read_b64 v[76:77], v68
	ds_read2_b64 v[68:71], v69 offset1:1
	s_add_i32 s12, s8, 0xffffe7e0
	s_waitcnt lgkmcnt(2)
	v_fma_f64 v[20:21], -v[22:23], v[74:75], v[20:21]
	v_mul_f64 v[20:21], v[72:73], v[20:21]
	s_waitcnt lgkmcnt(1)
	v_fma_f64 v[26:27], -v[2:3], v[76:77], v[26:27]
	s_waitcnt lgkmcnt(0)
	v_fma_f64 v[26:27], -v[0:1], v[70:71], v[26:27]
	v_mov_b32_e32 v70, s12
	ds_read2_b64 v[70:73], v70 offset1:1
	s_add_i32 s12, s8, 0xffffe7d0
	v_fma_f64 v[26:27], -v[6:7], v[68:69], v[26:27]
	v_mov_b32_e32 v68, s12
	ds_read2_b64 v[74:77], v68 offset1:1
	s_add_i32 s12, s8, 0xffffe7c0
	s_waitcnt lgkmcnt(1)
	v_fma_f64 v[26:27], -v[4:5], v[72:73], v[26:27]
	v_mov_b32_e32 v68, s12
	v_fma_f64 v[26:27], -v[10:11], v[70:71], v[26:27]
	ds_read2_b64 v[68:71], v68 offset1:1
	s_add_i32 s12, s8, 0xffffe7b0
	s_waitcnt lgkmcnt(1)
	v_fma_f64 v[26:27], -v[8:9], v[76:77], v[26:27]
	v_mov_b32_e32 v72, s12
	ds_read2_b64 v[78:81], v72 offset1:1
	v_fma_f64 v[26:27], -v[14:15], v[74:75], v[26:27]
	s_waitcnt lgkmcnt(1)
	v_fma_f64 v[26:27], -v[12:13], v[70:71], v[26:27]
	s_add_i32 s12, s7, 0xffffe7a0
	v_fma_f64 v[26:27], -v[18:19], v[68:69], v[26:27]
	v_mov_b32_e32 v68, s12
	ds_read2_b64 v[68:71], v68 offset1:1
	s_waitcnt lgkmcnt(1)
	v_fma_f64 v[26:27], -v[16:17], v[80:81], v[26:27]
	s_add_i32 s12, s8, 0xffffe5f8
	v_fma_f64 v[26:27], -v[22:23], v[78:79], v[26:27]
	v_mov_b32_e32 v72, s12
	ds_read2_b64 v[72:75], v72 offset1:1
	s_waitcnt lgkmcnt(1)
	v_fma_f64 v[26:27], -v[20:21], v[70:71], v[26:27]
	s_add_i32 s12, s8, 0xffffe5e8
	v_mul_f64 v[26:27], v[68:69], v[26:27]
	v_mov_b32_e32 v68, s12
	ds_read2_b64 v[68:71], v68 offset1:1
	s_add_i32 s12, s8, 0xffffe5d8
	s_waitcnt lgkmcnt(1)
	v_fma_f64 v[24:25], -v[2:3], v[74:75], v[24:25]
	v_mov_b32_e32 v76, s12
	ds_read2_b64 v[76:79], v76 offset1:1
	v_fma_f64 v[24:25], -v[0:1], v[72:73], v[24:25]
	s_waitcnt lgkmcnt(1)
	v_fma_f64 v[24:25], -v[6:7], v[70:71], v[24:25]
	s_add_i32 s12, s8, 0xffffe5c8
	v_fma_f64 v[24:25], -v[4:5], v[68:69], v[24:25]
	v_mov_b32_e32 v68, s12
	ds_read2_b64 v[68:71], v68 offset1:1
	s_waitcnt lgkmcnt(1)
	v_fma_f64 v[24:25], -v[10:11], v[78:79], v[24:25]
	s_add_i32 s12, s8, 0xffffe5b8
	v_fma_f64 v[24:25], -v[8:9], v[76:77], v[24:25]
	v_mov_b32_e32 v72, s12
	ds_read2_b64 v[72:75], v72 offset1:1
	s_waitcnt lgkmcnt(1)
	v_fma_f64 v[24:25], -v[14:15], v[70:71], v[24:25]
	s_add_i32 s12, s8, 0xffffe5a8
	v_fma_f64 v[24:25], -v[12:13], v[68:69], v[24:25]
	v_mov_b32_e32 v68, s12
	ds_read2_b64 v[68:71], v68 offset1:1
	s_add_i32 s12, s7, 0xffffe598
	s_waitcnt lgkmcnt(1)
	v_fma_f64 v[24:25], -v[18:19], v[74:75], v[24:25]
	v_mov_b32_e32 v76, s12
	ds_read2_b64 v[76:79], v76 offset1:1
	v_fma_f64 v[24:25], -v[16:17], v[72:73], v[24:25]
	s_waitcnt lgkmcnt(1)
	v_fma_f64 v[24:25], -v[22:23], v[70:71], v[24:25]
	s_add_i32 s12, s8, 0xffffe400
	v_fma_f64 v[24:25], -v[20:21], v[68:69], v[24:25]
	v_mov_b32_e32 v68, s12
	ds_read_b64 v[72:73], v68
	s_add_i32 s12, s8, 0xffffe3f0
	v_mov_b32_e32 v68, s12
	ds_read2_b64 v[68:71], v68 offset1:1
	s_add_i32 s12, s8, 0xffffe3e0
	s_waitcnt lgkmcnt(1)
	v_fma_f64 v[30:31], -v[2:3], v[72:73], v[30:31]
	v_mov_b32_e32 v72, s12
	ds_read2_b64 v[72:75], v72 offset1:1
	v_fma_f64 v[24:25], -v[26:27], v[78:79], v[24:25]
	s_add_i32 s12, s8, 0xffffe3d0
	v_mul_f64 v[24:25], v[76:77], v[24:25]
	v_mov_b32_e32 v76, s12
	ds_read2_b64 v[76:79], v76 offset1:1
	s_waitcnt lgkmcnt(2)
	v_fma_f64 v[30:31], -v[0:1], v[70:71], v[30:31]
	s_add_i32 s12, s8, 0xffffe3c0
	v_fma_f64 v[30:31], -v[6:7], v[68:69], v[30:31]
	v_mov_b32_e32 v68, s12
	ds_read2_b64 v[68:71], v68 offset1:1
	s_waitcnt lgkmcnt(2)
	v_fma_f64 v[30:31], -v[4:5], v[74:75], v[30:31]
	v_fma_f64 v[30:31], -v[10:11], v[72:73], v[30:31]
	s_waitcnt lgkmcnt(1)
	v_fma_f64 v[30:31], -v[8:9], v[78:79], v[30:31]
	s_add_i32 s12, s8, 0xffffe3b0
	v_fma_f64 v[30:31], -v[14:15], v[76:77], v[30:31]
	v_mov_b32_e32 v72, s12
	ds_read2_b64 v[72:75], v72 offset1:1
	s_waitcnt lgkmcnt(1)
	v_fma_f64 v[30:31], -v[12:13], v[70:71], v[30:31]
	s_add_i32 s12, s8, 0xffffe3a0
	v_fma_f64 v[30:31], -v[18:19], v[68:69], v[30:31]
	v_mov_b32_e32 v68, s12
	ds_read2_b64 v[68:71], v68 offset1:1
	s_add_i32 s12, s7, 0xffffe390
	s_waitcnt lgkmcnt(1)
	v_fma_f64 v[30:31], -v[16:17], v[74:75], v[30:31]
	v_mov_b32_e32 v76, s12
	ds_read2_b64 v[76:79], v76 offset1:1
	v_fma_f64 v[30:31], -v[22:23], v[72:73], v[30:31]
	s_waitcnt lgkmcnt(1)
	v_fma_f64 v[30:31], -v[20:21], v[70:71], v[30:31]
	s_add_i32 s12, s8, 0xffffe1f8
	v_fma_f64 v[30:31], -v[26:27], v[68:69], v[30:31]
	v_mov_b32_e32 v68, s12
	ds_read2_b64 v[68:71], v68 offset1:1
	s_add_i32 s12, s8, 0xffffe1e8
	v_mov_b32_e32 v72, s12
	ds_read2_b64 v[72:75], v72 offset1:1
	s_add_i32 s12, s8, 0xffffe1d8
	s_waitcnt lgkmcnt(1)
	v_fma_f64 v[28:29], -v[2:3], v[70:71], v[28:29]
	v_fma_f64 v[28:29], -v[0:1], v[68:69], v[28:29]
	v_mov_b32_e32 v68, s12
	ds_read2_b64 v[68:71], v68 offset1:1
	v_fma_f64 v[30:31], -v[24:25], v[78:79], v[30:31]
	s_add_i32 s12, s8, 0xffffe1c8
	s_waitcnt lgkmcnt(1)
	v_fma_f64 v[28:29], -v[6:7], v[74:75], v[28:29]
	v_mul_f64 v[30:31], v[76:77], v[30:31]
	v_mov_b32_e32 v76, s12
	ds_read2_b64 v[76:79], v76 offset1:1
	v_fma_f64 v[28:29], -v[4:5], v[72:73], v[28:29]
	s_waitcnt lgkmcnt(1)
	v_fma_f64 v[28:29], -v[10:11], v[70:71], v[28:29]
	s_add_i32 s12, s8, 0xffffe1b8
	v_fma_f64 v[28:29], -v[8:9], v[68:69], v[28:29]
	v_mov_b32_e32 v68, s12
	ds_read2_b64 v[68:71], v68 offset1:1
	s_waitcnt lgkmcnt(1)
	v_fma_f64 v[28:29], -v[14:15], v[78:79], v[28:29]
	s_add_i32 s12, s8, 0xffffe1a8
	v_fma_f64 v[28:29], -v[12:13], v[76:77], v[28:29]
	v_mov_b32_e32 v72, s12
	ds_read2_b64 v[72:75], v72 offset1:1
	;; [unrolled: 6-line block ×3, first 2 shown]
	s_add_i32 s12, s7, 0xffffe188
	s_waitcnt lgkmcnt(1)
	v_fma_f64 v[28:29], -v[22:23], v[74:75], v[28:29]
	v_mov_b32_e32 v76, s12
	ds_read2_b64 v[76:79], v76 offset1:1
	v_fma_f64 v[28:29], -v[20:21], v[72:73], v[28:29]
	s_waitcnt lgkmcnt(1)
	v_fma_f64 v[28:29], -v[26:27], v[70:71], v[28:29]
	s_add_i32 s12, s8, 0xffffe000
	v_fma_f64 v[28:29], -v[24:25], v[68:69], v[28:29]
	v_mov_b32_e32 v68, s12
	ds_read_b64 v[72:73], v68
	s_add_i32 s12, s8, 0xffffdff0
	v_mov_b32_e32 v68, s12
	ds_read2_b64 v[68:71], v68 offset1:1
	s_add_i32 s12, s8, 0xffffdfe0
	s_waitcnt lgkmcnt(1)
	v_fma_f64 v[34:35], -v[2:3], v[72:73], v[34:35]
	v_mov_b32_e32 v72, s12
	ds_read2_b64 v[72:75], v72 offset1:1
	v_fma_f64 v[28:29], -v[30:31], v[78:79], v[28:29]
	s_add_i32 s12, s8, 0xffffdfd0
	v_mul_f64 v[28:29], v[76:77], v[28:29]
	v_mov_b32_e32 v76, s12
	ds_read2_b64 v[76:79], v76 offset1:1
	s_waitcnt lgkmcnt(2)
	v_fma_f64 v[34:35], -v[0:1], v[70:71], v[34:35]
	s_add_i32 s12, s8, 0xffffdfc0
	v_fma_f64 v[34:35], -v[6:7], v[68:69], v[34:35]
	v_mov_b32_e32 v68, s12
	ds_read2_b64 v[68:71], v68 offset1:1
	s_waitcnt lgkmcnt(2)
	v_fma_f64 v[34:35], -v[4:5], v[74:75], v[34:35]
	v_fma_f64 v[34:35], -v[10:11], v[72:73], v[34:35]
	s_waitcnt lgkmcnt(1)
	v_fma_f64 v[34:35], -v[8:9], v[78:79], v[34:35]
	s_add_i32 s12, s8, 0xffffdfb0
	v_fma_f64 v[34:35], -v[14:15], v[76:77], v[34:35]
	v_mov_b32_e32 v72, s12
	ds_read2_b64 v[72:75], v72 offset1:1
	s_waitcnt lgkmcnt(1)
	v_fma_f64 v[34:35], -v[12:13], v[70:71], v[34:35]
	s_add_i32 s12, s8, 0xffffdfa0
	v_fma_f64 v[34:35], -v[18:19], v[68:69], v[34:35]
	v_mov_b32_e32 v68, s12
	ds_read2_b64 v[68:71], v68 offset1:1
	s_add_i32 s12, s8, 0xffffdf90
	s_waitcnt lgkmcnt(1)
	v_fma_f64 v[34:35], -v[16:17], v[74:75], v[34:35]
	v_mov_b32_e32 v76, s12
	ds_read2_b64 v[76:79], v76 offset1:1
	v_fma_f64 v[34:35], -v[22:23], v[72:73], v[34:35]
	s_waitcnt lgkmcnt(1)
	v_fma_f64 v[34:35], -v[20:21], v[70:71], v[34:35]
	s_add_i32 s12, s7, 0xffffdf80
	v_fma_f64 v[34:35], -v[26:27], v[68:69], v[34:35]
	v_mov_b32_e32 v68, s12
	ds_read2_b64 v[68:71], v68 offset1:1
	s_waitcnt lgkmcnt(1)
	v_fma_f64 v[34:35], -v[24:25], v[78:79], v[34:35]
	s_add_i32 s12, s8, 0xffffddf8
	v_fma_f64 v[34:35], -v[30:31], v[76:77], v[34:35]
	v_mov_b32_e32 v72, s12
	ds_read2_b64 v[72:75], v72 offset1:1
	s_waitcnt lgkmcnt(1)
	v_fma_f64 v[34:35], -v[28:29], v[70:71], v[34:35]
	s_add_i32 s12, s8, 0xffffdde8
	v_mul_f64 v[34:35], v[68:69], v[34:35]
	v_mov_b32_e32 v68, s12
	ds_read2_b64 v[68:71], v68 offset1:1
	s_add_i32 s12, s8, 0xffffddd8
	s_waitcnt lgkmcnt(1)
	v_fma_f64 v[32:33], -v[2:3], v[74:75], v[32:33]
	v_mov_b32_e32 v76, s12
	ds_read2_b64 v[76:79], v76 offset1:1
	v_fma_f64 v[32:33], -v[0:1], v[72:73], v[32:33]
	s_waitcnt lgkmcnt(1)
	v_fma_f64 v[32:33], -v[6:7], v[70:71], v[32:33]
	s_add_i32 s12, s8, 0xffffddc8
	v_fma_f64 v[32:33], -v[4:5], v[68:69], v[32:33]
	v_mov_b32_e32 v68, s12
	ds_read2_b64 v[68:71], v68 offset1:1
	s_waitcnt lgkmcnt(1)
	v_fma_f64 v[32:33], -v[10:11], v[78:79], v[32:33]
	s_add_i32 s12, s8, 0xffffddb8
	v_fma_f64 v[32:33], -v[8:9], v[76:77], v[32:33]
	v_mov_b32_e32 v72, s12
	ds_read2_b64 v[72:75], v72 offset1:1
	;; [unrolled: 6-line block ×3, first 2 shown]
	s_add_i32 s12, s8, 0xffffdd98
	s_waitcnt lgkmcnt(1)
	v_fma_f64 v[32:33], -v[18:19], v[74:75], v[32:33]
	v_mov_b32_e32 v76, s12
	ds_read2_b64 v[76:79], v76 offset1:1
	v_fma_f64 v[32:33], -v[16:17], v[72:73], v[32:33]
	s_waitcnt lgkmcnt(1)
	v_fma_f64 v[32:33], -v[22:23], v[70:71], v[32:33]
	s_add_i32 s12, s8, 0xffffdd88
	v_fma_f64 v[32:33], -v[20:21], v[68:69], v[32:33]
	v_mov_b32_e32 v68, s12
	ds_read2_b64 v[68:71], v68 offset1:1
	s_waitcnt lgkmcnt(1)
	v_fma_f64 v[32:33], -v[26:27], v[78:79], v[32:33]
	s_add_i32 s12, s7, 0xffffdd78
	v_fma_f64 v[32:33], -v[24:25], v[76:77], v[32:33]
	v_mov_b32_e32 v72, s12
	ds_read2_b64 v[72:75], v72 offset1:1
	s_waitcnt lgkmcnt(1)
	v_fma_f64 v[32:33], -v[30:31], v[70:71], v[32:33]
	s_add_i32 s12, s8, 0xffffdc00
	v_fma_f64 v[32:33], -v[28:29], v[68:69], v[32:33]
	v_mov_b32_e32 v68, s12
	s_add_i32 s12, s8, 0xffffdbf0
	global_store_dwordx4 v[62:63], v[20:23], off offset:-88
	global_store_dwordx4 v[62:63], v[24:27], off offset:-104
	;; [unrolled: 1-line block ×3, first 2 shown]
	v_mov_b32_e32 v69, s12
	ds_read_b64 v[76:77], v68
	ds_read2_b64 v[68:71], v69 offset1:1
	s_add_i32 s12, s8, 0xffffdbe0
	s_waitcnt lgkmcnt(2)
	v_fma_f64 v[32:33], -v[34:35], v[74:75], v[32:33]
	v_mul_f64 v[32:33], v[72:73], v[32:33]
	s_waitcnt lgkmcnt(1)
	v_fma_f64 v[38:39], -v[2:3], v[76:77], v[38:39]
	s_waitcnt lgkmcnt(0)
	v_fma_f64 v[38:39], -v[0:1], v[70:71], v[38:39]
	v_mov_b32_e32 v70, s12
	ds_read2_b64 v[70:73], v70 offset1:1
	s_add_i32 s12, s8, 0xffffdbd0
	v_fma_f64 v[38:39], -v[6:7], v[68:69], v[38:39]
	v_mov_b32_e32 v68, s12
	ds_read2_b64 v[74:77], v68 offset1:1
	s_add_i32 s12, s8, 0xffffdbc0
	s_waitcnt lgkmcnt(1)
	v_fma_f64 v[38:39], -v[4:5], v[72:73], v[38:39]
	v_mov_b32_e32 v68, s12
	v_fma_f64 v[38:39], -v[10:11], v[70:71], v[38:39]
	ds_read2_b64 v[68:71], v68 offset1:1
	s_add_i32 s12, s8, 0xffffdbb0
	s_waitcnt lgkmcnt(1)
	v_fma_f64 v[38:39], -v[8:9], v[76:77], v[38:39]
	v_mov_b32_e32 v72, s12
	ds_read2_b64 v[78:81], v72 offset1:1
	v_fma_f64 v[38:39], -v[14:15], v[74:75], v[38:39]
	s_waitcnt lgkmcnt(1)
	v_fma_f64 v[38:39], -v[12:13], v[70:71], v[38:39]
	s_add_i32 s12, s8, 0xffffdba0
	v_fma_f64 v[38:39], -v[18:19], v[68:69], v[38:39]
	v_mov_b32_e32 v68, s12
	ds_read2_b64 v[68:71], v68 offset1:1
	s_waitcnt lgkmcnt(1)
	v_fma_f64 v[38:39], -v[16:17], v[80:81], v[38:39]
	s_add_i32 s12, s8, 0xffffdb90
	v_fma_f64 v[38:39], -v[22:23], v[78:79], v[38:39]
	v_mov_b32_e32 v72, s12
	ds_read2_b64 v[72:75], v72 offset1:1
	;; [unrolled: 6-line block ×3, first 2 shown]
	s_add_i32 s12, s7, 0xffffdb70
	s_waitcnt lgkmcnt(1)
	v_fma_f64 v[38:39], -v[24:25], v[74:75], v[38:39]
	v_mov_b32_e32 v76, s12
	ds_read2_b64 v[76:79], v76 offset1:1
	v_fma_f64 v[38:39], -v[30:31], v[72:73], v[38:39]
	s_waitcnt lgkmcnt(1)
	v_fma_f64 v[38:39], -v[28:29], v[70:71], v[38:39]
	s_add_i32 s12, s8, 0xffffd9f8
	v_fma_f64 v[38:39], -v[34:35], v[68:69], v[38:39]
	v_mov_b32_e32 v68, s12
	ds_read2_b64 v[68:71], v68 offset1:1
	s_add_i32 s12, s8, 0xffffd9e8
	v_mov_b32_e32 v72, s12
	ds_read2_b64 v[72:75], v72 offset1:1
	s_add_i32 s12, s8, 0xffffd9d8
	s_waitcnt lgkmcnt(1)
	v_fma_f64 v[36:37], -v[2:3], v[70:71], v[36:37]
	v_fma_f64 v[36:37], -v[0:1], v[68:69], v[36:37]
	v_mov_b32_e32 v68, s12
	ds_read2_b64 v[68:71], v68 offset1:1
	v_fma_f64 v[38:39], -v[32:33], v[78:79], v[38:39]
	s_add_i32 s12, s8, 0xffffd9c8
	s_waitcnt lgkmcnt(1)
	v_fma_f64 v[36:37], -v[6:7], v[74:75], v[36:37]
	v_mul_f64 v[38:39], v[76:77], v[38:39]
	v_mov_b32_e32 v76, s12
	ds_read2_b64 v[76:79], v76 offset1:1
	v_fma_f64 v[36:37], -v[4:5], v[72:73], v[36:37]
	s_waitcnt lgkmcnt(1)
	v_fma_f64 v[36:37], -v[10:11], v[70:71], v[36:37]
	s_add_i32 s12, s8, 0xffffd9b8
	v_fma_f64 v[36:37], -v[8:9], v[68:69], v[36:37]
	v_mov_b32_e32 v68, s12
	ds_read2_b64 v[68:71], v68 offset1:1
	s_waitcnt lgkmcnt(1)
	v_fma_f64 v[36:37], -v[14:15], v[78:79], v[36:37]
	s_add_i32 s12, s8, 0xffffd9a8
	v_fma_f64 v[36:37], -v[12:13], v[76:77], v[36:37]
	v_mov_b32_e32 v72, s12
	ds_read2_b64 v[72:75], v72 offset1:1
	;; [unrolled: 6-line block ×3, first 2 shown]
	s_add_i32 s12, s8, 0xffffd988
	s_waitcnt lgkmcnt(1)
	v_fma_f64 v[36:37], -v[22:23], v[74:75], v[36:37]
	v_mov_b32_e32 v76, s12
	ds_read2_b64 v[76:79], v76 offset1:1
	v_fma_f64 v[36:37], -v[20:21], v[72:73], v[36:37]
	s_waitcnt lgkmcnt(1)
	v_fma_f64 v[36:37], -v[26:27], v[70:71], v[36:37]
	s_add_i32 s12, s8, 0xffffd978
	v_fma_f64 v[36:37], -v[24:25], v[68:69], v[36:37]
	v_mov_b32_e32 v68, s12
	ds_read2_b64 v[68:71], v68 offset1:1
	s_waitcnt lgkmcnt(1)
	v_fma_f64 v[36:37], -v[30:31], v[78:79], v[36:37]
	s_add_i32 s12, s7, 0xffffd968
	v_fma_f64 v[36:37], -v[28:29], v[76:77], v[36:37]
	v_mov_b32_e32 v72, s12
	ds_read2_b64 v[72:75], v72 offset1:1
	s_waitcnt lgkmcnt(1)
	v_fma_f64 v[36:37], -v[34:35], v[70:71], v[36:37]
	s_add_i32 s12, s8, 0xffffd800
	v_fma_f64 v[36:37], -v[32:33], v[68:69], v[36:37]
	v_mov_b32_e32 v68, s12
	s_add_i32 s12, s8, 0xffffd7f0
	global_store_dwordx4 v[62:63], v[32:35], off offset:-136
	v_mov_b32_e32 v69, s12
	ds_read_b64 v[76:77], v68
	ds_read2_b64 v[68:71], v69 offset1:1
	s_add_i32 s12, s8, 0xffffd7e0
	s_waitcnt lgkmcnt(2)
	v_fma_f64 v[36:37], -v[38:39], v[74:75], v[36:37]
	v_mul_f64 v[36:37], v[72:73], v[36:37]
	s_waitcnt lgkmcnt(1)
	v_fma_f64 v[42:43], -v[2:3], v[76:77], v[42:43]
	s_waitcnt lgkmcnt(0)
	v_fma_f64 v[42:43], -v[0:1], v[70:71], v[42:43]
	v_mov_b32_e32 v70, s12
	ds_read2_b64 v[70:73], v70 offset1:1
	s_add_i32 s12, s8, 0xffffd7d0
	v_fma_f64 v[42:43], -v[6:7], v[68:69], v[42:43]
	v_mov_b32_e32 v68, s12
	ds_read2_b64 v[74:77], v68 offset1:1
	s_add_i32 s12, s8, 0xffffd7c0
	s_waitcnt lgkmcnt(1)
	v_fma_f64 v[42:43], -v[4:5], v[72:73], v[42:43]
	v_mov_b32_e32 v68, s12
	v_fma_f64 v[42:43], -v[10:11], v[70:71], v[42:43]
	ds_read2_b64 v[68:71], v68 offset1:1
	s_add_i32 s12, s8, 0xffffd7b0
	s_waitcnt lgkmcnt(1)
	v_fma_f64 v[42:43], -v[8:9], v[76:77], v[42:43]
	v_mov_b32_e32 v72, s12
	ds_read2_b64 v[78:81], v72 offset1:1
	v_fma_f64 v[42:43], -v[14:15], v[74:75], v[42:43]
	s_waitcnt lgkmcnt(1)
	v_fma_f64 v[42:43], -v[12:13], v[70:71], v[42:43]
	s_add_i32 s12, s8, 0xffffd7a0
	v_fma_f64 v[42:43], -v[18:19], v[68:69], v[42:43]
	v_mov_b32_e32 v68, s12
	ds_read2_b64 v[68:71], v68 offset1:1
	s_waitcnt lgkmcnt(1)
	v_fma_f64 v[42:43], -v[16:17], v[80:81], v[42:43]
	s_add_i32 s12, s8, 0xffffd790
	v_fma_f64 v[42:43], -v[22:23], v[78:79], v[42:43]
	v_mov_b32_e32 v72, s12
	ds_read2_b64 v[72:75], v72 offset1:1
	;; [unrolled: 6-line block ×3, first 2 shown]
	s_add_i32 s12, s8, 0xffffd770
	s_waitcnt lgkmcnt(1)
	v_fma_f64 v[42:43], -v[24:25], v[74:75], v[42:43]
	v_mov_b32_e32 v76, s12
	ds_read2_b64 v[76:79], v76 offset1:1
	v_fma_f64 v[42:43], -v[30:31], v[72:73], v[42:43]
	s_waitcnt lgkmcnt(1)
	v_fma_f64 v[42:43], -v[28:29], v[70:71], v[42:43]
	s_add_i32 s12, s7, 0xffffd760
	v_fma_f64 v[42:43], -v[34:35], v[68:69], v[42:43]
	v_mov_b32_e32 v68, s12
	ds_read2_b64 v[68:71], v68 offset1:1
	s_waitcnt lgkmcnt(1)
	v_fma_f64 v[42:43], -v[32:33], v[78:79], v[42:43]
	s_add_i32 s12, s8, 0xffffd5f8
	v_fma_f64 v[42:43], -v[38:39], v[76:77], v[42:43]
	v_mov_b32_e32 v72, s12
	ds_read2_b64 v[72:75], v72 offset1:1
	s_waitcnt lgkmcnt(1)
	v_fma_f64 v[42:43], -v[36:37], v[70:71], v[42:43]
	s_add_i32 s12, s8, 0xffffd5e8
	v_mul_f64 v[42:43], v[68:69], v[42:43]
	v_mov_b32_e32 v68, s12
	ds_read2_b64 v[68:71], v68 offset1:1
	s_add_i32 s12, s8, 0xffffd5d8
	s_waitcnt lgkmcnt(1)
	v_fma_f64 v[40:41], -v[2:3], v[74:75], v[40:41]
	v_mov_b32_e32 v76, s12
	ds_read2_b64 v[76:79], v76 offset1:1
	v_fma_f64 v[40:41], -v[0:1], v[72:73], v[40:41]
	s_waitcnt lgkmcnt(1)
	v_fma_f64 v[40:41], -v[6:7], v[70:71], v[40:41]
	s_add_i32 s12, s8, 0xffffd5c8
	v_fma_f64 v[40:41], -v[4:5], v[68:69], v[40:41]
	v_mov_b32_e32 v68, s12
	ds_read2_b64 v[68:71], v68 offset1:1
	s_waitcnt lgkmcnt(1)
	v_fma_f64 v[40:41], -v[10:11], v[78:79], v[40:41]
	s_add_i32 s12, s8, 0xffffd5b8
	v_fma_f64 v[40:41], -v[8:9], v[76:77], v[40:41]
	v_mov_b32_e32 v72, s12
	ds_read2_b64 v[72:75], v72 offset1:1
	;; [unrolled: 6-line block ×3, first 2 shown]
	s_add_i32 s12, s8, 0xffffd598
	s_waitcnt lgkmcnt(1)
	v_fma_f64 v[40:41], -v[18:19], v[74:75], v[40:41]
	v_mov_b32_e32 v76, s12
	ds_read2_b64 v[76:79], v76 offset1:1
	v_fma_f64 v[40:41], -v[16:17], v[72:73], v[40:41]
	s_waitcnt lgkmcnt(1)
	v_fma_f64 v[40:41], -v[22:23], v[70:71], v[40:41]
	s_add_i32 s12, s8, 0xffffd588
	v_fma_f64 v[40:41], -v[20:21], v[68:69], v[40:41]
	v_mov_b32_e32 v68, s12
	ds_read2_b64 v[68:71], v68 offset1:1
	s_waitcnt lgkmcnt(1)
	v_fma_f64 v[40:41], -v[26:27], v[78:79], v[40:41]
	s_add_i32 s12, s8, 0xffffd578
	v_fma_f64 v[40:41], -v[24:25], v[76:77], v[40:41]
	v_mov_b32_e32 v72, s12
	ds_read2_b64 v[72:75], v72 offset1:1
	;; [unrolled: 6-line block ×3, first 2 shown]
	s_add_i32 s12, s7, 0xffffd558
	s_waitcnt lgkmcnt(1)
	v_fma_f64 v[40:41], -v[34:35], v[74:75], v[40:41]
	v_mov_b32_e32 v76, s12
	ds_read2_b64 v[76:79], v76 offset1:1
	v_fma_f64 v[40:41], -v[32:33], v[72:73], v[40:41]
	s_waitcnt lgkmcnt(1)
	v_fma_f64 v[40:41], -v[38:39], v[70:71], v[40:41]
	s_add_i32 s12, s8, 0xffffd400
	v_fma_f64 v[40:41], -v[36:37], v[68:69], v[40:41]
	v_mov_b32_e32 v68, s12
	ds_read_b64 v[72:73], v68
	s_add_i32 s12, s8, 0xffffd3f0
	v_mov_b32_e32 v68, s12
	ds_read2_b64 v[68:71], v68 offset1:1
	s_add_i32 s12, s8, 0xffffd3e0
	s_waitcnt lgkmcnt(1)
	v_fma_f64 v[46:47], -v[2:3], v[72:73], v[46:47]
	v_mov_b32_e32 v72, s12
	ds_read2_b64 v[72:75], v72 offset1:1
	v_fma_f64 v[40:41], -v[42:43], v[78:79], v[40:41]
	s_add_i32 s12, s8, 0xffffd3d0
	v_mul_f64 v[40:41], v[76:77], v[40:41]
	v_mov_b32_e32 v76, s12
	ds_read2_b64 v[76:79], v76 offset1:1
	s_waitcnt lgkmcnt(2)
	v_fma_f64 v[46:47], -v[0:1], v[70:71], v[46:47]
	s_add_i32 s12, s8, 0xffffd3c0
	v_fma_f64 v[46:47], -v[6:7], v[68:69], v[46:47]
	v_mov_b32_e32 v68, s12
	ds_read2_b64 v[68:71], v68 offset1:1
	s_waitcnt lgkmcnt(2)
	v_fma_f64 v[46:47], -v[4:5], v[74:75], v[46:47]
	v_fma_f64 v[46:47], -v[10:11], v[72:73], v[46:47]
	s_waitcnt lgkmcnt(1)
	v_fma_f64 v[46:47], -v[8:9], v[78:79], v[46:47]
	s_add_i32 s12, s8, 0xffffd3b0
	v_fma_f64 v[46:47], -v[14:15], v[76:77], v[46:47]
	v_mov_b32_e32 v72, s12
	ds_read2_b64 v[72:75], v72 offset1:1
	s_waitcnt lgkmcnt(1)
	v_fma_f64 v[46:47], -v[12:13], v[70:71], v[46:47]
	s_add_i32 s12, s8, 0xffffd3a0
	v_fma_f64 v[46:47], -v[18:19], v[68:69], v[46:47]
	v_mov_b32_e32 v68, s12
	ds_read2_b64 v[68:71], v68 offset1:1
	s_add_i32 s12, s8, 0xffffd390
	s_waitcnt lgkmcnt(1)
	v_fma_f64 v[46:47], -v[16:17], v[74:75], v[46:47]
	v_mov_b32_e32 v76, s12
	ds_read2_b64 v[76:79], v76 offset1:1
	v_fma_f64 v[46:47], -v[22:23], v[72:73], v[46:47]
	s_waitcnt lgkmcnt(1)
	v_fma_f64 v[46:47], -v[20:21], v[70:71], v[46:47]
	s_add_i32 s12, s8, 0xffffd380
	v_fma_f64 v[46:47], -v[26:27], v[68:69], v[46:47]
	v_mov_b32_e32 v68, s12
	ds_read2_b64 v[68:71], v68 offset1:1
	s_waitcnt lgkmcnt(1)
	v_fma_f64 v[46:47], -v[24:25], v[78:79], v[46:47]
	s_add_i32 s12, s8, 0xffffd370
	v_fma_f64 v[46:47], -v[30:31], v[76:77], v[46:47]
	v_mov_b32_e32 v72, s12
	ds_read2_b64 v[72:75], v72 offset1:1
	s_waitcnt lgkmcnt(1)
	v_fma_f64 v[46:47], -v[28:29], v[70:71], v[46:47]
	s_add_i32 s12, s8, 0xffffd360
	v_fma_f64 v[46:47], -v[34:35], v[68:69], v[46:47]
	v_mov_b32_e32 v68, s12
	ds_read2_b64 v[68:71], v68 offset1:1
	s_add_i32 s12, s7, 0xffffd350
	s_waitcnt lgkmcnt(1)
	v_fma_f64 v[46:47], -v[32:33], v[74:75], v[46:47]
	v_mov_b32_e32 v76, s12
	ds_read2_b64 v[76:79], v76 offset1:1
	v_fma_f64 v[46:47], -v[38:39], v[72:73], v[46:47]
	s_waitcnt lgkmcnt(1)
	v_fma_f64 v[46:47], -v[36:37], v[70:71], v[46:47]
	s_add_i32 s12, s8, 0xffffd1f8
	v_fma_f64 v[46:47], -v[42:43], v[68:69], v[46:47]
	v_mov_b32_e32 v68, s12
	ds_read2_b64 v[68:71], v68 offset1:1
	s_add_i32 s12, s8, 0xffffd1e8
	v_mov_b32_e32 v72, s12
	ds_read2_b64 v[72:75], v72 offset1:1
	s_add_i32 s12, s8, 0xffffd1d8
	s_waitcnt lgkmcnt(1)
	v_fma_f64 v[44:45], -v[2:3], v[70:71], v[44:45]
	v_fma_f64 v[44:45], -v[0:1], v[68:69], v[44:45]
	v_mov_b32_e32 v68, s12
	ds_read2_b64 v[68:71], v68 offset1:1
	v_fma_f64 v[46:47], -v[40:41], v[78:79], v[46:47]
	s_add_i32 s12, s8, 0xffffd1c8
	s_waitcnt lgkmcnt(1)
	v_fma_f64 v[44:45], -v[6:7], v[74:75], v[44:45]
	v_mul_f64 v[46:47], v[76:77], v[46:47]
	v_mov_b32_e32 v76, s12
	ds_read2_b64 v[76:79], v76 offset1:1
	v_fma_f64 v[44:45], -v[4:5], v[72:73], v[44:45]
	s_waitcnt lgkmcnt(1)
	v_fma_f64 v[44:45], -v[10:11], v[70:71], v[44:45]
	s_add_i32 s12, s8, 0xffffd1b8
	v_fma_f64 v[44:45], -v[8:9], v[68:69], v[44:45]
	v_mov_b32_e32 v68, s12
	ds_read2_b64 v[68:71], v68 offset1:1
	s_waitcnt lgkmcnt(1)
	v_fma_f64 v[44:45], -v[14:15], v[78:79], v[44:45]
	s_add_i32 s12, s8, 0xffffd1a8
	v_fma_f64 v[44:45], -v[12:13], v[76:77], v[44:45]
	v_mov_b32_e32 v72, s12
	ds_read2_b64 v[72:75], v72 offset1:1
	;; [unrolled: 6-line block ×3, first 2 shown]
	s_add_i32 s12, s8, 0xffffd188
	s_waitcnt lgkmcnt(1)
	v_fma_f64 v[44:45], -v[22:23], v[74:75], v[44:45]
	v_mov_b32_e32 v76, s12
	ds_read2_b64 v[76:79], v76 offset1:1
	v_fma_f64 v[44:45], -v[20:21], v[72:73], v[44:45]
	s_waitcnt lgkmcnt(1)
	v_fma_f64 v[44:45], -v[26:27], v[70:71], v[44:45]
	s_add_i32 s12, s8, 0xffffd178
	v_fma_f64 v[44:45], -v[24:25], v[68:69], v[44:45]
	v_mov_b32_e32 v68, s12
	ds_read2_b64 v[68:71], v68 offset1:1
	s_waitcnt lgkmcnt(1)
	v_fma_f64 v[44:45], -v[30:31], v[78:79], v[44:45]
	s_add_i32 s12, s8, 0xffffd168
	v_fma_f64 v[44:45], -v[28:29], v[76:77], v[44:45]
	v_mov_b32_e32 v72, s12
	ds_read2_b64 v[72:75], v72 offset1:1
	;; [unrolled: 6-line block ×3, first 2 shown]
	s_add_i32 s12, s7, 0xffffd148
	s_waitcnt lgkmcnt(1)
	v_fma_f64 v[44:45], -v[38:39], v[74:75], v[44:45]
	v_mov_b32_e32 v76, s12
	ds_read2_b64 v[76:79], v76 offset1:1
	v_fma_f64 v[44:45], -v[36:37], v[72:73], v[44:45]
	s_waitcnt lgkmcnt(1)
	v_fma_f64 v[44:45], -v[42:43], v[70:71], v[44:45]
	s_add_i32 s12, s8, 0xffffd000
	v_fma_f64 v[44:45], -v[40:41], v[68:69], v[44:45]
	v_mov_b32_e32 v68, s12
	ds_read_b64 v[72:73], v68
	s_add_i32 s12, s8, 0xffffcff0
	v_mov_b32_e32 v68, s12
	ds_read2_b64 v[68:71], v68 offset1:1
	s_add_i32 s12, s8, 0xffffcfe0
	s_waitcnt lgkmcnt(1)
	v_fma_f64 v[50:51], -v[2:3], v[72:73], v[50:51]
	v_mov_b32_e32 v72, s12
	ds_read2_b64 v[72:75], v72 offset1:1
	v_fma_f64 v[44:45], -v[46:47], v[78:79], v[44:45]
	s_add_i32 s12, s8, 0xffffcfd0
	v_mul_f64 v[44:45], v[76:77], v[44:45]
	v_mov_b32_e32 v76, s12
	ds_read2_b64 v[76:79], v76 offset1:1
	s_waitcnt lgkmcnt(2)
	v_fma_f64 v[50:51], -v[0:1], v[70:71], v[50:51]
	s_add_i32 s12, s8, 0xffffcfc0
	v_fma_f64 v[50:51], -v[6:7], v[68:69], v[50:51]
	v_mov_b32_e32 v68, s12
	ds_read2_b64 v[68:71], v68 offset1:1
	s_waitcnt lgkmcnt(2)
	v_fma_f64 v[50:51], -v[4:5], v[74:75], v[50:51]
	v_fma_f64 v[50:51], -v[10:11], v[72:73], v[50:51]
	s_waitcnt lgkmcnt(1)
	v_fma_f64 v[50:51], -v[8:9], v[78:79], v[50:51]
	s_add_i32 s12, s8, 0xffffcfb0
	v_fma_f64 v[50:51], -v[14:15], v[76:77], v[50:51]
	v_mov_b32_e32 v72, s12
	ds_read2_b64 v[72:75], v72 offset1:1
	s_waitcnt lgkmcnt(1)
	v_fma_f64 v[50:51], -v[12:13], v[70:71], v[50:51]
	s_add_i32 s12, s8, 0xffffcfa0
	v_fma_f64 v[50:51], -v[18:19], v[68:69], v[50:51]
	v_mov_b32_e32 v68, s12
	ds_read2_b64 v[68:71], v68 offset1:1
	s_add_i32 s12, s8, 0xffffcf90
	s_waitcnt lgkmcnt(1)
	v_fma_f64 v[50:51], -v[16:17], v[74:75], v[50:51]
	v_mov_b32_e32 v76, s12
	ds_read2_b64 v[76:79], v76 offset1:1
	v_fma_f64 v[50:51], -v[22:23], v[72:73], v[50:51]
	s_waitcnt lgkmcnt(1)
	v_fma_f64 v[50:51], -v[20:21], v[70:71], v[50:51]
	s_add_i32 s12, s8, 0xffffcf80
	v_fma_f64 v[50:51], -v[26:27], v[68:69], v[50:51]
	v_mov_b32_e32 v68, s12
	ds_read2_b64 v[68:71], v68 offset1:1
	s_waitcnt lgkmcnt(1)
	v_fma_f64 v[50:51], -v[24:25], v[78:79], v[50:51]
	s_add_i32 s12, s8, 0xffffcf70
	v_fma_f64 v[50:51], -v[30:31], v[76:77], v[50:51]
	v_mov_b32_e32 v72, s12
	ds_read2_b64 v[72:75], v72 offset1:1
	;; [unrolled: 6-line block ×3, first 2 shown]
	s_add_i32 s12, s8, 0xffffcf50
	s_waitcnt lgkmcnt(1)
	v_fma_f64 v[50:51], -v[32:33], v[74:75], v[50:51]
	v_mov_b32_e32 v76, s12
	ds_read2_b64 v[76:79], v76 offset1:1
	v_fma_f64 v[50:51], -v[38:39], v[72:73], v[50:51]
	s_waitcnt lgkmcnt(1)
	v_fma_f64 v[50:51], -v[36:37], v[70:71], v[50:51]
	s_add_i32 s12, s7, 0xffffcf40
	v_fma_f64 v[50:51], -v[42:43], v[68:69], v[50:51]
	v_mov_b32_e32 v68, s12
	ds_read2_b64 v[68:71], v68 offset1:1
	s_waitcnt lgkmcnt(1)
	v_fma_f64 v[50:51], -v[40:41], v[78:79], v[50:51]
	s_add_i32 s12, s8, 0xffffcdf8
	v_fma_f64 v[50:51], -v[46:47], v[76:77], v[50:51]
	v_mov_b32_e32 v72, s12
	ds_read2_b64 v[72:75], v72 offset1:1
	s_waitcnt lgkmcnt(1)
	v_fma_f64 v[50:51], -v[44:45], v[70:71], v[50:51]
	s_add_i32 s12, s8, 0xffffcde8
	v_mul_f64 v[50:51], v[68:69], v[50:51]
	v_mov_b32_e32 v68, s12
	ds_read2_b64 v[68:71], v68 offset1:1
	s_add_i32 s12, s8, 0xffffcdd8
	s_waitcnt lgkmcnt(1)
	v_fma_f64 v[48:49], -v[2:3], v[74:75], v[48:49]
	v_mov_b32_e32 v76, s12
	ds_read2_b64 v[76:79], v76 offset1:1
	v_fma_f64 v[48:49], -v[0:1], v[72:73], v[48:49]
	s_waitcnt lgkmcnt(1)
	v_fma_f64 v[48:49], -v[6:7], v[70:71], v[48:49]
	s_add_i32 s12, s8, 0xffffcdc8
	v_fma_f64 v[48:49], -v[4:5], v[68:69], v[48:49]
	v_mov_b32_e32 v68, s12
	ds_read2_b64 v[68:71], v68 offset1:1
	s_waitcnt lgkmcnt(1)
	v_fma_f64 v[48:49], -v[10:11], v[78:79], v[48:49]
	s_add_i32 s12, s8, 0xffffcdb8
	v_fma_f64 v[48:49], -v[8:9], v[76:77], v[48:49]
	v_mov_b32_e32 v72, s12
	ds_read2_b64 v[72:75], v72 offset1:1
	s_waitcnt lgkmcnt(1)
	v_fma_f64 v[48:49], -v[14:15], v[70:71], v[48:49]
	s_add_i32 s12, s8, 0xffffcda8
	v_fma_f64 v[48:49], -v[12:13], v[68:69], v[48:49]
	v_mov_b32_e32 v68, s12
	ds_read2_b64 v[68:71], v68 offset1:1
	s_add_i32 s12, s8, 0xffffcd98
	s_waitcnt lgkmcnt(1)
	v_fma_f64 v[48:49], -v[18:19], v[74:75], v[48:49]
	v_mov_b32_e32 v76, s12
	ds_read2_b64 v[76:79], v76 offset1:1
	v_fma_f64 v[48:49], -v[16:17], v[72:73], v[48:49]
	s_waitcnt lgkmcnt(1)
	v_fma_f64 v[48:49], -v[22:23], v[70:71], v[48:49]
	s_add_i32 s12, s8, 0xffffcd88
	v_fma_f64 v[48:49], -v[20:21], v[68:69], v[48:49]
	v_mov_b32_e32 v68, s12
	ds_read2_b64 v[68:71], v68 offset1:1
	s_waitcnt lgkmcnt(1)
	v_fma_f64 v[48:49], -v[26:27], v[78:79], v[48:49]
	s_add_i32 s12, s8, 0xffffcd78
	v_fma_f64 v[48:49], -v[24:25], v[76:77], v[48:49]
	v_mov_b32_e32 v72, s12
	ds_read2_b64 v[72:75], v72 offset1:1
	s_waitcnt lgkmcnt(1)
	v_fma_f64 v[48:49], -v[30:31], v[70:71], v[48:49]
	s_add_i32 s12, s8, 0xffffcd68
	v_fma_f64 v[48:49], -v[28:29], v[68:69], v[48:49]
	;; [unrolled: 24-line block ×3, first 2 shown]
	v_mov_b32_e32 v68, s12
	s_add_i32 s12, s8, 0xffffcbf0
	global_store_dwordx4 v[62:63], v[36:39], off offset:-152
	global_store_dwordx4 v[62:63], v[40:43], off offset:-168
	;; [unrolled: 1-line block ×3, first 2 shown]
	v_mov_b32_e32 v69, s12
	ds_read_b64 v[76:77], v68
	ds_read2_b64 v[68:71], v69 offset1:1
	s_add_i32 s12, s8, 0xffffcbe0
	s_waitcnt lgkmcnt(2)
	v_fma_f64 v[48:49], -v[50:51], v[74:75], v[48:49]
	v_mul_f64 v[48:49], v[72:73], v[48:49]
	s_waitcnt lgkmcnt(1)
	v_fma_f64 v[54:55], -v[2:3], v[76:77], v[54:55]
	s_waitcnt lgkmcnt(0)
	v_fma_f64 v[54:55], -v[0:1], v[70:71], v[54:55]
	v_mov_b32_e32 v70, s12
	ds_read2_b64 v[70:73], v70 offset1:1
	s_add_i32 s12, s8, 0xffffcbd0
	v_fma_f64 v[54:55], -v[6:7], v[68:69], v[54:55]
	v_mov_b32_e32 v68, s12
	ds_read2_b64 v[74:77], v68 offset1:1
	s_add_i32 s12, s8, 0xffffcbc0
	s_waitcnt lgkmcnt(1)
	v_fma_f64 v[54:55], -v[4:5], v[72:73], v[54:55]
	v_mov_b32_e32 v68, s12
	v_fma_f64 v[54:55], -v[10:11], v[70:71], v[54:55]
	ds_read2_b64 v[68:71], v68 offset1:1
	s_add_i32 s12, s8, 0xffffcbb0
	s_waitcnt lgkmcnt(1)
	v_fma_f64 v[54:55], -v[8:9], v[76:77], v[54:55]
	v_mov_b32_e32 v72, s12
	ds_read2_b64 v[78:81], v72 offset1:1
	v_fma_f64 v[54:55], -v[14:15], v[74:75], v[54:55]
	s_waitcnt lgkmcnt(1)
	v_fma_f64 v[54:55], -v[12:13], v[70:71], v[54:55]
	s_add_i32 s12, s8, 0xffffcba0
	v_fma_f64 v[54:55], -v[18:19], v[68:69], v[54:55]
	v_mov_b32_e32 v68, s12
	ds_read2_b64 v[68:71], v68 offset1:1
	s_waitcnt lgkmcnt(1)
	v_fma_f64 v[54:55], -v[16:17], v[80:81], v[54:55]
	s_add_i32 s12, s8, 0xffffcb90
	v_fma_f64 v[54:55], -v[22:23], v[78:79], v[54:55]
	v_mov_b32_e32 v72, s12
	ds_read2_b64 v[72:75], v72 offset1:1
	;; [unrolled: 6-line block ×3, first 2 shown]
	s_add_i32 s12, s8, 0xffffcb70
	s_waitcnt lgkmcnt(1)
	v_fma_f64 v[54:55], -v[24:25], v[74:75], v[54:55]
	v_mov_b32_e32 v76, s12
	ds_read2_b64 v[76:79], v76 offset1:1
	v_fma_f64 v[54:55], -v[30:31], v[72:73], v[54:55]
	s_waitcnt lgkmcnt(1)
	v_fma_f64 v[54:55], -v[28:29], v[70:71], v[54:55]
	s_add_i32 s12, s8, 0xffffcb60
	v_fma_f64 v[54:55], -v[34:35], v[68:69], v[54:55]
	v_mov_b32_e32 v68, s12
	ds_read2_b64 v[68:71], v68 offset1:1
	s_waitcnt lgkmcnt(1)
	v_fma_f64 v[54:55], -v[32:33], v[78:79], v[54:55]
	s_add_i32 s12, s8, 0xffffcb50
	v_fma_f64 v[54:55], -v[38:39], v[76:77], v[54:55]
	v_mov_b32_e32 v72, s12
	ds_read2_b64 v[72:75], v72 offset1:1
	;; [unrolled: 6-line block ×3, first 2 shown]
	s_add_i32 s12, s7, 0xffffcb30
	s_waitcnt lgkmcnt(1)
	v_fma_f64 v[54:55], -v[40:41], v[74:75], v[54:55]
	v_mov_b32_e32 v76, s12
	ds_read2_b64 v[76:79], v76 offset1:1
	v_fma_f64 v[54:55], -v[46:47], v[72:73], v[54:55]
	s_waitcnt lgkmcnt(1)
	v_fma_f64 v[54:55], -v[44:45], v[70:71], v[54:55]
	s_add_i32 s12, s8, 0xffffc9f8
	v_fma_f64 v[54:55], -v[50:51], v[68:69], v[54:55]
	v_mov_b32_e32 v68, s12
	ds_read2_b64 v[68:71], v68 offset1:1
	s_add_i32 s12, s8, 0xffffc9e8
	v_mov_b32_e32 v72, s12
	ds_read2_b64 v[72:75], v72 offset1:1
	s_add_i32 s12, s8, 0xffffc9d8
	s_waitcnt lgkmcnt(1)
	v_fma_f64 v[52:53], -v[2:3], v[70:71], v[52:53]
	v_fma_f64 v[52:53], -v[0:1], v[68:69], v[52:53]
	v_mov_b32_e32 v68, s12
	ds_read2_b64 v[68:71], v68 offset1:1
	v_fma_f64 v[54:55], -v[48:49], v[78:79], v[54:55]
	s_add_i32 s12, s8, 0xffffc9c8
	s_waitcnt lgkmcnt(1)
	v_fma_f64 v[52:53], -v[6:7], v[74:75], v[52:53]
	v_mul_f64 v[54:55], v[76:77], v[54:55]
	v_mov_b32_e32 v76, s12
	ds_read2_b64 v[76:79], v76 offset1:1
	v_fma_f64 v[52:53], -v[4:5], v[72:73], v[52:53]
	s_waitcnt lgkmcnt(1)
	v_fma_f64 v[52:53], -v[10:11], v[70:71], v[52:53]
	s_add_i32 s12, s8, 0xffffc9b8
	v_fma_f64 v[52:53], -v[8:9], v[68:69], v[52:53]
	v_mov_b32_e32 v68, s12
	ds_read2_b64 v[68:71], v68 offset1:1
	s_waitcnt lgkmcnt(1)
	v_fma_f64 v[52:53], -v[14:15], v[78:79], v[52:53]
	s_add_i32 s12, s8, 0xffffc9a8
	v_fma_f64 v[52:53], -v[12:13], v[76:77], v[52:53]
	v_mov_b32_e32 v72, s12
	ds_read2_b64 v[72:75], v72 offset1:1
	;; [unrolled: 6-line block ×3, first 2 shown]
	s_add_i32 s12, s8, 0xffffc988
	s_waitcnt lgkmcnt(1)
	v_fma_f64 v[52:53], -v[22:23], v[74:75], v[52:53]
	v_mov_b32_e32 v76, s12
	ds_read2_b64 v[76:79], v76 offset1:1
	v_fma_f64 v[52:53], -v[20:21], v[72:73], v[52:53]
	s_waitcnt lgkmcnt(1)
	v_fma_f64 v[52:53], -v[26:27], v[70:71], v[52:53]
	s_add_i32 s12, s8, 0xffffc978
	v_fma_f64 v[52:53], -v[24:25], v[68:69], v[52:53]
	v_mov_b32_e32 v68, s12
	ds_read2_b64 v[68:71], v68 offset1:1
	s_waitcnt lgkmcnt(1)
	v_fma_f64 v[52:53], -v[30:31], v[78:79], v[52:53]
	s_add_i32 s12, s8, 0xffffc968
	v_fma_f64 v[52:53], -v[28:29], v[76:77], v[52:53]
	v_mov_b32_e32 v72, s12
	ds_read2_b64 v[72:75], v72 offset1:1
	;; [unrolled: 6-line block ×3, first 2 shown]
	s_add_i32 s12, s8, 0xffffc948
	s_waitcnt lgkmcnt(1)
	v_fma_f64 v[52:53], -v[38:39], v[74:75], v[52:53]
	v_mov_b32_e32 v76, s12
	ds_read2_b64 v[76:79], v76 offset1:1
	v_fma_f64 v[52:53], -v[36:37], v[72:73], v[52:53]
	s_waitcnt lgkmcnt(1)
	v_fma_f64 v[52:53], -v[42:43], v[70:71], v[52:53]
	s_add_i32 s12, s8, 0xffffc938
	v_fma_f64 v[52:53], -v[40:41], v[68:69], v[52:53]
	v_mov_b32_e32 v68, s12
	ds_read2_b64 v[68:71], v68 offset1:1
	s_waitcnt lgkmcnt(1)
	v_fma_f64 v[52:53], -v[46:47], v[78:79], v[52:53]
	s_add_i32 s12, s7, 0xffffc928
	v_fma_f64 v[52:53], -v[44:45], v[76:77], v[52:53]
	v_mov_b32_e32 v72, s12
	ds_read2_b64 v[72:75], v72 offset1:1
	s_waitcnt lgkmcnt(1)
	v_fma_f64 v[52:53], -v[50:51], v[70:71], v[52:53]
	s_add_i32 s12, s8, 0xffffc800
	v_fma_f64 v[52:53], -v[48:49], v[68:69], v[52:53]
	v_mov_b32_e32 v68, s12
	s_add_i32 s12, s8, 0xffffc7f0
	global_store_dwordx4 v[62:63], v[48:51], off offset:-200
	v_mov_b32_e32 v69, s12
	ds_read_b64 v[76:77], v68
	ds_read2_b64 v[68:71], v69 offset1:1
	s_add_i32 s12, s8, 0xffffc7e0
	s_waitcnt lgkmcnt(2)
	v_fma_f64 v[52:53], -v[54:55], v[74:75], v[52:53]
	v_mul_f64 v[52:53], v[72:73], v[52:53]
	s_waitcnt lgkmcnt(1)
	v_fma_f64 v[58:59], -v[2:3], v[76:77], v[58:59]
	s_waitcnt lgkmcnt(0)
	v_fma_f64 v[58:59], -v[0:1], v[70:71], v[58:59]
	v_mov_b32_e32 v70, s12
	ds_read2_b64 v[70:73], v70 offset1:1
	s_add_i32 s12, s8, 0xffffc7d0
	v_fma_f64 v[58:59], -v[6:7], v[68:69], v[58:59]
	v_mov_b32_e32 v68, s12
	ds_read2_b64 v[74:77], v68 offset1:1
	s_add_i32 s12, s8, 0xffffc7c0
	s_waitcnt lgkmcnt(1)
	v_fma_f64 v[58:59], -v[4:5], v[72:73], v[58:59]
	v_mov_b32_e32 v68, s12
	v_fma_f64 v[58:59], -v[10:11], v[70:71], v[58:59]
	ds_read2_b64 v[68:71], v68 offset1:1
	s_add_i32 s12, s8, 0xffffc7b0
	s_waitcnt lgkmcnt(1)
	v_fma_f64 v[58:59], -v[8:9], v[76:77], v[58:59]
	v_mov_b32_e32 v72, s12
	ds_read2_b64 v[78:81], v72 offset1:1
	v_fma_f64 v[58:59], -v[14:15], v[74:75], v[58:59]
	s_waitcnt lgkmcnt(1)
	v_fma_f64 v[58:59], -v[12:13], v[70:71], v[58:59]
	s_add_i32 s12, s8, 0xffffc7a0
	v_fma_f64 v[58:59], -v[18:19], v[68:69], v[58:59]
	v_mov_b32_e32 v68, s12
	ds_read2_b64 v[68:71], v68 offset1:1
	s_waitcnt lgkmcnt(1)
	v_fma_f64 v[58:59], -v[16:17], v[80:81], v[58:59]
	s_add_i32 s12, s8, 0xffffc790
	v_fma_f64 v[58:59], -v[22:23], v[78:79], v[58:59]
	v_mov_b32_e32 v72, s12
	ds_read2_b64 v[72:75], v72 offset1:1
	;; [unrolled: 6-line block ×3, first 2 shown]
	s_add_i32 s12, s8, 0xffffc770
	s_waitcnt lgkmcnt(1)
	v_fma_f64 v[58:59], -v[24:25], v[74:75], v[58:59]
	v_mov_b32_e32 v76, s12
	ds_read2_b64 v[76:79], v76 offset1:1
	v_fma_f64 v[58:59], -v[30:31], v[72:73], v[58:59]
	s_waitcnt lgkmcnt(1)
	v_fma_f64 v[58:59], -v[28:29], v[70:71], v[58:59]
	s_add_i32 s12, s8, 0xffffc760
	v_fma_f64 v[58:59], -v[34:35], v[68:69], v[58:59]
	v_mov_b32_e32 v68, s12
	ds_read2_b64 v[68:71], v68 offset1:1
	s_waitcnt lgkmcnt(1)
	v_fma_f64 v[58:59], -v[32:33], v[78:79], v[58:59]
	s_add_i32 s12, s8, 0xffffc750
	v_fma_f64 v[58:59], -v[38:39], v[76:77], v[58:59]
	v_mov_b32_e32 v72, s12
	ds_read2_b64 v[72:75], v72 offset1:1
	;; [unrolled: 6-line block ×3, first 2 shown]
	s_add_i32 s12, s8, 0xffffc730
	s_waitcnt lgkmcnt(1)
	v_fma_f64 v[58:59], -v[40:41], v[74:75], v[58:59]
	v_mov_b32_e32 v76, s12
	ds_read2_b64 v[76:79], v76 offset1:1
	v_fma_f64 v[58:59], -v[46:47], v[72:73], v[58:59]
	s_waitcnt lgkmcnt(1)
	v_fma_f64 v[58:59], -v[44:45], v[70:71], v[58:59]
	s_add_i32 s12, s7, 0xffffc720
	v_fma_f64 v[58:59], -v[50:51], v[68:69], v[58:59]
	v_mov_b32_e32 v68, s12
	ds_read2_b64 v[68:71], v68 offset1:1
	s_waitcnt lgkmcnt(1)
	v_fma_f64 v[58:59], -v[48:49], v[78:79], v[58:59]
	s_add_i32 s12, s8, 0xffffc5f8
	v_fma_f64 v[58:59], -v[54:55], v[76:77], v[58:59]
	v_mov_b32_e32 v72, s12
	ds_read2_b64 v[72:75], v72 offset1:1
	s_waitcnt lgkmcnt(1)
	v_fma_f64 v[58:59], -v[52:53], v[70:71], v[58:59]
	s_add_i32 s12, s8, 0xffffc5e8
	v_mul_f64 v[58:59], v[68:69], v[58:59]
	v_mov_b32_e32 v68, s12
	ds_read2_b64 v[68:71], v68 offset1:1
	s_add_i32 s12, s8, 0xffffc5d8
	s_waitcnt lgkmcnt(1)
	v_fma_f64 v[56:57], -v[2:3], v[74:75], v[56:57]
	v_mov_b32_e32 v76, s12
	ds_read2_b64 v[76:79], v76 offset1:1
	v_fma_f64 v[56:57], -v[0:1], v[72:73], v[56:57]
	s_waitcnt lgkmcnt(1)
	v_fma_f64 v[56:57], -v[6:7], v[70:71], v[56:57]
	s_add_i32 s12, s8, 0xffffc5c8
	v_fma_f64 v[56:57], -v[4:5], v[68:69], v[56:57]
	v_mov_b32_e32 v68, s12
	ds_read2_b64 v[68:71], v68 offset1:1
	s_waitcnt lgkmcnt(1)
	v_fma_f64 v[56:57], -v[10:11], v[78:79], v[56:57]
	s_add_i32 s12, s8, 0xffffc5b8
	v_fma_f64 v[56:57], -v[8:9], v[76:77], v[56:57]
	v_mov_b32_e32 v72, s12
	ds_read2_b64 v[72:75], v72 offset1:1
	s_waitcnt lgkmcnt(1)
	v_fma_f64 v[56:57], -v[14:15], v[70:71], v[56:57]
	s_add_i32 s12, s8, 0xffffc5a8
	v_fma_f64 v[56:57], -v[12:13], v[68:69], v[56:57]
	v_mov_b32_e32 v68, s12
	ds_read2_b64 v[68:71], v68 offset1:1
	s_add_i32 s12, s8, 0xffffc598
	s_waitcnt lgkmcnt(1)
	v_fma_f64 v[56:57], -v[18:19], v[74:75], v[56:57]
	v_mov_b32_e32 v76, s12
	ds_read2_b64 v[76:79], v76 offset1:1
	v_fma_f64 v[56:57], -v[16:17], v[72:73], v[56:57]
	s_waitcnt lgkmcnt(1)
	v_fma_f64 v[56:57], -v[22:23], v[70:71], v[56:57]
	s_add_i32 s12, s8, 0xffffc588
	v_fma_f64 v[56:57], -v[20:21], v[68:69], v[56:57]
	v_mov_b32_e32 v68, s12
	ds_read2_b64 v[68:71], v68 offset1:1
	s_waitcnt lgkmcnt(1)
	v_fma_f64 v[56:57], -v[26:27], v[78:79], v[56:57]
	s_add_i32 s12, s8, 0xffffc578
	v_fma_f64 v[56:57], -v[24:25], v[76:77], v[56:57]
	v_mov_b32_e32 v72, s12
	ds_read2_b64 v[72:75], v72 offset1:1
	s_waitcnt lgkmcnt(1)
	v_fma_f64 v[56:57], -v[30:31], v[70:71], v[56:57]
	s_add_i32 s12, s8, 0xffffc568
	v_fma_f64 v[56:57], -v[28:29], v[68:69], v[56:57]
	;; [unrolled: 24-line block ×3, first 2 shown]
	v_mov_b32_e32 v68, s12
	ds_read2_b64 v[68:71], v68 offset1:1
	s_add_i32 s12, s7, 0xffffc518
	s_waitcnt lgkmcnt(1)
	v_fma_f64 v[56:57], -v[50:51], v[74:75], v[56:57]
	v_mov_b32_e32 v76, s12
	ds_read2_b64 v[76:79], v76 offset1:1
	v_fma_f64 v[56:57], -v[48:49], v[72:73], v[56:57]
	s_waitcnt lgkmcnt(1)
	v_fma_f64 v[56:57], -v[54:55], v[70:71], v[56:57]
	s_add_i32 s12, s8, 0xffffc400
	v_fma_f64 v[56:57], -v[52:53], v[68:69], v[56:57]
	v_mov_b32_e32 v68, s12
	ds_read_b64 v[72:73], v68
	s_add_i32 s12, s8, 0xffffc3f0
	v_mov_b32_e32 v68, s12
	ds_read2_b64 v[68:71], v68 offset1:1
	s_add_i32 s12, s8, 0xffffc3e0
	s_waitcnt lgkmcnt(1)
	v_fma_f64 v[66:67], -v[2:3], v[72:73], v[66:67]
	v_mov_b32_e32 v72, s12
	ds_read2_b64 v[72:75], v72 offset1:1
	v_fma_f64 v[56:57], -v[58:59], v[78:79], v[56:57]
	s_add_i32 s12, s8, 0xffffc3d0
	v_mul_f64 v[56:57], v[76:77], v[56:57]
	v_mov_b32_e32 v76, s12
	ds_read2_b64 v[76:79], v76 offset1:1
	s_waitcnt lgkmcnt(2)
	v_fma_f64 v[66:67], -v[0:1], v[70:71], v[66:67]
	v_fma_f64 v[66:67], -v[6:7], v[68:69], v[66:67]
	s_waitcnt lgkmcnt(1)
	v_fma_f64 v[66:67], -v[4:5], v[74:75], v[66:67]
	v_fma_f64 v[66:67], -v[10:11], v[72:73], v[66:67]
	s_add_i32 s12, s8, 0xffffc3c0
	s_waitcnt lgkmcnt(0)
	v_fma_f64 v[70:71], -v[8:9], v[78:79], v[66:67]
	v_mov_b32_e32 v66, s12
	ds_read2_b64 v[66:69], v66 offset1:1
	s_add_i32 s12, s8, 0xffffc3b0
	v_fma_f64 v[74:75], -v[14:15], v[76:77], v[70:71]
	v_mov_b32_e32 v70, s12
	ds_read2_b64 v[70:73], v70 offset1:1
	s_waitcnt lgkmcnt(1)
	v_fma_f64 v[68:69], -v[12:13], v[68:69], v[74:75]
	s_add_i32 s12, s8, 0xffffc3a0
	v_fma_f64 v[78:79], -v[18:19], v[66:67], v[68:69]
	v_mov_b32_e32 v66, s12
	s_add_i32 s12, s8, 0xffffc390
	ds_read2_b64 v[66:69], v66 offset1:1
	v_mov_b32_e32 v74, s12
	ds_read2_b64 v[74:77], v74 offset1:1
	s_waitcnt lgkmcnt(2)
	v_fma_f64 v[72:73], -v[16:17], v[72:73], v[78:79]
	v_fma_f64 v[70:71], -v[22:23], v[70:71], v[72:73]
	s_waitcnt lgkmcnt(1)
	v_fma_f64 v[68:69], -v[20:21], v[68:69], v[70:71]
	v_fma_f64 v[66:67], -v[26:27], v[66:67], v[68:69]
	s_add_i32 s12, s8, 0xffffc380
	s_waitcnt lgkmcnt(0)
	v_fma_f64 v[70:71], -v[24:25], v[76:77], v[66:67]
	v_mov_b32_e32 v66, s12
	ds_read2_b64 v[66:69], v66 offset1:1
	s_add_i32 s12, s8, 0xffffc370
	v_fma_f64 v[74:75], -v[30:31], v[74:75], v[70:71]
	v_mov_b32_e32 v70, s12
	ds_read2_b64 v[70:73], v70 offset1:1
	s_waitcnt lgkmcnt(1)
	v_fma_f64 v[68:69], -v[28:29], v[68:69], v[74:75]
	s_add_i32 s12, s8, 0xffffc360
	v_fma_f64 v[78:79], -v[34:35], v[66:67], v[68:69]
	v_mov_b32_e32 v66, s12
	s_add_i32 s12, s8, 0xffffc350
	ds_read2_b64 v[66:69], v66 offset1:1
	v_mov_b32_e32 v74, s12
	ds_read2_b64 v[74:77], v74 offset1:1
	s_waitcnt lgkmcnt(2)
	v_fma_f64 v[72:73], -v[32:33], v[72:73], v[78:79]
	v_fma_f64 v[70:71], -v[38:39], v[70:71], v[72:73]
	s_waitcnt lgkmcnt(1)
	v_fma_f64 v[68:69], -v[36:37], v[68:69], v[70:71]
	v_fma_f64 v[66:67], -v[42:43], v[66:67], v[68:69]
	s_add_i32 s12, s8, 0xffffc340
	s_waitcnt lgkmcnt(0)
	v_fma_f64 v[70:71], -v[40:41], v[76:77], v[66:67]
	v_mov_b32_e32 v66, s12
	ds_read2_b64 v[66:69], v66 offset1:1
	s_add_i32 s12, s8, 0xffffc330
	v_fma_f64 v[74:75], -v[46:47], v[74:75], v[70:71]
	v_mov_b32_e32 v70, s12
	ds_read2_b64 v[70:73], v70 offset1:1
	s_waitcnt lgkmcnt(1)
	v_fma_f64 v[68:69], -v[44:45], v[68:69], v[74:75]
	s_addk_i32 s8, 0xc320
	v_fma_f64 v[78:79], -v[50:51], v[66:67], v[68:69]
	v_mov_b32_e32 v66, s8
	s_add_i32 s8, s7, 0xffffc310
	ds_read2_b64 v[66:69], v66 offset1:1
	v_mov_b32_e32 v74, s8
	ds_read2_b64 v[74:77], v74 offset1:1
	s_sub_i32 s8, s6, 31
	s_waitcnt lgkmcnt(2)
	v_fma_f64 v[72:73], -v[48:49], v[72:73], v[78:79]
	s_lshl_b32 s8, s8, 6
	v_fma_f64 v[70:71], -v[54:55], v[70:71], v[72:73]
	s_add_i32 s8, s8, s6
	s_waitcnt lgkmcnt(1)
	v_fma_f64 v[68:69], -v[52:53], v[68:69], v[70:71]
	s_lshl_b32 s8, s8, 3
	v_fma_f64 v[66:67], -v[58:59], v[66:67], v[68:69]
	s_add_i32 s12, s8, -8
	s_waitcnt lgkmcnt(0)
	v_fma_f64 v[70:71], -v[56:57], v[76:77], v[66:67]
	v_mov_b32_e32 v66, s12
	ds_read2_b64 v[66:69], v66 offset1:1
	s_sub_i32 s12, s8, 24
	v_mov_b32_e32 v72, s12
	v_mul_f64 v[70:71], v[74:75], v[70:71]
	ds_read2_b64 v[72:75], v72 offset1:1
	s_waitcnt lgkmcnt(1)
	v_fma_f64 v[2:3], -v[2:3], v[68:69], v[64:65]
	s_sub_i32 s12, s8, 40
	v_fma_f64 v[68:69], -v[0:1], v[66:67], v[2:3]
	v_mov_b32_e32 v0, s12
	s_sub_i32 s12, s8, 56
	ds_read2_b64 v[0:3], v0 offset1:1
	v_mov_b32_e32 v64, s12
	ds_read2_b64 v[64:67], v64 offset1:1
	s_waitcnt lgkmcnt(2)
	v_fma_f64 v[6:7], -v[6:7], v[74:75], v[68:69]
	v_fma_f64 v[4:5], -v[4:5], v[72:73], v[6:7]
	s_waitcnt lgkmcnt(1)
	v_fma_f64 v[2:3], -v[10:11], v[2:3], v[4:5]
	v_fma_f64 v[0:1], -v[8:9], v[0:1], v[2:3]
	s_add_i32 s12, s8, 0xffffffb8
	s_waitcnt lgkmcnt(0)
	v_fma_f64 v[4:5], -v[14:15], v[66:67], v[0:1]
	v_mov_b32_e32 v0, s12
	ds_read2_b64 v[0:3], v0 offset1:1
	s_add_i32 s12, s8, 0xffffffa8
	v_fma_f64 v[8:9], -v[12:13], v[64:65], v[4:5]
	v_mov_b32_e32 v4, s12
	ds_read2_b64 v[4:7], v4 offset1:1
	s_waitcnt lgkmcnt(1)
	v_fma_f64 v[2:3], -v[18:19], v[2:3], v[8:9]
	s_add_i32 s12, s8, 0xffffff98
	v_fma_f64 v[12:13], -v[16:17], v[0:1], v[2:3]
	v_mov_b32_e32 v0, s12
	s_add_i32 s12, s8, 0xffffff88
	ds_read2_b64 v[0:3], v0 offset1:1
	v_mov_b32_e32 v8, s12
	ds_read2_b64 v[8:11], v8 offset1:1
	s_waitcnt lgkmcnt(2)
	v_fma_f64 v[6:7], -v[22:23], v[6:7], v[12:13]
	v_fma_f64 v[4:5], -v[20:21], v[4:5], v[6:7]
	s_waitcnt lgkmcnt(1)
	v_fma_f64 v[2:3], -v[26:27], v[2:3], v[4:5]
	v_fma_f64 v[0:1], -v[24:25], v[0:1], v[2:3]
	s_add_i32 s12, s8, 0xffffff78
	s_waitcnt lgkmcnt(0)
	v_fma_f64 v[4:5], -v[30:31], v[10:11], v[0:1]
	v_mov_b32_e32 v0, s12
	ds_read2_b64 v[0:3], v0 offset1:1
	s_add_i32 s12, s8, 0xffffff68
	v_fma_f64 v[8:9], -v[28:29], v[8:9], v[4:5]
	v_mov_b32_e32 v4, s12
	ds_read2_b64 v[4:7], v4 offset1:1
	s_waitcnt lgkmcnt(1)
	v_fma_f64 v[2:3], -v[34:35], v[2:3], v[8:9]
	s_add_i32 s12, s8, 0xffffff58
	v_fma_f64 v[12:13], -v[32:33], v[0:1], v[2:3]
	v_mov_b32_e32 v0, s12
	s_add_i32 s12, s8, 0xffffff48
	ds_read2_b64 v[0:3], v0 offset1:1
	v_mov_b32_e32 v8, s12
	ds_read2_b64 v[8:11], v8 offset1:1
	s_waitcnt lgkmcnt(2)
	v_fma_f64 v[6:7], -v[38:39], v[6:7], v[12:13]
	v_fma_f64 v[4:5], -v[36:37], v[4:5], v[6:7]
	s_waitcnt lgkmcnt(1)
	v_fma_f64 v[2:3], -v[42:43], v[2:3], v[4:5]
	v_fma_f64 v[0:1], -v[40:41], v[0:1], v[2:3]
	s_add_i32 s12, s8, 0xffffff38
	s_waitcnt lgkmcnt(0)
	v_fma_f64 v[4:5], -v[46:47], v[10:11], v[0:1]
	v_mov_b32_e32 v0, s12
	ds_read2_b64 v[0:3], v0 offset1:1
	s_add_i32 s12, s8, 0xffffff28
	v_fma_f64 v[8:9], -v[44:45], v[8:9], v[4:5]
	v_mov_b32_e32 v4, s12
	ds_read2_b64 v[4:7], v4 offset1:1
	s_waitcnt lgkmcnt(1)
	v_fma_f64 v[2:3], -v[50:51], v[2:3], v[8:9]
	s_addk_i32 s8, 0xff18
	v_fma_f64 v[12:13], -v[48:49], v[0:1], v[2:3]
	v_mov_b32_e32 v0, s8
	s_addk_i32 s7, 0xc108
	ds_read2_b64 v[0:3], v0 offset1:1
	v_mov_b32_e32 v8, s7
	ds_read2_b64 v[8:11], v8 offset1:1
	s_waitcnt lgkmcnt(2)
	v_fma_f64 v[6:7], -v[54:55], v[6:7], v[12:13]
	v_fma_f64 v[4:5], -v[52:53], v[4:5], v[6:7]
	s_waitcnt lgkmcnt(1)
	v_fma_f64 v[2:3], -v[58:59], v[2:3], v[4:5]
	v_fma_f64 v[0:1], -v[56:57], v[0:1], v[2:3]
	s_waitcnt lgkmcnt(0)
	v_fma_f64 v[0:1], -v[70:71], v[10:11], v[0:1]
	s_sub_i32 s8, s6, 32
	s_addk_i32 s9, 0xc000
	v_mul_f64 v[68:69], v[8:9], v[0:1]
	s_cmp_gt_i32 s6, 62
	global_store_dwordx4 v[62:63], v[52:55], off offset:-216
	global_store_dwordx4 v[62:63], v[56:59], off offset:-232
	;; [unrolled: 1-line block ×3, first 2 shown]
	s_cbranch_scc0 .LBB110_18
; %bb.17:                               ;   in Loop: Header=BB110_14 Depth=1
	s_mov_b32 s6, s8
	s_branch .LBB110_14
.LBB110_18:
	v_pk_mov_b32 v[56:57], v[140:141], v[140:141] op_sel:[0,1]
.LBB110_19:
	s_cmp_gt_i32 s8, -1
	s_cbranch_scc0 .LBB110_44
; %bb.20:
	s_cmp_lt_u32 s8, 3
	s_cbranch_scc1 .LBB110_26
; %bb.21:
	s_lshl_b32 s6, s8, 9
	s_lshl_b32 s7, s33, 3
	s_add_i32 s6, s6, s7
	s_ashr_i32 s17, s16, 31
	s_addk_i32 s6, 0xf9f8
	s_lshl_b64 s[12:13], s[16:17], 3
	s_add_u32 s7, s10, s12
	s_addc_u32 s9, s11, s13
	s_add_u32 s7, s7, s4
	s_addc_u32 s9, s9, s5
	;; [unrolled: 2-line block ×3, first 2 shown]
	v_mov_b32_e32 v1, s9
	v_add_co_u32_e32 v0, vcc, s7, v56
	v_addc_co_u32_e32 v1, vcc, v1, v57, vcc
	s_mov_b32 s9, 0
.LBB110_22:                             ; =>This Loop Header: Depth=1
                                        ;     Child Loop BB110_23 Depth 2
	s_lshl_b64 s[12:13], s[8:9], 3
	v_mov_b32_e32 v2, s13
	v_add_co_u32_e32 v6, vcc, s12, v98
	v_addc_co_u32_e32 v7, vcc, v99, v2, vcc
	global_load_dwordx4 v[2:5], v[6:7], off offset:-8
	global_load_dwordx4 v[12:15], v[6:7], off offset:-24
	v_pk_mov_b32 v[10:11], v[0:1], v[0:1] op_sel:[0,1]
	s_mov_b32 s7, s6
	s_cmp_le_i32 s16, s8
	s_mov_b32 s12, s16
	s_waitcnt vmcnt(1)
	v_mul_f64 v[8:9], v[4:5], s[0:1]
	v_mul_f64 v[6:7], v[2:3], s[0:1]
	s_waitcnt vmcnt(0)
	v_mul_f64 v[4:5], v[14:15], s[0:1]
	v_mul_f64 v[2:3], v[12:13], s[0:1]
	s_cbranch_scc1 .LBB110_24
.LBB110_23:                             ;   Parent Loop BB110_22 Depth=1
                                        ; =>  This Inner Loop Header: Depth=2
	global_load_dwordx2 v[20:21], v[10:11], off
	v_mov_b32_e32 v16, s7
	ds_read2st64_b64 v[12:15], v16 offset0:2 offset1:3
	ds_read2st64_b64 v[16:19], v16 offset1:1
	s_add_i32 s12, s12, -1
	s_add_i32 s7, s7, -8
	v_add_co_u32_e32 v10, vcc, -8, v10
	v_addc_co_u32_e32 v11, vcc, -1, v11, vcc
	s_cmp_gt_i32 s12, s8
	s_waitcnt vmcnt(0) lgkmcnt(1)
	v_fma_f64 v[8:9], -v[20:21], v[14:15], v[8:9]
	v_fma_f64 v[6:7], -v[20:21], v[12:13], v[6:7]
	s_waitcnt lgkmcnt(0)
	v_fma_f64 v[4:5], -v[20:21], v[18:19], v[4:5]
	v_fma_f64 v[2:3], -v[20:21], v[16:17], v[2:3]
	s_cbranch_scc1 .LBB110_23
.LBB110_24:                             ;   in Loop: Header=BB110_22 Depth=1
	s_mul_i32 s7, s8, 0x208
	v_mov_b32_e32 v10, s7
	s_add_i32 s12, s7, 0xfffffdf8
	ds_read_b64 v[14:15], v10
	v_mov_b32_e32 v10, s12
	s_ashr_i32 s13, s8, 31
	ds_read2_b64 v[10:13], v10 offset1:1
	s_mov_b32 s12, s8
	s_lshl_b64 s[12:13], s[12:13], 3
	v_add_co_u32_e32 v22, vcc, s12, v98
	s_lshl_b32 s12, s8, 6
	s_add_i32 s12, s12, s8
	s_waitcnt lgkmcnt(1)
	v_mul_f64 v[8:9], v[14:15], v[8:9]
	s_lshl_b32 s12, s12, 3
	v_mov_b32_e32 v14, s13
	s_waitcnt lgkmcnt(0)
	v_fma_f64 v[6:7], -v[8:9], v[12:13], v[6:7]
	s_add_i32 s13, s12, 0xfffffc00
	v_mul_f64 v[6:7], v[10:11], v[6:7]
	v_mov_b32_e32 v10, s13
	v_addc_co_u32_e32 v23, vcc, v99, v14, vcc
	ds_read_b64 v[14:15], v10
	s_add_i32 s13, s7, 0xfffffbf0
	s_addk_i32 s7, 0xf9e8
	s_addk_i32 s12, 0xf9f8
	v_mov_b32_e32 v18, s7
	ds_read2_b64 v[18:21], v18 offset1:1
	v_mov_b32_e32 v10, s13
	s_waitcnt lgkmcnt(1)
	v_fma_f64 v[4:5], -v[8:9], v[14:15], v[4:5]
	v_mov_b32_e32 v14, s12
	ds_read2_b64 v[10:13], v10 offset1:1
	ds_read2_b64 v[14:17], v14 offset1:1
	s_add_i32 s12, s8, -4
	s_addk_i32 s6, 0xf800
	s_cmp_gt_i32 s8, 6
	s_waitcnt lgkmcnt(1)
	v_fma_f64 v[4:5], -v[6:7], v[12:13], v[4:5]
	s_waitcnt lgkmcnt(0)
	v_fma_f64 v[2:3], -v[8:9], v[16:17], v[2:3]
	v_mul_f64 v[4:5], v[10:11], v[4:5]
	v_fma_f64 v[2:3], -v[6:7], v[14:15], v[2:3]
	v_fma_f64 v[2:3], -v[4:5], v[20:21], v[2:3]
	v_mul_f64 v[2:3], v[18:19], v[2:3]
	global_store_dwordx4 v[22:23], v[6:9], off offset:-8
	global_store_dwordx4 v[22:23], v[2:5], off offset:-24
	s_cbranch_scc0 .LBB110_27
; %bb.25:                               ;   in Loop: Header=BB110_22 Depth=1
	s_mov_b32 s8, s12
	s_branch .LBB110_22
.LBB110_26:
	s_mov_b32 s12, s8
.LBB110_27:
	s_cmp_lt_i32 s12, 0
	s_cbranch_scc1 .LBB110_44
; %bb.28:
	s_add_i32 s6, s12, 1
	s_and_b32 s8, s6, 3
	s_cmp_eq_u32 s8, 0
	s_mov_b32 s6, s12
	s_cbranch_scc1 .LBB110_33
; %bb.29:
	s_lshl_b32 s6, s12, 9
	s_lshl_b32 s7, s33, 3
	s_add_i32 s6, s6, s7
	s_ashr_i32 s17, s16, 31
	s_add_i32 s9, s6, -8
	s_lshl_b64 s[6:7], s[16:17], 3
	s_add_u32 s6, s10, s6
	s_addc_u32 s7, s11, s7
	s_add_u32 s6, s6, s4
	s_addc_u32 s7, s7, s5
	;; [unrolled: 2-line block ×3, first 2 shown]
	v_mov_b32_e32 v1, s7
	v_add_co_u32_e32 v0, vcc, s6, v56
	s_mov_b32 s7, 0
	v_addc_co_u32_e32 v1, vcc, v1, v57, vcc
	s_mov_b32 s6, s12
	s_mov_b32 s13, s7
	s_branch .LBB110_31
.LBB110_30:                             ;   in Loop: Header=BB110_31 Depth=1
	s_mul_i32 s15, s6, 0x208
	v_mov_b32_e32 v4, s15
	ds_read_b64 v[4:5], v4
	s_ashr_i32 s19, s6, 31
	s_mov_b32 s18, s6
	s_lshl_b64 s[18:19], s[18:19], 3
	v_mov_b32_e32 v6, s19
	s_waitcnt lgkmcnt(0)
	v_mul_f64 v[2:3], v[4:5], v[2:3]
	v_add_co_u32_e32 v4, vcc, s18, v98
	s_add_i32 s6, s6, -1
	s_add_i32 s13, s13, 1
	s_addk_i32 s9, 0xfe00
	v_addc_co_u32_e32 v5, vcc, v99, v6, vcc
	s_cmp_lg_u32 s13, s8
	global_store_dwordx2 v[4:5], v[2:3], off
	s_cbranch_scc0 .LBB110_33
.LBB110_31:                             ; =>This Loop Header: Depth=1
                                        ;     Child Loop BB110_32 Depth 2
	s_lshl_b64 s[18:19], s[6:7], 3
	v_mov_b32_e32 v3, s19
	v_add_co_u32_e32 v2, vcc, s18, v98
	v_addc_co_u32_e32 v3, vcc, v99, v3, vcc
	global_load_dwordx2 v[2:3], v[2:3], off
	v_pk_mov_b32 v[4:5], v[0:1], v[0:1] op_sel:[0,1]
	s_mov_b32 s15, s9
	s_cmp_le_i32 s16, s6
	s_mov_b32 s17, s16
	s_waitcnt vmcnt(0)
	v_mul_f64 v[2:3], v[2:3], s[0:1]
	s_cbranch_scc1 .LBB110_30
.LBB110_32:                             ;   Parent Loop BB110_31 Depth=1
                                        ; =>  This Inner Loop Header: Depth=2
	global_load_dwordx2 v[6:7], v[4:5], off
	v_mov_b32_e32 v8, s15
	ds_read_b64 v[8:9], v8
	s_add_i32 s17, s17, -1
	s_add_i32 s15, s15, -8
	v_add_co_u32_e32 v4, vcc, -8, v4
	v_addc_co_u32_e32 v5, vcc, -1, v5, vcc
	s_cmp_gt_i32 s17, s6
	s_waitcnt vmcnt(0) lgkmcnt(0)
	v_fma_f64 v[2:3], -v[6:7], v[8:9], v[2:3]
	s_cbranch_scc1 .LBB110_32
	s_branch .LBB110_30
.LBB110_33:
	s_cmp_lt_u32 s12, 3
	s_cbranch_scc1 .LBB110_44
; %bb.34:
	s_lshl_b32 s7, s6, 9
	s_lshl_b32 s8, s33, 3
	s_add_i32 s7, s7, s8
	s_ashr_i32 s17, s16, 31
	s_add_i32 s12, s7, -8
	s_lshl_b64 s[8:9], s[16:17], 3
	s_add_u32 s8, s10, s8
	s_addc_u32 s9, s11, s9
	s_add_u32 s8, s8, s4
	s_addc_u32 s9, s9, s5
	;; [unrolled: 2-line block ×3, first 2 shown]
	v_mov_b32_e32 v1, s9
	v_add_co_u32_e32 v0, vcc, s8, v56
	v_addc_co_u32_e32 v1, vcc, v1, v57, vcc
	s_add_i32 s13, s7, 0xfffffdf8
	s_add_i32 s15, s7, 0xfffffbf8
	;; [unrolled: 1-line block ×3, first 2 shown]
	s_mov_b32 s7, 0
	s_branch .LBB110_36
.LBB110_35:                             ;   in Loop: Header=BB110_36 Depth=1
	s_add_i32 s8, s9, 0xfffffdf8
	v_mov_b32_e32 v6, s8
	ds_read_b64 v[6:7], v6
	s_add_i32 s8, s6, -4
	s_addk_i32 s12, 0xf800
	s_addk_i32 s13, 0xf800
	s_addk_i32 s15, 0xf800
	s_addk_i32 s17, 0xf800
	s_waitcnt lgkmcnt(0)
	v_mul_f64 v[4:5], v[6:7], v[4:5]
	s_cmp_lt_i32 s6, 4
	s_mov_b32 s6, s8
	global_store_dwordx2 v[2:3], v[4:5], off offset:-24
	s_cbranch_scc1 .LBB110_44
.LBB110_36:                             ; =>This Loop Header: Depth=1
                                        ;     Child Loop BB110_37 Depth 2
                                        ;     Child Loop BB110_39 Depth 2
	;; [unrolled: 1-line block ×4, first 2 shown]
	s_lshl_b64 s[8:9], s[6:7], 3
	v_mov_b32_e32 v3, s9
	v_add_co_u32_e32 v2, vcc, s8, v98
	v_addc_co_u32_e32 v3, vcc, v99, v3, vcc
	global_load_dwordx2 v[4:5], v[2:3], off
	v_pk_mov_b32 v[2:3], v[0:1], v[0:1] op_sel:[0,1]
	s_mov_b32 s8, s12
	s_cmp_le_i32 s16, s6
	s_mov_b32 s9, s16
	s_waitcnt vmcnt(0)
	v_mul_f64 v[4:5], v[4:5], s[0:1]
	s_cbranch_scc1 .LBB110_38
.LBB110_37:                             ;   Parent Loop BB110_36 Depth=1
                                        ; =>  This Inner Loop Header: Depth=2
	global_load_dwordx2 v[6:7], v[2:3], off
	v_mov_b32_e32 v8, s8
	ds_read_b64 v[8:9], v8
	s_add_i32 s9, s9, -1
	s_add_i32 s8, s8, -8
	v_add_co_u32_e32 v2, vcc, -8, v2
	v_addc_co_u32_e32 v3, vcc, -1, v3, vcc
	s_cmp_gt_i32 s9, s6
	s_waitcnt vmcnt(0) lgkmcnt(0)
	v_fma_f64 v[4:5], -v[6:7], v[8:9], v[4:5]
	s_cbranch_scc1 .LBB110_37
.LBB110_38:                             ;   in Loop: Header=BB110_36 Depth=1
	s_add_i32 s8, s6, -1
	s_mov_b32 s9, s7
	s_lshl_b64 s[8:9], s[8:9], 3
	v_mov_b32_e32 v3, s9
	v_add_co_u32_e32 v2, vcc, s8, v98
	v_addc_co_u32_e32 v3, vcc, v99, v3, vcc
	global_load_dwordx2 v[8:9], v[2:3], off
	s_mul_i32 s18, s6, 0x208
	v_mov_b32_e32 v2, s18
	ds_read_b64 v[10:11], v2
	s_ashr_i32 s21, s6, 31
	s_mov_b32 s20, s6
	s_lshl_b64 s[20:21], s[20:21], 3
	v_mov_b32_e32 v3, s21
	v_add_co_u32_e32 v2, vcc, s20, v98
	v_addc_co_u32_e32 v3, vcc, v99, v3, vcc
	s_waitcnt lgkmcnt(0)
	v_mul_f64 v[4:5], v[10:11], v[4:5]
	v_pk_mov_b32 v[6:7], v[0:1], v[0:1] op_sel:[0,1]
	s_mov_b32 s8, s13
	s_cmp_lt_i32 s16, s6
	global_store_dwordx2 v[2:3], v[4:5], off
	s_mov_b32 s9, s33
	s_waitcnt vmcnt(1)
	v_mul_f64 v[4:5], v[8:9], s[0:1]
	s_cbranch_scc1 .LBB110_40
.LBB110_39:                             ;   Parent Loop BB110_36 Depth=1
                                        ; =>  This Inner Loop Header: Depth=2
	global_load_dwordx2 v[8:9], v[6:7], off
	v_mov_b32_e32 v10, s8
	ds_read_b64 v[10:11], v10
	s_add_i32 s9, s9, -1
	s_add_i32 s8, s8, -8
	v_add_co_u32_e32 v6, vcc, -8, v6
	v_addc_co_u32_e32 v7, vcc, -1, v7, vcc
	s_cmp_gt_i32 s9, s6
	s_waitcnt vmcnt(0) lgkmcnt(0)
	v_fma_f64 v[4:5], -v[8:9], v[10:11], v[4:5]
	s_cbranch_scc1 .LBB110_39
.LBB110_40:                             ;   in Loop: Header=BB110_36 Depth=1
	s_add_i32 s8, s6, -2
	s_mov_b32 s9, s7
	s_lshl_b64 s[20:21], s[8:9], 3
	v_mov_b32_e32 v7, s21
	v_add_co_u32_e32 v6, vcc, s20, v98
	v_addc_co_u32_e32 v7, vcc, v99, v7, vcc
	global_load_dwordx2 v[8:9], v[6:7], off
	s_addk_i32 s18, 0xfdf8
	v_mov_b32_e32 v6, s18
	ds_read_b64 v[10:11], v6
	v_pk_mov_b32 v[6:7], v[0:1], v[0:1] op_sel:[0,1]
	s_mov_b32 s9, s15
	s_cmp_le_i32 s16, s8
	s_mov_b32 s19, s16
	s_waitcnt lgkmcnt(0)
	v_mul_f64 v[4:5], v[10:11], v[4:5]
	global_store_dwordx2 v[2:3], v[4:5], off offset:-8
	s_waitcnt vmcnt(1)
	v_mul_f64 v[4:5], v[8:9], s[0:1]
	s_cbranch_scc1 .LBB110_42
.LBB110_41:                             ;   Parent Loop BB110_36 Depth=1
                                        ; =>  This Inner Loop Header: Depth=2
	global_load_dwordx2 v[8:9], v[6:7], off
	v_mov_b32_e32 v10, s9
	ds_read_b64 v[10:11], v10
	s_add_i32 s19, s19, -1
	s_add_i32 s9, s9, -8
	v_add_co_u32_e32 v6, vcc, -8, v6
	v_addc_co_u32_e32 v7, vcc, -1, v7, vcc
	s_cmp_gt_i32 s19, s8
	s_waitcnt vmcnt(0) lgkmcnt(0)
	v_fma_f64 v[4:5], -v[8:9], v[10:11], v[4:5]
	s_cbranch_scc1 .LBB110_41
.LBB110_42:                             ;   in Loop: Header=BB110_36 Depth=1
	s_add_i32 s8, s6, -3
	s_mov_b32 s9, s7
	s_lshl_b64 s[20:21], s[8:9], 3
	v_mov_b32_e32 v7, s21
	v_add_co_u32_e32 v6, vcc, s20, v98
	v_addc_co_u32_e32 v7, vcc, v99, v7, vcc
	global_load_dwordx2 v[8:9], v[6:7], off
	s_add_i32 s9, s18, 0xfffffdf8
	v_mov_b32_e32 v6, s9
	ds_read_b64 v[10:11], v6
	v_pk_mov_b32 v[6:7], v[0:1], v[0:1] op_sel:[0,1]
	s_mov_b32 s18, s17
	s_cmp_le_i32 s16, s8
	s_mov_b32 s19, s16
	s_waitcnt lgkmcnt(0)
	v_mul_f64 v[4:5], v[10:11], v[4:5]
	global_store_dwordx2 v[2:3], v[4:5], off offset:-16
	s_waitcnt vmcnt(1)
	v_mul_f64 v[4:5], v[8:9], s[0:1]
	s_cbranch_scc1 .LBB110_35
.LBB110_43:                             ;   Parent Loop BB110_36 Depth=1
                                        ; =>  This Inner Loop Header: Depth=2
	global_load_dwordx2 v[8:9], v[6:7], off
	v_mov_b32_e32 v10, s18
	ds_read_b64 v[10:11], v10
	s_add_i32 s19, s19, -1
	s_add_i32 s18, s18, -8
	v_add_co_u32_e32 v6, vcc, -8, v6
	v_addc_co_u32_e32 v7, vcc, -1, v7, vcc
	s_cmp_gt_i32 s19, s8
	s_waitcnt vmcnt(0) lgkmcnt(0)
	v_fma_f64 v[4:5], -v[8:9], v[10:11], v[4:5]
	s_cbranch_scc1 .LBB110_43
	s_branch .LBB110_35
.LBB110_44:
	s_mov_b64 s[6:7], 0
.LBB110_45:
	s_and_b64 vcc, exec, s[6:7]
	s_cbranch_vccz .LBB110_79
; %bb.46:
	s_cmp_lt_i32 s14, 32
	s_mov_b32 s8, 0
	s_cbranch_scc1 .LBB110_54
; %bb.47:
	v_accvgpr_write_b32 a2, v56
	v_accvgpr_write_b32 a3, v57
	s_mov_b32 s7, 0
	s_mov_b32 s6, 0
	;; [unrolled: 1-line block ×3, first 2 shown]
.LBB110_48:                             ; =>This Loop Header: Depth=1
                                        ;     Child Loop BB110_50 Depth 2
	s_lshl_b64 s[12:13], s[6:7], 3
	v_mov_b32_e32 v0, s13
	v_add_co_u32_e32 v28, vcc, s12, v98
	v_addc_co_u32_e32 v29, vcc, v99, v0, vcc
	global_load_dwordx4 v[0:3], v[28:29], off
	global_load_dwordx4 v[4:7], v[28:29], off offset:16
	global_load_dwordx4 v[8:11], v[28:29], off offset:32
	;; [unrolled: 1-line block ×15, first 2 shown]
	v_accvgpr_write_b32 a4, v28
	v_accvgpr_write_b32 a5, v29
	s_cmp_eq_u32 s6, 0
	s_waitcnt vmcnt(15)
	v_mul_f64 v[0:1], v[0:1], s[0:1]
	v_mul_f64 v[2:3], v[2:3], s[0:1]
	s_waitcnt vmcnt(14)
	v_mul_f64 v[4:5], v[4:5], s[0:1]
	v_mul_f64 v[30:31], v[6:7], s[0:1]
	;; [unrolled: 3-line block ×16, first 2 shown]
	s_cbranch_scc1 .LBB110_51
; %bb.49:                               ;   in Loop: Header=BB110_48 Depth=1
	s_mov_b32 s8, 0
	v_pk_mov_b32 v[6:7], v[98:99], v[98:99] op_sel:[0,1]
	s_mov_b32 s12, s9
.LBB110_50:                             ;   Parent Loop BB110_48 Depth=1
                                        ; =>  This Inner Loop Header: Depth=2
	global_load_dwordx2 v[28:29], v[6:7], off
	v_mov_b32_e32 v58, s12
	ds_read_b128 v[8:11], v58
	ds_read_b128 v[12:15], v58 offset:16
	ds_read_b128 v[16:19], v58 offset:32
	ds_read_b128 v[20:23], v58 offset:48
	ds_read_b128 v[24:27], v58 offset:64
	ds_read_b128 v[54:57], v58 offset:80
	ds_read_b128 v[76:79], v58 offset:96
	ds_read_b128 v[84:87], v58 offset:112
	ds_read_b128 v[92:95], v58 offset:128
	ds_read_b128 v[114:117], v58 offset:144
	ds_read_b128 v[118:121], v58 offset:160
	ds_read_b128 v[122:125], v58 offset:176
	ds_read_b128 v[126:129], v58 offset:192
	ds_read_b128 v[130:133], v58 offset:208
	ds_read_b128 v[134:137], v58 offset:224
	ds_read_b128 v[138:141], v58 offset:240
	s_add_i32 s8, s8, 1
	s_addk_i32 s12, 0x200
	v_add_co_u32_e32 v6, vcc, 8, v6
	v_addc_co_u32_e32 v7, vcc, 0, v7, vcc
	s_cmp_lt_u32 s8, s6
	s_waitcnt vmcnt(0) lgkmcnt(14)
	v_fma_f64 v[0:1], -v[28:29], v[8:9], v[0:1]
	v_fma_f64 v[2:3], -v[28:29], v[10:11], v[2:3]
	;; [unrolled: 1-line block ×4, first 2 shown]
	s_waitcnt lgkmcnt(13)
	v_fma_f64 v[50:51], -v[28:29], v[16:17], v[50:51]
	v_fma_f64 v[48:49], -v[28:29], v[18:19], v[48:49]
	s_waitcnt lgkmcnt(12)
	v_fma_f64 v[46:47], -v[28:29], v[20:21], v[46:47]
	v_fma_f64 v[34:35], -v[28:29], v[22:23], v[34:35]
	;; [unrolled: 3-line block ×14, first 2 shown]
	s_cbranch_scc1 .LBB110_50
.LBB110_51:                             ;   in Loop: Header=BB110_48 Depth=1
	s_mul_i32 s12, s6, 0x208
	v_mov_b32_e32 v56, s12
	ds_read_b128 v[16:19], v56
	ds_read_b128 v[26:29], v56 offset:16
	ds_read2_b64 v[20:23], v56 offset0:65 offset1:66
	ds_read_b128 v[12:15], v56 offset:32
	ds_read_b128 v[8:11], v56 offset:48
	s_waitcnt lgkmcnt(4)
	v_mul_f64 v[0:1], v[16:17], v[0:1]
	v_fma_f64 v[2:3], -v[0:1], v[18:19], v[2:3]
	s_lshl_b32 s8, s6, 6
	s_waitcnt lgkmcnt(2)
	v_mul_f64 v[2:3], v[20:21], v[2:3]
	v_fma_f64 v[4:5], -v[0:1], v[26:27], v[4:5]
	s_add_i32 s8, s6, s8
	ds_read_b128 v[16:19], v56 offset:64
	v_fma_f64 v[54:55], -v[2:3], v[22:23], v[4:5]
	ds_read_b128 v[4:7], v56 offset:1040
	s_lshl_b32 s8, s8, 3
	v_mov_b32_e32 v122, s8
	ds_read2_b64 v[24:27], v122 offset0:67 offset1:68
	ds_read2_b64 v[20:23], v56 offset0:195 offset1:196
	s_waitcnt lgkmcnt(5)
	v_fma_f64 v[12:13], -v[0:1], v[12:13], v[50:51]
	s_waitcnt lgkmcnt(2)
	v_mul_f64 v[4:5], v[4:5], v[54:55]
	v_fma_f64 v[54:55], -v[0:1], v[28:29], v[30:31]
	s_waitcnt lgkmcnt(1)
	v_fma_f64 v[24:25], -v[2:3], v[24:25], v[54:55]
	ds_read_b128 v[28:31], v122 offset:240
	ds_read_b128 v[76:79], v122 offset:1056
	v_fma_f64 v[6:7], -v[4:5], v[6:7], v[24:25]
	v_fma_f64 v[12:13], -v[2:3], v[26:27], v[12:13]
	ds_read2_b64 v[24:27], v122 offset0:93 offset1:94
	ds_read_b128 v[84:87], v56 offset:2080
	ds_read_b64 v[58:59], v56 offset:4160
	ds_read2_b64 v[92:95], v122 offset0:69 offset1:70
	v_fma_f64 v[14:15], -v[0:1], v[14:15], v[48:49]
	ds_read2_b64 v[48:51], v122 offset0:197 offset1:198
	ds_read2_b64 v[114:117], v122 offset0:71 offset1:72
	s_waitcnt lgkmcnt(8)
	v_mul_f64 v[6:7], v[20:21], v[6:7]
	s_waitcnt lgkmcnt(6)
	v_fma_f64 v[12:13], -v[4:5], v[76:77], v[12:13]
	s_waitcnt lgkmcnt(2)
	v_fma_f64 v[14:15], -v[2:3], v[92:93], v[14:15]
	v_fma_f64 v[14:15], -v[4:5], v[78:79], v[14:15]
	s_addk_i32 s12, 0xa28
	v_fma_f64 v[12:13], -v[6:7], v[22:23], v[12:13]
	s_waitcnt lgkmcnt(1)
	v_fma_f64 v[14:15], -v[6:7], v[48:49], v[14:15]
	v_mov_b32_e32 v48, s12
	s_add_i32 s12, s8, 0xa38
	v_mul_f64 v[12:13], v[84:85], v[12:13]
	ds_read_b128 v[20:23], v122 offset:1264
	ds_read2_b64 v[76:79], v48 offset1:1
	v_mov_b32_e32 v48, s12
	v_fma_f64 v[14:15], -v[12:13], v[86:87], v[14:15]
	ds_read2_b64 v[84:87], v48 offset1:1
	ds_read_b128 v[118:121], v122 offset:1072
	v_fma_f64 v[8:9], -v[0:1], v[8:9], v[46:47]
	v_fma_f64 v[8:9], -v[2:3], v[94:95], v[8:9]
	ds_read_b128 v[92:95], v122 offset:2096
	v_fma_f64 v[10:11], -v[0:1], v[10:11], v[34:35]
	s_waitcnt lgkmcnt(1)
	v_fma_f64 v[8:9], -v[4:5], v[118:119], v[8:9]
	v_fma_f64 v[8:9], -v[6:7], v[50:51], v[8:9]
	;; [unrolled: 1-line block ×3, first 2 shown]
	v_mul_f64 v[14:15], v[76:77], v[14:15]
	ds_read_b128 v[46:49], v122 offset:1088
	v_fma_f64 v[10:11], -v[4:5], v[120:121], v[10:11]
	ds_read2_b64 v[118:121], v122 offset0:201 offset1:202
	s_waitcnt lgkmcnt(2)
	v_fma_f64 v[8:9], -v[12:13], v[92:93], v[8:9]
	v_fma_f64 v[8:9], -v[14:15], v[78:79], v[8:9]
	ds_read2_b64 v[76:79], v122 offset0:199 offset1:200
	v_fma_f64 v[16:17], -v[0:1], v[16:17], v[32:33]
	v_fma_f64 v[16:17], -v[2:3], v[116:117], v[16:17]
	s_waitcnt lgkmcnt(2)
	v_fma_f64 v[16:17], -v[4:5], v[46:47], v[16:17]
	v_add_u32_e32 v54, 0x800, v56
	s_waitcnt lgkmcnt(0)
	v_fma_f64 v[10:11], -v[6:7], v[76:77], v[10:11]
	s_add_i32 s12, s8, 0xc38
	v_fma_f64 v[16:17], -v[6:7], v[78:79], v[16:17]
	ds_read2_b64 v[76:79], v122 offset0:73 offset1:74
	ds_read2_b64 v[54:57], v54 offset0:134 offset1:199
	v_mov_b32_e32 v34, s12
	v_fma_f64 v[10:11], -v[12:13], v[94:95], v[10:11]
	ds_read2_b64 v[92:95], v34 offset1:1
	v_fma_f64 v[18:19], -v[0:1], v[18:19], v[44:45]
	ds_read_b128 v[124:127], v122 offset:2112
	ds_read2_b64 v[44:47], v122 offset0:75 offset1:76
	s_waitcnt lgkmcnt(4)
	v_fma_f64 v[18:19], -v[2:3], v[76:77], v[18:19]
	s_add_i32 s13, s8, 0xc48
	s_waitcnt lgkmcnt(3)
	v_mul_f64 v[8:9], v[54:55], v[8:9]
	v_fma_f64 v[10:11], -v[14:15], v[84:85], v[10:11]
	v_fma_f64 v[18:19], -v[4:5], v[48:49], v[18:19]
	v_mov_b32_e32 v48, s13
	s_add_i32 s12, s8, 0xa48
	ds_read2_b64 v[48:51], v48 offset1:1
	s_waitcnt lgkmcnt(3)
	v_fma_f64 v[10:11], -v[8:9], v[92:93], v[10:11]
	v_mov_b32_e32 v34, s12
	v_mul_f64 v[10:11], v[56:57], v[10:11]
	ds_read_b128 v[54:57], v122 offset:3648
	ds_read2_b64 v[128:131], v34 offset1:1
	s_waitcnt lgkmcnt(4)
	v_fma_f64 v[16:17], -v[12:13], v[124:125], v[16:17]
	v_fma_f64 v[16:17], -v[14:15], v[86:87], v[16:17]
	;; [unrolled: 1-line block ×4, first 2 shown]
	s_add_i32 s13, s8, 0x1048
	s_waitcnt lgkmcnt(1)
	v_fma_f64 v[16:17], -v[10:11], v[54:55], v[16:17]
	s_or_b32 s12, s6, 9
	v_mov_b32_e32 v54, s13
	ds_read2_b64 v[84:87], v54 offset1:1
	v_fma_f64 v[18:19], -v[12:13], v[126:127], v[18:19]
	s_waitcnt lgkmcnt(1)
	v_fma_f64 v[18:19], -v[14:15], v[128:129], v[18:19]
	s_mul_i32 s13, s12, 0x208
	v_fma_f64 v[18:19], -v[8:9], v[48:49], v[18:19]
	v_mov_b32_e32 v48, s13
	ds_read_b128 v[32:35], v122 offset:2288
	v_fma_f64 v[18:19], -v[10:11], v[56:57], v[18:19]
	s_or_b32 s13, s6, 10
	ds_read2_b64 v[54:57], v48 offset1:1
	ds_read_b128 v[92:95], v122 offset:80
	s_mul_i32 s14, s13, 0x208
	v_mov_b32_e32 v48, s14
	ds_read_b128 v[114:117], v48
	ds_read_b128 v[126:129], v122 offset:96
	ds_read_b128 v[132:135], v122 offset:1104
	s_waitcnt lgkmcnt(3)
	v_fma_f64 v[36:37], -v[0:1], v[92:93], v[36:37]
	v_fma_f64 v[36:37], -v[2:3], v[78:79], v[36:37]
	ds_read_b128 v[76:79], v122 offset:1120
	ds_read_b128 v[136:139], v122 offset:2128
	v_mul_f64 v[16:17], v[58:59], v[16:17]
	s_waitcnt lgkmcnt(2)
	v_fma_f64 v[36:37], -v[4:5], v[132:133], v[36:37]
	v_fma_f64 v[36:37], -v[6:7], v[120:121], v[36:37]
	ds_read_b128 v[118:121], v122 offset:2144
	ds_read_b128 v[140:143], v122 offset:3664
	s_waitcnt lgkmcnt(2)
	v_fma_f64 v[36:37], -v[12:13], v[136:137], v[36:37]
	v_fma_f64 v[36:37], -v[14:15], v[130:131], v[36:37]
	;; [unrolled: 1-line block ×4, first 2 shown]
	s_waitcnt lgkmcnt(0)
	v_fma_f64 v[36:37], -v[10:11], v[140:141], v[36:37]
	v_mul_f64 v[18:19], v[54:55], v[18:19]
	v_fma_f64 v[36:37], -v[16:17], v[86:87], v[36:37]
	v_fma_f64 v[36:37], -v[18:19], v[56:57], v[36:37]
	ds_read2_b64 v[54:57], v122 offset0:203 offset1:204
	ds_read2_b64 v[48:51], v122 offset0:205 offset1:206
	v_fma_f64 v[38:39], -v[0:1], v[94:95], v[38:39]
	s_add_i32 s15, s8, 0xa58
	v_fma_f64 v[38:39], -v[2:3], v[44:45], v[38:39]
	v_mov_b32_e32 v44, s15
	s_add_i32 s15, s8, 0xc58
	ds_read_b128 v[130:133], v122 offset:3680
	s_lshl_b32 s12, s12, 6
	v_mov_b32_e32 v45, s15
	ds_read2_b64 v[84:87], v44 offset1:1
	ds_read2_b64 v[92:95], v45 offset1:1
	s_add_i32 s12, s6, s12
	v_fma_f64 v[38:39], -v[4:5], v[134:135], v[38:39]
	s_add_i32 s15, s8, 0x1058
	s_lshl_b32 s12, s12, 3
	s_waitcnt lgkmcnt(4)
	v_fma_f64 v[38:39], -v[6:7], v[54:55], v[38:39]
	v_mov_b32_e32 v44, s15
	v_fma_f64 v[38:39], -v[12:13], v[138:139], v[38:39]
	v_mov_b32_e32 v123, s12
	ds_read2_b64 v[134:137], v44 offset1:1
	ds_read2_b64 v[138:141], v123 offset0:11 offset1:12
	s_waitcnt lgkmcnt(3)
	v_fma_f64 v[38:39], -v[14:15], v[84:85], v[38:39]
	v_fma_f64 v[40:41], -v[0:1], v[126:127], v[40:41]
	s_or_b32 s14, s6, 11
	s_waitcnt lgkmcnt(2)
	v_fma_f64 v[38:39], -v[8:9], v[92:93], v[38:39]
	s_lshl_b32 s12, s13, 6
	v_fma_f64 v[40:41], -v[2:3], v[46:47], v[40:41]
	v_fma_f64 v[38:39], -v[10:11], v[142:143], v[38:39]
	s_add_i32 s12, s6, s12
	s_mul_i32 s13, s14, 0x208
	v_fma_f64 v[40:41], -v[4:5], v[76:77], v[40:41]
	s_waitcnt lgkmcnt(1)
	v_fma_f64 v[38:39], -v[16:17], v[134:135], v[38:39]
	v_mov_b32_e32 v44, s13
	s_lshl_b32 s12, s12, 3
	s_or_b32 s13, s6, 12
	v_fma_f64 v[40:41], -v[6:7], v[56:57], v[40:41]
	v_mul_f64 v[36:37], v[114:115], v[36:37]
	s_waitcnt lgkmcnt(0)
	v_fma_f64 v[38:39], -v[18:19], v[138:139], v[38:39]
	v_mov_b32_e32 v124, s12
	v_fma_f64 v[40:41], -v[12:13], v[118:119], v[40:41]
	s_lshl_b32 s12, s14, 6
	s_mul_i32 s14, s13, 0x208
	ds_read2_b64 v[142:145], v44 offset1:1
	v_fma_f64 v[38:39], -v[36:37], v[116:117], v[38:39]
	ds_read_b128 v[114:117], v124 offset:96
	v_fma_f64 v[40:41], -v[14:15], v[86:87], v[40:41]
	v_mov_b32_e32 v44, s14
	v_fma_f64 v[40:41], -v[8:9], v[94:95], v[40:41]
	ds_read_b128 v[84:87], v44
	ds_read_b128 v[44:47], v124 offset:240
	ds_read2_b64 v[92:95], v122 offset0:77 offset1:78
	s_add_i32 s15, s8, 0xa68
	v_fma_f64 v[40:41], -v[10:11], v[130:131], v[40:41]
	v_fma_f64 v[42:43], -v[0:1], v[128:129], v[42:43]
	v_mov_b32_e32 v54, s15
	s_add_i32 s15, s8, 0xc68
	v_fma_f64 v[40:41], -v[16:17], v[136:137], v[40:41]
	ds_read2_b64 v[56:59], v122 offset0:79 offset1:80
	s_waitcnt lgkmcnt(1)
	v_fma_f64 v[42:43], -v[2:3], v[92:93], v[42:43]
	v_mov_b32_e32 v55, s15
	ds_read2_b64 v[126:129], v54 offset1:1
	ds_read2_b64 v[134:137], v55 offset1:1
	v_fma_f64 v[42:43], -v[4:5], v[78:79], v[42:43]
	s_add_i32 s15, s8, 0x1068
	v_fma_f64 v[42:43], -v[6:7], v[48:49], v[42:43]
	v_mov_b32_e32 v48, s15
	s_add_i32 s12, s6, s12
	v_fma_f64 v[42:43], -v[12:13], v[120:121], v[42:43]
	ds_read2_b64 v[76:79], v48 offset1:1
	ds_read2_b64 v[118:121], v123 offset0:13 offset1:14
	s_lshl_b32 s14, s12, 3
	s_waitcnt lgkmcnt(3)
	v_fma_f64 v[42:43], -v[14:15], v[126:127], v[42:43]
	s_waitcnt lgkmcnt(2)
	v_fma_f64 v[42:43], -v[8:9], v[134:135], v[42:43]
	v_mov_b32_e32 v125, s14
	v_fma_f64 v[42:43], -v[10:11], v[132:133], v[42:43]
	ds_read2_b64 v[130:133], v125 offset0:13 offset1:14
	v_fma_f64 v[40:41], -v[18:19], v[140:141], v[40:41]
	s_waitcnt lgkmcnt(2)
	v_fma_f64 v[42:43], -v[16:17], v[76:77], v[42:43]
	v_mul_f64 v[38:39], v[142:143], v[38:39]
	v_fma_f64 v[40:41], -v[36:37], v[114:115], v[40:41]
	s_or_b32 s12, s6, 13
	s_waitcnt lgkmcnt(1)
	v_fma_f64 v[42:43], -v[18:19], v[118:119], v[42:43]
	v_fma_f64 v[40:41], -v[38:39], v[144:145], v[40:41]
	;; [unrolled: 1-line block ×3, first 2 shown]
	s_mul_i32 s14, s12, 0x208
	v_mul_f64 v[40:41], v[84:85], v[40:41]
	s_waitcnt lgkmcnt(0)
	v_fma_f64 v[42:43], -v[38:39], v[130:131], v[42:43]
	v_mov_b32_e32 v48, s14
	ds_read2_b64 v[138:141], v123 offset0:15 offset1:16
	ds_read2_b64 v[116:119], v48 offset1:1
	v_fma_f64 v[42:43], -v[40:41], v[86:87], v[42:43]
	ds_read_b64 v[114:115], v125 offset:248
	ds_read_b128 v[84:87], v122 offset:112
	ds_read_b128 v[142:145], v122 offset:128
	;; [unrolled: 1-line block ×3, first 2 shown]
	s_lshl_b32 s13, s13, 6
	s_add_i32 s13, s6, s13
	s_lshl_b32 s13, s13, 3
	s_waitcnt lgkmcnt(2)
	v_fma_f64 v[48:49], -v[0:1], v[84:85], v[52:53]
	v_fma_f64 v[48:49], -v[2:3], v[94:95], v[48:49]
	ds_read_b128 v[92:95], v122 offset:1152
	ds_read_b128 v[150:153], v122 offset:2160
	s_waitcnt lgkmcnt(2)
	v_fma_f64 v[48:49], -v[4:5], v[146:147], v[48:49]
	v_fma_f64 v[52:53], -v[6:7], v[50:51], v[48:49]
	ds_read_b128 v[154:157], v122 offset:2176
	ds_read_b128 v[48:51], v122 offset:3696
	v_mov_b32_e32 v127, s13
	s_waitcnt lgkmcnt(2)
	v_fma_f64 v[52:53], -v[12:13], v[150:151], v[52:53]
	v_fma_f64 v[52:53], -v[14:15], v[128:129], v[52:53]
	;; [unrolled: 1-line block ×3, first 2 shown]
	s_waitcnt lgkmcnt(0)
	v_fma_f64 v[48:49], -v[10:11], v[48:49], v[52:53]
	ds_read_b128 v[128:131], v122 offset:3712
	v_fma_f64 v[48:49], -v[16:17], v[78:79], v[48:49]
	ds_read_b128 v[76:79], v124 offset:112
	ds_read_b128 v[134:137], v127 offset:112
	ds_read_b128 v[158:161], v124 offset:128
	s_or_b32 s14, s6, 14
	v_fma_f64 v[48:49], -v[18:19], v[120:121], v[48:49]
	s_mul_i32 s13, s14, 0x208
	s_waitcnt lgkmcnt(2)
	v_fma_f64 v[48:49], -v[36:37], v[76:77], v[48:49]
	v_fma_f64 v[48:49], -v[38:39], v[132:133], v[48:49]
	v_mov_b32_e32 v52, s13
	s_waitcnt lgkmcnt(1)
	v_fma_f64 v[48:49], -v[40:41], v[134:135], v[48:49]
	ds_read_b128 v[132:135], v52
	v_fma_f64 v[62:63], -v[0:1], v[86:87], v[62:63]
	ds_read2_b64 v[84:87], v122 offset0:207 offset1:208
	s_add_i32 s15, s8, 0xa78
	v_fma_f64 v[56:57], -v[2:3], v[56:57], v[62:63]
	v_mov_b32_e32 v62, s15
	s_add_i32 s15, s8, 0xc78
	v_mul_f64 v[42:43], v[116:117], v[42:43]
	v_fma_f64 v[56:57], -v[4:5], v[148:149], v[56:57]
	v_mov_b32_e32 v63, s15
	s_add_i32 s15, s8, 0x1078
	ds_read_b128 v[162:165], v127 offset:128
	ds_read_b128 v[52:55], v127 offset:240
	s_lshl_b32 s12, s12, 6
	v_fma_f64 v[48:49], -v[42:43], v[118:119], v[48:49]
	ds_read2_b64 v[116:119], v62 offset1:1
	ds_read2_b64 v[146:149], v63 offset1:1
	ds_read2_b64 v[166:169], v122 offset0:209 offset1:210
	s_waitcnt lgkmcnt(5)
	v_fma_f64 v[56:57], -v[6:7], v[84:85], v[56:57]
	v_mov_b32_e32 v62, s15
	s_add_i32 s12, s6, s12
	v_fma_f64 v[56:57], -v[12:13], v[152:153], v[56:57]
	ds_read2_b64 v[150:153], v62 offset1:1
	s_lshl_b32 s12, s12, 3
	s_waitcnt lgkmcnt(3)
	v_fma_f64 v[56:57], -v[14:15], v[116:117], v[56:57]
	v_mov_b32_e32 v126, s12
	s_waitcnt lgkmcnt(2)
	v_fma_f64 v[56:57], -v[8:9], v[146:147], v[56:57]
	ds_read2_b64 v[170:173], v126 offset0:15 offset1:16
	ds_read2_b64 v[174:177], v125 offset0:15 offset1:16
	v_fma_f64 v[50:51], -v[10:11], v[50:51], v[56:57]
	s_waitcnt lgkmcnt(2)
	v_fma_f64 v[50:51], -v[16:17], v[150:151], v[50:51]
	v_fma_f64 v[50:51], -v[18:19], v[138:139], v[50:51]
	;; [unrolled: 1-line block ×3, first 2 shown]
	s_lshl_b32 s12, s14, 6
	s_or_b32 s13, s6, 15
	s_waitcnt lgkmcnt(0)
	v_fma_f64 v[50:51], -v[38:39], v[174:175], v[50:51]
	s_add_i32 s12, s6, s12
	v_accvgpr_write_b32 a0, v98
	v_fma_f64 v[50:51], -v[40:41], v[136:137], v[50:51]
	s_mul_i32 s14, s13, 0x208
	s_lshl_b32 s12, s12, 3
	v_accvgpr_write_b32 a1, v99
	v_mul_f64 v[48:49], v[132:133], v[48:49]
	v_fma_f64 v[50:51], -v[42:43], v[170:171], v[50:51]
	v_mov_b32_e32 v56, s14
	v_mov_b32_e32 v98, s12
	ds_read2_b64 v[136:139], v56 offset1:1
	v_fma_f64 v[50:51], -v[48:49], v[134:135], v[50:51]
	ds_read_b128 v[132:135], v98 offset:128
	v_fma_f64 v[56:57], -v[0:1], v[142:143], v[60:61]
	v_fma_f64 v[56:57], -v[2:3], v[58:59], v[56:57]
	v_fma_f64 v[56:57], -v[4:5], v[92:93], v[56:57]
	v_fma_f64 v[56:57], -v[6:7], v[86:87], v[56:57]
	v_fma_f64 v[56:57], -v[12:13], v[154:155], v[56:57]
	v_fma_f64 v[56:57], -v[14:15], v[118:119], v[56:57]
	v_fma_f64 v[56:57], -v[8:9], v[148:149], v[56:57]
	v_fma_f64 v[56:57], -v[10:11], v[128:129], v[56:57]
	v_fma_f64 v[56:57], -v[16:17], v[152:153], v[56:57]
	v_fma_f64 v[56:57], -v[18:19], v[140:141], v[56:57]
	v_fma_f64 v[56:57], -v[36:37], v[158:159], v[56:57]
	v_fma_f64 v[56:57], -v[38:39], v[176:177], v[56:57]
	s_or_b32 s12, s6, 16
	v_fma_f64 v[56:57], -v[40:41], v[162:163], v[56:57]
	v_fma_f64 v[56:57], -v[42:43], v[172:173], v[56:57]
	s_mul_i32 s14, s12, 0x208
	s_waitcnt lgkmcnt(1)
	v_mul_f64 v[50:51], v[136:137], v[50:51]
	s_waitcnt lgkmcnt(0)
	v_fma_f64 v[60:61], -v[48:49], v[132:133], v[56:57]
	v_mov_b32_e32 v56, s14
	ds_read2_b64 v[76:79], v125 offset0:17 offset1:18
	ds_read_b128 v[56:59], v56
	v_fma_f64 v[70:71], -v[50:51], v[138:139], v[60:61]
	ds_read_b128 v[60:63], v98 offset:240
	ds_read2_b64 v[84:87], v122 offset0:81 offset1:82
	v_fma_f64 v[68:69], -v[0:1], v[144:145], v[68:69]
	s_add_i32 s15, s8, 0xa88
	s_waitcnt lgkmcnt(2)
	v_mul_f64 v[56:57], v[56:57], v[70:71]
	ds_read2_b64 v[118:121], v122 offset0:83 offset1:84
	s_waitcnt lgkmcnt(1)
	v_fma_f64 v[84:85], -v[2:3], v[84:85], v[68:69]
	v_mov_b32_e32 v68, s15
	s_add_i32 s15, s8, 0xc88
	v_mov_b32_e32 v92, s15
	ds_read2_b64 v[68:71], v68 offset1:1
	ds_read2_b64 v[136:139], v92 offset1:1
	v_fma_f64 v[84:85], -v[4:5], v[94:95], v[84:85]
	v_fma_f64 v[84:85], -v[6:7], v[166:167], v[84:85]
	;; [unrolled: 1-line block ×3, first 2 shown]
	s_add_i32 s15, s8, 0x1088
	s_waitcnt lgkmcnt(1)
	v_fma_f64 v[68:69], -v[14:15], v[68:69], v[84:85]
	v_mov_b32_e32 v84, s15
	s_waitcnt lgkmcnt(0)
	v_fma_f64 v[68:69], -v[8:9], v[136:137], v[68:69]
	ds_read2_b64 v[92:95], v84 offset1:1
	v_fma_f64 v[68:69], -v[10:11], v[130:131], v[68:69]
	ds_read2_b64 v[128:131], v123 offset0:17 offset1:18
	ds_read2_b64 v[148:151], v126 offset0:17 offset1:18
	;; [unrolled: 1-line block ×3, first 2 shown]
	s_waitcnt lgkmcnt(3)
	v_fma_f64 v[68:69], -v[16:17], v[92:93], v[68:69]
	s_lshl_b32 s13, s13, 6
	s_waitcnt lgkmcnt(2)
	v_fma_f64 v[68:69], -v[18:19], v[128:129], v[68:69]
	s_add_i32 s13, s6, s13
	v_fma_f64 v[68:69], -v[36:37], v[160:161], v[68:69]
	s_lshl_b32 s13, s13, 3
	s_or_b32 s14, s6, 17
	v_fma_f64 v[68:69], -v[38:39], v[76:77], v[68:69]
	v_mov_b32_e32 v252, s13
	v_fma_f64 v[68:69], -v[40:41], v[164:165], v[68:69]
	s_mul_i32 s13, s14, 0x208
	s_waitcnt lgkmcnt(1)
	v_fma_f64 v[68:69], -v[42:43], v[148:149], v[68:69]
	v_mov_b32_e32 v76, s13
	ds_read2_b64 v[140:143], v252 offset0:17 offset1:18
	ds_read2_b64 v[144:147], v123 offset0:19 offset1:20
	v_fma_f64 v[68:69], -v[48:49], v[134:135], v[68:69]
	ds_read2_b64 v[132:135], v76 offset1:1
	ds_read_b64 v[116:117], v252 offset:248
	ds_read_b128 v[156:159], v122 offset:144
	ds_read_b128 v[160:163], v122 offset:160
	;; [unrolled: 1-line block ×3, first 2 shown]
	s_lshl_b32 s12, s12, 6
	s_add_i32 s12, s6, s12
	s_lshl_b32 s12, s12, 3
	s_waitcnt lgkmcnt(2)
	v_fma_f64 v[64:65], -v[0:1], v[156:157], v[64:65]
	v_fma_f64 v[64:65], -v[2:3], v[86:87], v[64:65]
	ds_read_b128 v[84:87], v122 offset:1184
	ds_read_b128 v[170:173], v122 offset:2192
	s_waitcnt lgkmcnt(2)
	v_fma_f64 v[64:65], -v[4:5], v[164:165], v[64:65]
	v_fma_f64 v[64:65], -v[6:7], v[168:169], v[64:65]
	ds_read_b128 v[174:177], v122 offset:2208
	ds_read_b128 v[178:181], v122 offset:3728
	v_mov_b32_e32 v99, s12
	s_waitcnt lgkmcnt(2)
	v_fma_f64 v[64:65], -v[12:13], v[170:171], v[64:65]
	v_fma_f64 v[64:65], -v[14:15], v[70:71], v[64:65]
	v_fma_f64 v[64:65], -v[8:9], v[138:139], v[64:65]
	ds_read_b128 v[136:139], v122 offset:3744
	ds_read_b128 v[168:171], v124 offset:144
	s_waitcnt lgkmcnt(2)
	v_fma_f64 v[64:65], -v[10:11], v[178:179], v[64:65]
	v_fma_f64 v[64:65], -v[16:17], v[94:95], v[64:65]
	;; [unrolled: 1-line block ×3, first 2 shown]
	ds_read_b128 v[92:95], v127 offset:144
	ds_read_b128 v[128:131], v124 offset:160
	s_waitcnt lgkmcnt(2)
	v_fma_f64 v[64:65], -v[36:37], v[168:169], v[64:65]
	v_fma_f64 v[64:65], -v[38:39], v[78:79], v[64:65]
	ds_read_b128 v[182:185], v127 offset:160
	ds_read_b128 v[76:79], v98 offset:144
	s_waitcnt lgkmcnt(3)
	v_fma_f64 v[64:65], -v[40:41], v[92:93], v[64:65]
	v_fma_f64 v[64:65], -v[42:43], v[150:151], v[64:65]
	ds_read_b128 v[148:151], v99 offset:144
	ds_read_b128 v[186:189], v98 offset:160
	v_fma_f64 v[68:69], -v[50:51], v[140:141], v[68:69]
	s_or_b32 s13, s6, 18
	s_waitcnt lgkmcnt(2)
	v_fma_f64 v[64:65], -v[48:49], v[76:77], v[64:65]
	v_fma_f64 v[58:59], -v[56:57], v[58:59], v[68:69]
	;; [unrolled: 1-line block ×3, first 2 shown]
	s_lshl_b32 s12, s14, 6
	s_mul_i32 s14, s13, 0x208
	v_mul_f64 v[58:59], v[132:133], v[58:59]
	s_waitcnt lgkmcnt(1)
	v_fma_f64 v[64:65], -v[56:57], v[148:149], v[64:65]
	v_mov_b32_e32 v68, s14
	ds_read_b128 v[140:143], v99 offset:160
	ds_read_b128 v[190:193], v68
	v_fma_f64 v[64:65], -v[58:59], v[134:135], v[64:65]
	ds_read_b128 v[68:71], v99 offset:240
	ds_read2_b64 v[132:135], v122 offset0:211 offset1:212
	v_fma_f64 v[66:67], -v[0:1], v[158:159], v[66:67]
	s_add_i32 s15, s8, 0xa98
	v_fma_f64 v[66:67], -v[2:3], v[118:119], v[66:67]
	v_mov_b32_e32 v76, s15
	s_add_i32 s15, s8, 0xc98
	v_fma_f64 v[66:67], -v[4:5], v[166:167], v[66:67]
	v_mov_b32_e32 v77, s15
	ds_read2_b64 v[156:159], v76 offset1:1
	ds_read2_b64 v[164:167], v77 offset1:1
	ds_read2_b64 v[194:197], v122 offset0:213 offset1:214
	s_add_i32 s15, s8, 0x1098
	s_waitcnt lgkmcnt(3)
	v_fma_f64 v[66:67], -v[6:7], v[132:133], v[66:67]
	v_mov_b32_e32 v76, s15
	s_add_i32 s12, s6, s12
	v_fma_f64 v[66:67], -v[12:13], v[172:173], v[66:67]
	ds_read2_b64 v[198:201], v76 offset1:1
	v_fma_f64 v[72:73], -v[0:1], v[160:161], v[72:73]
	s_lshl_b32 s12, s12, 3
	s_waitcnt lgkmcnt(3)
	v_fma_f64 v[66:67], -v[14:15], v[156:157], v[66:67]
	v_fma_f64 v[72:73], -v[2:3], v[120:121], v[72:73]
	s_waitcnt lgkmcnt(2)
	v_fma_f64 v[66:67], -v[8:9], v[164:165], v[66:67]
	v_mov_b32_e32 v96, s12
	v_fma_f64 v[72:73], -v[4:5], v[84:85], v[72:73]
	v_fma_f64 v[66:67], -v[10:11], v[180:181], v[66:67]
	ds_read2_b64 v[178:181], v96 offset0:19 offset1:20
	ds_read2_b64 v[202:205], v125 offset0:19 offset1:20
	v_fma_f64 v[72:73], -v[6:7], v[134:135], v[72:73]
	v_fma_f64 v[72:73], -v[12:13], v[174:175], v[72:73]
	s_waitcnt lgkmcnt(2)
	v_fma_f64 v[66:67], -v[16:17], v[198:199], v[66:67]
	v_fma_f64 v[72:73], -v[14:15], v[158:159], v[72:73]
	;; [unrolled: 1-line block ×5, first 2 shown]
	ds_read2_b64 v[206:209], v252 offset0:19 offset1:20
	v_fma_f64 v[72:73], -v[10:11], v[136:137], v[72:73]
	s_waitcnt lgkmcnt(1)
	v_fma_f64 v[66:67], -v[38:39], v[202:203], v[66:67]
	v_fma_f64 v[72:73], -v[16:17], v[200:201], v[72:73]
	;; [unrolled: 1-line block ×3, first 2 shown]
	ds_read2_b64 v[92:95], v252 offset0:21 offset1:22
	s_lshl_b32 s12, s13, 6
	v_fma_f64 v[72:73], -v[18:19], v[146:147], v[72:73]
	s_or_b32 s14, s6, 19
	v_fma_f64 v[66:67], -v[42:43], v[152:153], v[66:67]
	s_add_i32 s12, s6, s12
	v_fma_f64 v[72:73], -v[36:37], v[128:129], v[72:73]
	v_fma_f64 v[66:67], -v[48:49], v[78:79], v[66:67]
	s_mul_i32 s13, s14, 0x208
	s_lshl_b32 s12, s12, 3
	v_fma_f64 v[72:73], -v[38:39], v[204:205], v[72:73]
	s_waitcnt lgkmcnt(1)
	v_fma_f64 v[66:67], -v[50:51], v[206:207], v[66:67]
	v_mov_b32_e32 v76, s13
	v_mov_b32_e32 v97, s12
	v_fma_f64 v[72:73], -v[40:41], v[182:183], v[72:73]
	v_fma_f64 v[66:67], -v[56:57], v[150:151], v[66:67]
	ds_read2_b64 v[76:79], v76 offset1:1
	ds_read_b128 v[148:151], v97 offset:160
	v_fma_f64 v[72:73], -v[42:43], v[154:155], v[72:73]
	v_fma_f64 v[72:73], -v[48:49], v[186:187], v[72:73]
	;; [unrolled: 1-line block ×3, first 2 shown]
	v_mul_f64 v[64:65], v[190:191], v[64:65]
	v_fma_f64 v[66:67], -v[58:59], v[178:179], v[66:67]
	s_or_b32 s12, s6, 20
	v_fma_f64 v[72:73], -v[56:57], v[140:141], v[72:73]
	v_fma_f64 v[66:67], -v[64:65], v[192:193], v[66:67]
	;; [unrolled: 1-line block ×3, first 2 shown]
	s_lshl_b32 s13, s14, 6
	s_mul_i32 s14, s12, 0x208
	s_waitcnt lgkmcnt(1)
	v_mul_f64 v[66:67], v[76:77], v[66:67]
	s_waitcnt lgkmcnt(0)
	v_fma_f64 v[72:73], -v[64:65], v[148:149], v[72:73]
	v_mov_b32_e32 v76, s14
	ds_read2_b64 v[168:171], v125 offset0:21 offset1:22
	ds_read_b128 v[118:121], v76
	v_fma_f64 v[72:73], -v[66:67], v[78:79], v[72:73]
	ds_read_b128 v[76:79], v97 offset:240
	ds_read2_b64 v[132:135], v122 offset0:85 offset1:86
	s_add_i32 s15, s8, 0xaa8
	v_fma_f64 v[74:75], -v[0:1], v[162:163], v[74:75]
	v_mov_b32_e32 v84, s15
	s_add_i32 s15, s8, 0xca8
	ds_read2_b64 v[144:147], v122 offset0:87 offset1:88
	s_waitcnt lgkmcnt(1)
	v_fma_f64 v[74:75], -v[2:3], v[132:133], v[74:75]
	v_mov_b32_e32 v85, s15
	ds_read2_b64 v[152:155], v84 offset1:1
	ds_read2_b64 v[156:159], v85 offset1:1
	v_fma_f64 v[74:75], -v[4:5], v[86:87], v[74:75]
	v_fma_f64 v[74:75], -v[6:7], v[194:195], v[74:75]
	;; [unrolled: 1-line block ×3, first 2 shown]
	s_add_i32 s15, s8, 0x10a8
	s_waitcnt lgkmcnt(1)
	v_fma_f64 v[74:75], -v[14:15], v[152:153], v[74:75]
	v_mov_b32_e32 v84, s15
	s_waitcnt lgkmcnt(0)
	v_fma_f64 v[74:75], -v[8:9], v[156:157], v[74:75]
	ds_read2_b64 v[84:87], v84 offset1:1
	ds_read2_b64 v[176:179], v96 offset0:21 offset1:22
	v_fma_f64 v[74:75], -v[10:11], v[138:139], v[74:75]
	ds_read2_b64 v[136:139], v123 offset0:21 offset1:22
	ds_read2_b64 v[164:167], v123 offset0:23 offset1:24
	s_waitcnt lgkmcnt(3)
	v_fma_f64 v[74:75], -v[16:17], v[84:85], v[74:75]
	ds_read2_b64 v[172:175], v126 offset0:21 offset1:22
	s_add_i32 s13, s6, s13
	s_waitcnt lgkmcnt(2)
	v_fma_f64 v[74:75], -v[18:19], v[136:137], v[74:75]
	v_fma_f64 v[74:75], -v[36:37], v[130:131], v[74:75]
	ds_read2_b64 v[128:131], v126 offset0:23 offset1:24
	v_fma_f64 v[74:75], -v[38:39], v[168:169], v[74:75]
	v_fma_f64 v[74:75], -v[40:41], v[184:185], v[74:75]
	s_waitcnt lgkmcnt(1)
	v_fma_f64 v[74:75], -v[42:43], v[172:173], v[74:75]
	v_fma_f64 v[74:75], -v[48:49], v[188:189], v[74:75]
	s_lshl_b32 s13, s13, 3
	s_or_b32 s14, s6, 21
	v_fma_f64 v[74:75], -v[50:51], v[92:93], v[74:75]
	v_mov_b32_e32 v253, s13
	v_fma_f64 v[74:75], -v[56:57], v[142:143], v[74:75]
	s_mul_i32 s13, s14, 0x208
	v_fma_f64 v[74:75], -v[58:59], v[176:177], v[74:75]
	v_mov_b32_e32 v84, s13
	v_mul_f64 v[72:73], v[118:119], v[72:73]
	ds_read2_b64 v[160:163], v253 offset0:21 offset1:22
	ds_read2_b64 v[140:143], v96 offset0:23 offset1:24
	v_fma_f64 v[74:75], -v[64:65], v[150:151], v[74:75]
	ds_read2_b64 v[148:151], v84 offset1:1
	ds_read_b64 v[118:119], v253 offset:248
	ds_read_b128 v[180:183], v122 offset:176
	ds_read_b128 v[184:187], v122 offset:192
	ds_read_b128 v[188:191], v122 offset:1200
	s_lshl_b32 s12, s12, 6
	s_add_i32 s12, s6, s12
	s_lshl_b32 s12, s12, 3
	s_waitcnt lgkmcnt(2)
	v_fma_f64 v[80:81], -v[0:1], v[180:181], v[80:81]
	v_fma_f64 v[80:81], -v[2:3], v[134:135], v[80:81]
	ds_read_b128 v[132:135], v122 offset:1216
	ds_read_b128 v[192:195], v122 offset:2224
	s_waitcnt lgkmcnt(2)
	v_fma_f64 v[80:81], -v[4:5], v[188:189], v[80:81]
	v_fma_f64 v[80:81], -v[6:7], v[196:197], v[80:81]
	ds_read_b128 v[196:199], v122 offset:2240
	ds_read_b128 v[200:203], v122 offset:3760
	v_mov_b32_e32 v240, s12
	s_waitcnt lgkmcnt(2)
	v_fma_f64 v[80:81], -v[12:13], v[192:193], v[80:81]
	v_fma_f64 v[80:81], -v[14:15], v[154:155], v[80:81]
	;; [unrolled: 1-line block ×3, first 2 shown]
	ds_read_b128 v[152:155], v122 offset:3776
	ds_read_b128 v[156:159], v124 offset:176
	s_waitcnt lgkmcnt(2)
	v_fma_f64 v[80:81], -v[10:11], v[200:201], v[80:81]
	v_fma_f64 v[80:81], -v[16:17], v[86:87], v[80:81]
	;; [unrolled: 1-line block ×3, first 2 shown]
	ds_read_b128 v[136:139], v124 offset:192
	ds_read_b128 v[204:207], v127 offset:176
	s_waitcnt lgkmcnt(2)
	v_fma_f64 v[80:81], -v[36:37], v[156:157], v[80:81]
	v_fma_f64 v[80:81], -v[38:39], v[170:171], v[80:81]
	ds_read_b128 v[168:171], v127 offset:192
	ds_read_b128 v[208:211], v98 offset:176
	v_fma_f64 v[74:75], -v[66:67], v[160:161], v[74:75]
	s_waitcnt lgkmcnt(2)
	v_fma_f64 v[80:81], -v[40:41], v[204:205], v[80:81]
	v_fma_f64 v[80:81], -v[42:43], v[174:175], v[80:81]
	ds_read_b128 v[172:175], v99 offset:176
	ds_read_b128 v[212:215], v98 offset:192
	s_waitcnt lgkmcnt(2)
	v_fma_f64 v[80:81], -v[48:49], v[208:209], v[80:81]
	v_fma_f64 v[80:81], -v[50:51], v[94:95], v[80:81]
	ds_read_b128 v[216:219], v99 offset:192
	ds_read_b128 v[92:95], v97 offset:176
	;; [unrolled: 5-line block ×3, first 2 shown]
	s_or_b32 s13, s6, 22
	s_waitcnt lgkmcnt(2)
	v_fma_f64 v[80:81], -v[64:65], v[92:93], v[80:81]
	v_fma_f64 v[74:75], -v[72:73], v[120:121], v[74:75]
	;; [unrolled: 1-line block ×3, first 2 shown]
	s_lshl_b32 s12, s14, 6
	s_mul_i32 s14, s13, 0x208
	v_mul_f64 v[74:75], v[148:149], v[74:75]
	s_waitcnt lgkmcnt(1)
	v_fma_f64 v[80:81], -v[72:73], v[176:177], v[80:81]
	v_mov_b32_e32 v84, s14
	ds_read_b128 v[224:227], v84
	v_fma_f64 v[80:81], -v[74:75], v[150:151], v[80:81]
	ds_read2_b64 v[148:151], v122 offset0:215 offset1:216
	v_fma_f64 v[82:83], -v[0:1], v[182:183], v[82:83]
	s_add_i32 s15, s8, 0xab8
	v_fma_f64 v[82:83], -v[2:3], v[144:145], v[82:83]
	v_mov_b32_e32 v92, s15
	s_add_i32 s15, s8, 0xcb8
	ds_read_b128 v[160:163], v240 offset:192
	ds_read_b128 v[84:87], v240 offset:240
	v_fma_f64 v[82:83], -v[4:5], v[190:191], v[82:83]
	v_mov_b32_e32 v93, s15
	ds_read2_b64 v[180:183], v92 offset1:1
	ds_read2_b64 v[188:191], v93 offset1:1
	ds_read2_b64 v[228:231], v122 offset0:217 offset1:218
	s_add_i32 s15, s8, 0x10b8
	s_waitcnt lgkmcnt(5)
	v_fma_f64 v[82:83], -v[6:7], v[148:149], v[82:83]
	v_mov_b32_e32 v92, s15
	s_add_i32 s12, s6, s12
	v_fma_f64 v[82:83], -v[12:13], v[194:195], v[82:83]
	ds_read2_b64 v[192:195], v92 offset1:1
	v_fma_f64 v[88:89], -v[0:1], v[184:185], v[88:89]
	s_lshl_b32 s12, s12, 3
	s_waitcnt lgkmcnt(3)
	v_fma_f64 v[82:83], -v[14:15], v[180:181], v[82:83]
	v_fma_f64 v[88:89], -v[2:3], v[146:147], v[88:89]
	s_waitcnt lgkmcnt(2)
	v_fma_f64 v[82:83], -v[8:9], v[188:189], v[82:83]
	v_mov_b32_e32 v100, s12
	v_fma_f64 v[88:89], -v[4:5], v[132:133], v[88:89]
	v_fma_f64 v[82:83], -v[10:11], v[202:203], v[82:83]
	ds_read2_b64 v[200:203], v100 offset0:23 offset1:24
	ds_read2_b64 v[232:235], v125 offset0:23 offset1:24
	v_fma_f64 v[88:89], -v[6:7], v[150:151], v[88:89]
	v_fma_f64 v[88:89], -v[12:13], v[196:197], v[88:89]
	s_waitcnt lgkmcnt(2)
	v_fma_f64 v[82:83], -v[16:17], v[192:193], v[82:83]
	v_fma_f64 v[88:89], -v[14:15], v[182:183], v[88:89]
	;; [unrolled: 1-line block ×5, first 2 shown]
	ds_read2_b64 v[236:239], v252 offset0:23 offset1:24
	v_fma_f64 v[88:89], -v[10:11], v[152:153], v[88:89]
	s_waitcnt lgkmcnt(1)
	v_fma_f64 v[82:83], -v[38:39], v[232:233], v[82:83]
	v_fma_f64 v[88:89], -v[16:17], v[194:195], v[88:89]
	;; [unrolled: 1-line block ×3, first 2 shown]
	ds_read2_b64 v[204:207], v252 offset0:25 offset1:26
	v_fma_f64 v[88:89], -v[18:19], v[166:167], v[88:89]
	v_fma_f64 v[82:83], -v[42:43], v[128:129], v[82:83]
	;; [unrolled: 1-line block ×4, first 2 shown]
	ds_read2_b64 v[208:211], v253 offset0:23 offset1:24
	v_fma_f64 v[88:89], -v[38:39], v[234:235], v[88:89]
	s_waitcnt lgkmcnt(2)
	v_fma_f64 v[82:83], -v[50:51], v[236:237], v[82:83]
	v_fma_f64 v[88:89], -v[40:41], v[168:169], v[88:89]
	v_fma_f64 v[82:83], -v[56:57], v[174:175], v[82:83]
	ds_read2_b64 v[172:175], v253 offset0:25 offset1:26
	s_lshl_b32 s12, s13, 6
	v_fma_f64 v[88:89], -v[42:43], v[130:131], v[88:89]
	s_or_b32 s14, s6, 23
	v_fma_f64 v[82:83], -v[58:59], v[140:141], v[82:83]
	s_add_i32 s12, s6, s12
	v_fma_f64 v[88:89], -v[48:49], v[212:213], v[88:89]
	v_fma_f64 v[82:83], -v[64:65], v[94:95], v[82:83]
	s_mul_i32 s13, s14, 0x208
	s_lshl_b32 s12, s12, 3
	v_fma_f64 v[88:89], -v[50:51], v[238:239], v[88:89]
	s_waitcnt lgkmcnt(1)
	v_fma_f64 v[82:83], -v[66:67], v[208:209], v[82:83]
	v_mov_b32_e32 v92, s13
	v_mov_b32_e32 v101, s12
	v_fma_f64 v[88:89], -v[56:57], v[216:217], v[88:89]
	v_fma_f64 v[82:83], -v[72:73], v[178:179], v[82:83]
	ds_read2_b64 v[92:95], v92 offset1:1
	ds_read_b128 v[176:179], v101 offset:192
	v_fma_f64 v[88:89], -v[58:59], v[142:143], v[88:89]
	v_fma_f64 v[88:89], -v[64:65], v[220:221], v[88:89]
	;; [unrolled: 1-line block ×3, first 2 shown]
	v_mul_f64 v[80:81], v[224:225], v[80:81]
	v_fma_f64 v[82:83], -v[74:75], v[200:201], v[82:83]
	s_or_b32 s12, s6, 24
	v_fma_f64 v[88:89], -v[72:73], v[160:161], v[88:89]
	v_fma_f64 v[82:83], -v[80:81], v[226:227], v[82:83]
	;; [unrolled: 1-line block ×3, first 2 shown]
	s_lshl_b32 s13, s14, 6
	s_mul_i32 s14, s12, 0x208
	s_waitcnt lgkmcnt(1)
	v_mul_f64 v[82:83], v[92:93], v[82:83]
	s_waitcnt lgkmcnt(0)
	v_fma_f64 v[88:89], -v[80:81], v[176:177], v[88:89]
	v_mov_b32_e32 v92, s14
	ds_read2_b64 v[156:159], v125 offset0:25 offset1:26
	ds_read_b128 v[128:131], v92
	v_fma_f64 v[88:89], -v[82:83], v[94:95], v[88:89]
	ds_read_b128 v[92:95], v101 offset:240
	ds_read2_b64 v[140:143], v122 offset0:89 offset1:90
	s_add_i32 s15, s8, 0xac8
	v_fma_f64 v[90:91], -v[0:1], v[186:187], v[90:91]
	v_mov_b32_e32 v120, s15
	s_add_i32 s15, s8, 0xcc8
	ds_read2_b64 v[144:147], v122 offset0:91 offset1:92
	s_waitcnt lgkmcnt(1)
	v_fma_f64 v[90:91], -v[2:3], v[140:141], v[90:91]
	v_mov_b32_e32 v121, s15
	ds_read2_b64 v[148:151], v120 offset1:1
	ds_read2_b64 v[164:167], v121 offset1:1
	v_fma_f64 v[90:91], -v[4:5], v[134:135], v[90:91]
	v_fma_f64 v[90:91], -v[6:7], v[228:229], v[90:91]
	;; [unrolled: 1-line block ×3, first 2 shown]
	s_add_i32 s15, s8, 0x10c8
	s_waitcnt lgkmcnt(1)
	v_fma_f64 v[90:91], -v[14:15], v[148:149], v[90:91]
	v_mov_b32_e32 v120, s15
	s_waitcnt lgkmcnt(0)
	v_fma_f64 v[90:91], -v[8:9], v[164:165], v[90:91]
	ds_read2_b64 v[132:135], v120 offset1:1
	v_fma_f64 v[90:91], -v[10:11], v[154:155], v[90:91]
	ds_read2_b64 v[152:155], v123 offset0:25 offset1:26
	ds_read2_b64 v[188:191], v126 offset0:25 offset1:26
	s_add_i32 s13, s6, s13
	s_waitcnt lgkmcnt(2)
	v_fma_f64 v[90:91], -v[16:17], v[132:133], v[90:91]
	s_lshl_b32 s13, s13, 3
	s_waitcnt lgkmcnt(1)
	v_fma_f64 v[90:91], -v[18:19], v[152:153], v[90:91]
	v_fma_f64 v[90:91], -v[36:37], v[138:139], v[90:91]
	ds_read2_b64 v[136:139], v126 offset0:27 offset1:28
	v_fma_f64 v[90:91], -v[38:39], v[156:157], v[90:91]
	v_fma_f64 v[90:91], -v[40:41], v[170:171], v[90:91]
	ds_read2_b64 v[168:171], v96 offset0:25 offset1:26
	ds_read2_b64 v[192:195], v96 offset0:27 offset1:28
	s_waitcnt lgkmcnt(3)
	v_fma_f64 v[90:91], -v[42:43], v[188:189], v[90:91]
	v_fma_f64 v[90:91], -v[48:49], v[214:215], v[90:91]
	;; [unrolled: 1-line block ×4, first 2 shown]
	ds_read2_b64 v[196:199], v100 offset0:25 offset1:26
	v_mov_b32_e32 v254, s13
	s_waitcnt lgkmcnt(2)
	v_fma_f64 v[90:91], -v[58:59], v[168:169], v[90:91]
	ds_read2_b64 v[180:183], v254 offset0:25 offset1:26
	v_fma_f64 v[90:91], -v[64:65], v[222:223], v[90:91]
	v_fma_f64 v[90:91], -v[66:67], v[172:173], v[90:91]
	v_fma_f64 v[90:91], -v[72:73], v[162:163], v[90:91]
	ds_read2_b64 v[160:163], v100 offset0:27 offset1:28
	s_or_b32 s14, s6, 25
	s_waitcnt lgkmcnt(2)
	v_fma_f64 v[90:91], -v[74:75], v[196:197], v[90:91]
	v_fma_f64 v[90:91], -v[80:81], v[178:179], v[90:91]
	s_mul_i32 s13, s14, 0x208
	v_mul_f64 v[88:89], v[128:129], v[88:89]
	s_waitcnt lgkmcnt(1)
	v_fma_f64 v[90:91], -v[82:83], v[180:181], v[90:91]
	v_mov_b32_e32 v120, s13
	ds_read2_b64 v[184:187], v123 offset0:27 offset1:28
	ds_read2_b64 v[176:179], v120 offset1:1
	v_fma_f64 v[90:91], -v[88:89], v[130:131], v[90:91]
	ds_read_b128 v[128:131], v122 offset:208
	ds_read_b64 v[120:121], v254 offset:248
	ds_read_b128 v[200:203], v122 offset:224
	ds_read_b128 v[208:211], v122 offset:1232
	s_lshl_b32 s12, s12, 6
	s_add_i32 s12, s6, s12
	s_waitcnt lgkmcnt(3)
	v_fma_f64 v[112:113], -v[0:1], v[128:129], v[112:113]
	v_fma_f64 v[112:113], -v[2:3], v[142:143], v[112:113]
	ds_read_b128 v[140:143], v122 offset:1248
	ds_read_b128 v[212:215], v122 offset:2256
	s_waitcnt lgkmcnt(2)
	v_fma_f64 v[112:113], -v[4:5], v[208:209], v[112:113]
	v_fma_f64 v[112:113], -v[6:7], v[230:231], v[112:113]
	ds_read_b128 v[216:219], v122 offset:2272
	ds_read_b128 v[220:223], v122 offset:3792
	s_lshl_b32 s12, s12, 3
	s_waitcnt lgkmcnt(2)
	v_fma_f64 v[112:113], -v[12:13], v[212:213], v[112:113]
	v_fma_f64 v[112:113], -v[14:15], v[150:151], v[112:113]
	;; [unrolled: 1-line block ×3, first 2 shown]
	ds_read_b128 v[148:151], v122 offset:3808
	ds_read_b128 v[164:167], v124 offset:208
	s_waitcnt lgkmcnt(2)
	v_fma_f64 v[112:113], -v[10:11], v[220:221], v[112:113]
	v_fma_f64 v[112:113], -v[16:17], v[134:135], v[112:113]
	;; [unrolled: 1-line block ×3, first 2 shown]
	ds_read_b128 v[132:135], v124 offset:224
	ds_read_b128 v[152:155], v127 offset:208
	s_waitcnt lgkmcnt(2)
	v_fma_f64 v[112:113], -v[36:37], v[164:165], v[112:113]
	v_fma_f64 v[112:113], -v[38:39], v[158:159], v[112:113]
	ds_read_b128 v[156:159], v127 offset:224
	ds_read_b128 v[224:227], v98 offset:208
	v_mul_f64 v[90:91], v[176:177], v[90:91]
	s_waitcnt lgkmcnt(2)
	v_fma_f64 v[112:113], -v[40:41], v[152:153], v[112:113]
	v_fma_f64 v[112:113], -v[42:43], v[190:191], v[112:113]
	ds_read_b128 v[188:191], v98 offset:224
	ds_read_b128 v[228:231], v99 offset:208
	s_waitcnt lgkmcnt(2)
	v_fma_f64 v[112:113], -v[48:49], v[224:225], v[112:113]
	v_fma_f64 v[112:113], -v[50:51], v[206:207], v[112:113]
	ds_read_b128 v[204:207], v99 offset:224
	ds_read_b128 v[232:235], v97 offset:208
	v_fma_f64 v[110:111], -v[0:1], v[130:131], v[110:111]
	s_waitcnt lgkmcnt(2)
	v_fma_f64 v[112:113], -v[56:57], v[228:229], v[112:113]
	v_fma_f64 v[112:113], -v[58:59], v[170:171], v[112:113]
	ds_read_b128 v[168:171], v240 offset:208
	ds_read_b128 v[236:239], v97 offset:224
	s_waitcnt lgkmcnt(2)
	v_fma_f64 v[112:113], -v[64:65], v[232:233], v[112:113]
	v_fma_f64 v[112:113], -v[66:67], v[174:175], v[112:113]
	ds_read_b128 v[172:175], v240 offset:224
	ds_read_b128 v[240:243], v101 offset:208
	s_waitcnt lgkmcnt(3)
	v_fma_f64 v[112:113], -v[72:73], v[168:169], v[112:113]
	v_mov_b32_e32 v97, s12
	v_fma_f64 v[112:113], -v[74:75], v[198:199], v[112:113]
	ds_read_b128 v[196:199], v97 offset:208
	ds_read_b128 v[244:247], v101 offset:224
	s_waitcnt lgkmcnt(2)
	v_fma_f64 v[112:113], -v[80:81], v[240:241], v[112:113]
	v_fma_f64 v[112:113], -v[82:83], v[182:183], v[112:113]
	v_fma_f64 v[110:111], -v[2:3], v[144:145], v[110:111]
	s_waitcnt lgkmcnt(1)
	v_fma_f64 v[112:113], -v[88:89], v[196:197], v[112:113]
	v_fma_f64 v[98:99], -v[90:91], v[178:179], v[112:113]
	ds_read2_b64 v[176:179], v122 offset0:219 offset1:220
	s_add_i32 s13, s8, 0xad8
	v_fma_f64 v[128:129], -v[4:5], v[210:211], v[110:111]
	v_mov_b32_e32 v101, s13
	s_add_i32 s13, s8, 0xcd8
	ds_read_b128 v[180:183], v97 offset:224
	s_waitcnt lgkmcnt(1)
	v_fma_f64 v[144:145], -v[6:7], v[176:177], v[128:129]
	ds_read2_b64 v[128:131], v101 offset1:1
	v_mov_b32_e32 v101, s13
	ds_read2_b64 v[110:113], v122 offset0:221 offset1:222
	ds_read2_b64 v[208:211], v101 offset1:1
	s_add_i32 s13, s8, 0x10d8
	v_mov_b32_e32 v101, s13
	v_fma_f64 v[144:145], -v[12:13], v[214:215], v[144:145]
	ds_read2_b64 v[212:215], v101 offset1:1
	s_waitcnt lgkmcnt(3)
	v_fma_f64 v[128:129], -v[14:15], v[128:129], v[144:145]
	s_lshl_b32 s12, s14, 6
	s_waitcnt lgkmcnt(1)
	v_fma_f64 v[128:129], -v[8:9], v[208:209], v[128:129]
	s_add_i32 s12, s6, s12
	v_fma_f64 v[128:129], -v[10:11], v[222:223], v[128:129]
	s_lshl_b32 s12, s12, 3
	s_waitcnt lgkmcnt(0)
	v_fma_f64 v[128:129], -v[16:17], v[212:213], v[128:129]
	v_mov_b32_e32 v101, s12
	v_fma_f64 v[128:129], -v[18:19], v[184:185], v[128:129]
	ds_read2_b64 v[220:223], v101 offset0:27 offset1:28
	v_fma_f64 v[128:129], -v[36:37], v[166:167], v[128:129]
	ds_read2_b64 v[164:167], v125 offset0:27 offset1:28
	ds_read2_b64 v[248:251], v125 offset0:29 offset1:30
	s_or_b32 s12, s6, 26
	s_mul_i32 s13, s12, 0x208
	v_mov_b32_e32 v127, s13
	s_waitcnt lgkmcnt(1)
	v_fma_f64 v[124:125], -v[38:39], v[164:165], v[128:129]
	v_fma_f64 v[124:125], -v[40:41], v[154:155], v[124:125]
	v_fma_f64 v[124:125], -v[42:43], v[136:137], v[124:125]
	v_fma_f64 v[124:125], -v[48:49], v[226:227], v[124:125]
	ds_read2_b64 v[152:155], v252 offset0:27 offset1:28
	ds_read2_b64 v[224:227], v252 offset0:29 offset1:30
	v_accvgpr_read_b32 v185, a5
	s_or_b32 s13, s6, 27
	v_accvgpr_read_b32 v184, a4
	s_waitcnt lgkmcnt(1)
	v_fma_f64 v[124:125], -v[50:51], v[152:153], v[124:125]
	v_fma_f64 v[124:125], -v[56:57], v[230:231], v[124:125]
	;; [unrolled: 1-line block ×4, first 2 shown]
	ds_read2_b64 v[228:231], v253 offset0:27 offset1:28
	ds_read2_b64 v[232:235], v253 offset0:29 offset1:30
	s_mul_i32 s14, s13, 0x208
	v_fma_f64 v[108:109], -v[0:1], v[200:201], v[108:109]
	v_fma_f64 v[108:109], -v[2:3], v[146:147], v[108:109]
	s_waitcnt lgkmcnt(1)
	v_fma_f64 v[124:125], -v[66:67], v[228:229], v[124:125]
	v_fma_f64 v[124:125], -v[72:73], v[170:171], v[124:125]
	;; [unrolled: 1-line block ×4, first 2 shown]
	ds_read2_b64 v[168:171], v254 offset0:27 offset1:28
	ds_read2_b64 v[240:243], v254 offset0:29 offset1:30
	v_fma_f64 v[108:109], -v[4:5], v[140:141], v[108:109]
	v_fma_f64 v[108:109], -v[6:7], v[178:179], v[108:109]
	;; [unrolled: 1-line block ×3, first 2 shown]
	s_waitcnt lgkmcnt(1)
	v_fma_f64 v[124:125], -v[82:83], v[168:169], v[124:125]
	v_fma_f64 v[124:125], -v[88:89], v[198:199], v[124:125]
	ds_read_b128 v[196:199], v127
	ds_read_b128 v[252:255], v97 offset:240
	global_store_dwordx4 v[184:185], v[0:3], off
	global_store_dwordx4 v[184:185], v[4:7], off offset:16
	global_store_dwordx4 v[184:185], v[12:15], off offset:32
	;; [unrolled: 1-line block ×12, first 2 shown]
	v_mov_b32_e32 v97, s14
	ds_read2_b64 v[144:147], v97 offset1:1
	v_fma_f64 v[124:125], -v[90:91], v[220:221], v[124:125]
	s_waitcnt lgkmcnt(2)
	v_mul_f64 v[128:129], v[196:197], v[98:99]
	v_fma_f64 v[98:99], -v[128:129], v[198:199], v[124:125]
	v_fma_f64 v[108:109], -v[14:15], v[130:131], v[108:109]
	s_waitcnt lgkmcnt(0)
	v_mul_f64 v[130:131], v[144:145], v[98:99]
	v_fma_f64 v[98:99], -v[8:9], v[210:211], v[108:109]
	v_fma_f64 v[98:99], -v[10:11], v[148:149], v[98:99]
	;; [unrolled: 1-line block ×11, first 2 shown]
	s_lshl_b32 s12, s12, 6
	v_fma_f64 v[98:99], -v[58:59], v[194:195], v[98:99]
	s_add_i32 s12, s6, s12
	v_fma_f64 v[98:99], -v[64:65], v[236:237], v[98:99]
	s_lshl_b32 s12, s12, 3
	v_fma_f64 v[98:99], -v[66:67], v[230:231], v[98:99]
	v_mov_b32_e32 v97, s12
	s_or_b32 s12, s6, 28
	v_fma_f64 v[98:99], -v[72:73], v[172:173], v[98:99]
	ds_read_b128 v[176:179], v97 offset:224
	v_fma_f64 v[98:99], -v[74:75], v[162:163], v[98:99]
	s_mul_i32 s14, s12, 0x208
	v_fma_f64 v[98:99], -v[80:81], v[244:245], v[98:99]
	v_mov_b32_e32 v108, s14
	ds_read_b128 v[136:139], v108
	v_fma_f64 v[98:99], -v[82:83], v[170:171], v[98:99]
	v_fma_f64 v[98:99], -v[88:89], v[180:181], v[98:99]
	;; [unrolled: 1-line block ×3, first 2 shown]
	s_waitcnt lgkmcnt(1)
	v_fma_f64 v[98:99], -v[128:129], v[176:177], v[98:99]
	v_fma_f64 v[98:99], -v[130:131], v[146:147], v[98:99]
	s_add_i32 s15, s8, 0xae8
	global_store_dwordx4 v[184:185], v[128:131], off offset:208
	ds_read_b128 v[144:147], v97 offset:240
	s_waitcnt lgkmcnt(1)
	v_mul_f64 v[108:109], v[136:137], v[98:99]
	v_fma_f64 v[98:99], -v[0:1], v[202:203], v[106:107]
	v_mov_b32_e32 v97, s15
	s_add_i32 s15, s8, 0xce8
	v_fma_f64 v[24:25], -v[2:3], v[24:25], v[98:99]
	v_mov_b32_e32 v98, s15
	ds_read2_b64 v[152:155], v97 offset1:1
	ds_read2_b64 v[160:163], v98 offset1:1
	v_fma_f64 v[24:25], -v[4:5], v[142:143], v[24:25]
	v_fma_f64 v[24:25], -v[6:7], v[110:111], v[24:25]
	v_fma_f64 v[24:25], -v[12:13], v[218:219], v[24:25]
	s_addk_i32 s8, 0x10e8
	s_waitcnt lgkmcnt(1)
	v_fma_f64 v[24:25], -v[14:15], v[152:153], v[24:25]
	v_mov_b32_e32 v97, s8
	s_waitcnt lgkmcnt(0)
	v_fma_f64 v[24:25], -v[8:9], v[160:161], v[24:25]
	ds_read2_b64 v[140:143], v97 offset1:1
	ds_read_b64 v[152:153], v101 offset:248
	v_fma_f64 v[24:25], -v[10:11], v[150:151], v[24:25]
	ds_read2_b64 v[148:151], v123 offset0:29 offset1:30
	ds_read_b64 v[98:99], v123 offset:248
	s_waitcnt lgkmcnt(3)
	v_fma_f64 v[24:25], -v[16:17], v[140:141], v[24:25]
	ds_read2_b64 v[168:171], v126 offset0:29 offset1:30
	ds_read_b64 v[136:137], v126 offset:248
	s_waitcnt lgkmcnt(3)
	v_fma_f64 v[24:25], -v[18:19], v[148:149], v[24:25]
	v_fma_f64 v[24:25], -v[36:37], v[134:135], v[24:25]
	v_fma_f64 v[24:25], -v[38:39], v[248:249], v[24:25]
	v_fma_f64 v[24:25], -v[40:41], v[158:159], v[24:25]
	ds_read2_b64 v[124:127], v96 offset0:29 offset1:30
	ds_read_b64 v[140:141], v96 offset:248
	s_waitcnt lgkmcnt(3)
	v_fma_f64 v[24:25], -v[42:43], v[168:169], v[24:25]
	v_fma_f64 v[24:25], -v[48:49], v[190:191], v[24:25]
	;; [unrolled: 1-line block ×4, first 2 shown]
	ds_read2_b64 v[132:135], v100 offset0:29 offset1:30
	ds_read2_b64 v[156:159], v101 offset0:29 offset1:30
	s_waitcnt lgkmcnt(3)
	v_fma_f64 v[24:25], -v[58:59], v[124:125], v[24:25]
	s_lshl_b32 s13, s13, 6
	v_fma_f64 v[24:25], -v[64:65], v[238:239], v[24:25]
	s_add_i32 s13, s6, s13
	v_fma_f64 v[24:25], -v[66:67], v[232:233], v[24:25]
	s_lshl_b32 s13, s13, 3
	v_fma_f64 v[24:25], -v[72:73], v[174:175], v[24:25]
	s_or_b32 s14, s6, 29
	v_mov_b32_e32 v97, s13
	s_waitcnt lgkmcnt(1)
	v_fma_f64 v[24:25], -v[74:75], v[132:133], v[24:25]
	ds_read2_b64 v[164:167], v97 offset0:29 offset1:30
	v_fma_f64 v[24:25], -v[80:81], v[246:247], v[24:25]
	s_lshl_b32 s8, s12, 6
	s_mul_i32 s12, s14, 0x208
	v_fma_f64 v[24:25], -v[82:83], v[240:241], v[24:25]
	v_mov_b32_e32 v96, s12
	ds_read2_b64 v[172:175], v96 offset1:1
	v_fma_f64 v[24:25], -v[88:89], v[182:183], v[24:25]
	s_waitcnt lgkmcnt(2)
	v_fma_f64 v[24:25], -v[90:91], v[156:157], v[24:25]
	v_fma_f64 v[24:25], -v[128:129], v[178:179], v[24:25]
	s_waitcnt lgkmcnt(1)
	v_fma_f64 v[24:25], -v[130:131], v[164:165], v[24:25]
	v_fma_f64 v[24:25], -v[108:109], v[138:139], v[24:25]
	s_waitcnt lgkmcnt(0)
	v_mul_f64 v[110:111], v[172:173], v[24:25]
	v_fma_f64 v[24:25], -v[0:1], v[28:29], v[104:105]
	v_fma_f64 v[24:25], -v[2:3], v[26:27], v[24:25]
	;; [unrolled: 1-line block ×3, first 2 shown]
	ds_read_b128 v[24:27], v122 offset:3824
	v_fma_f64 v[20:21], -v[6:7], v[112:113], v[20:21]
	v_fma_f64 v[20:21], -v[12:13], v[32:33], v[20:21]
	ds_read_b64 v[32:33], v122 offset:4344
	v_fma_f64 v[20:21], -v[14:15], v[154:155], v[20:21]
	v_fma_f64 v[20:21], -v[8:9], v[162:163], v[20:21]
	s_waitcnt lgkmcnt(1)
	v_fma_f64 v[20:21], -v[10:11], v[24:25], v[20:21]
	v_fma_f64 v[20:21], -v[16:17], v[142:143], v[20:21]
	v_fma_f64 v[20:21], -v[18:19], v[150:151], v[20:21]
	v_fma_f64 v[20:21], -v[36:37], v[44:45], v[20:21]
	v_fma_f64 v[20:21], -v[38:39], v[250:251], v[20:21]
	v_fma_f64 v[20:21], -v[40:41], v[52:53], v[20:21]
	v_fma_f64 v[20:21], -v[42:43], v[170:171], v[20:21]
	v_fma_f64 v[20:21], -v[48:49], v[60:61], v[20:21]
	v_fma_f64 v[20:21], -v[50:51], v[226:227], v[20:21]
	v_fma_f64 v[20:21], -v[56:57], v[68:69], v[20:21]
	v_fma_f64 v[20:21], -v[58:59], v[126:127], v[20:21]
	v_fma_f64 v[20:21], -v[64:65], v[76:77], v[20:21]
	v_fma_f64 v[20:21], -v[66:67], v[234:235], v[20:21]
	s_add_i32 s8, s6, s8
	v_fma_f64 v[20:21], -v[72:73], v[84:85], v[20:21]
	s_lshl_b32 s8, s8, 3
	s_or_b32 s12, s6, 30
	v_fma_f64 v[20:21], -v[74:75], v[134:135], v[20:21]
	ds_read2_b64 v[132:135], v122 offset0:95 offset1:223
	v_mov_b32_e32 v24, s8
	s_mul_i32 s8, s12, 0x208
	ds_read_b64 v[148:149], v100 offset:248
	ds_read_b128 v[104:107], v24 offset:240
	v_mov_b32_e32 v24, s8
	ds_read_b64 v[138:139], v97 offset:248
	ds_read_b128 v[124:127], v24
	v_add_u32_e32 v24, 0xf8, v122
	v_fma_f64 v[0:1], -v[0:1], v[30:31], v[102:103]
	ds_read2st64_b64 v[28:31], v24 offset0:5 offset1:6
	s_waitcnt lgkmcnt(5)
	v_fma_f64 v[0:1], -v[2:3], v[132:133], v[0:1]
	v_fma_f64 v[0:1], -v[4:5], v[22:23], v[0:1]
	;; [unrolled: 1-line block ×4, first 2 shown]
	s_waitcnt lgkmcnt(0)
	v_fma_f64 v[0:1], -v[14:15], v[28:29], v[0:1]
	v_fma_f64 v[0:1], -v[8:9], v[30:31], v[0:1]
	;; [unrolled: 1-line block ×15, first 2 shown]
	s_lshl_b32 s8, s14, 6
	v_fma_f64 v[0:1], -v[72:73], v[86:87], v[0:1]
	v_fma_f64 v[20:21], -v[80:81], v[92:93], v[20:21]
	s_add_i32 s8, s6, s8
	v_fma_f64 v[0:1], -v[74:75], v[148:149], v[0:1]
	v_fma_f64 v[20:21], -v[82:83], v[242:243], v[20:21]
	s_lshl_b32 s8, s8, 3
	v_fma_f64 v[0:1], -v[80:81], v[94:95], v[0:1]
	v_fma_f64 v[20:21], -v[88:89], v[252:253], v[20:21]
	s_or_b32 s12, s6, 31
	v_fma_f64 v[0:1], -v[82:83], v[120:121], v[0:1]
	v_mov_b32_e32 v2, s8
	v_fma_f64 v[20:21], -v[90:91], v[158:159], v[20:21]
	v_fma_f64 v[0:1], -v[88:89], v[254:255], v[0:1]
	s_mul_i32 s8, s12, 0x208
	ds_read_b64 v[2:3], v2 offset:248
	v_fma_f64 v[20:21], -v[128:129], v[144:145], v[20:21]
	v_fma_f64 v[0:1], -v[90:91], v[152:153], v[0:1]
	v_mov_b32_e32 v4, s8
	ds_read_b64 v[4:5], v4
	v_fma_f64 v[20:21], -v[130:131], v[166:167], v[20:21]
	v_fma_f64 v[0:1], -v[128:129], v[146:147], v[0:1]
	v_fma_f64 v[20:21], -v[108:109], v[104:105], v[20:21]
	v_fma_f64 v[0:1], -v[130:131], v[138:139], v[0:1]
	v_fma_f64 v[20:21], -v[110:111], v[174:175], v[20:21]
	v_fma_f64 v[0:1], -v[108:109], v[106:107], v[0:1]
	v_mul_f64 v[20:21], v[124:125], v[20:21]
	s_waitcnt lgkmcnt(1)
	v_fma_f64 v[0:1], -v[110:111], v[2:3], v[0:1]
	v_fma_f64 v[0:1], -v[20:21], v[126:127], v[0:1]
	s_add_i32 s8, s6, 32
	s_add_i32 s6, s6, 63
	s_addk_i32 s9, 0x100
	s_waitcnt lgkmcnt(0)
	v_mul_f64 v[22:23], v[4:5], v[0:1]
	s_cmp_lt_i32 s6, s33
	global_store_dwordx4 v[184:185], v[108:111], off offset:224
	global_store_dwordx4 v[184:185], v[20:23], off offset:240
	s_cbranch_scc0 .LBB110_53
; %bb.52:                               ;   in Loop: Header=BB110_48 Depth=1
	v_accvgpr_read_b32 v99, a1
	s_mov_b32 s6, s8
	v_accvgpr_read_b32 v98, a0
	s_branch .LBB110_48
.LBB110_53:
	v_accvgpr_read_b32 v99, a1
	v_accvgpr_read_b32 v57, a3
	;; [unrolled: 1-line block ×4, first 2 shown]
.LBB110_54:
	s_cmp_lt_i32 s8, s33
	s_cbranch_scc0 .LBB110_79
; %bb.55:
	s_add_i32 s6, s8, 3
	s_cmp_ge_i32 s6, s33
	s_cbranch_scc1 .LBB110_67
; %bb.56:
	s_add_i32 s12, s8, -1
	s_lshl_b32 s13, s8, 3
	s_and_b32 s14, s8, -4
	s_add_u32 s6, s10, s4
	s_addc_u32 s7, s11, s5
	s_add_u32 s6, s6, s2
	s_addc_u32 s7, s7, s3
	v_mov_b32_e32 v0, s7
	v_add_co_u32_e32 v14, vcc, s6, v56
	v_addc_co_u32_e32 v15, vcc, v0, v57, vcc
	v_add_co_u32_e32 v0, vcc, 16, v14
	v_addc_co_u32_e32 v1, vcc, 0, v15, vcc
	s_and_b32 s15, s8, 3
	s_mov_b32 s7, 0
	s_mov_b32 s16, 0
.LBB110_57:                             ; =>This Loop Header: Depth=1
                                        ;     Child Loop BB110_60 Depth 2
                                        ;     Child Loop BB110_64 Depth 2
	s_ashr_i32 s9, s8, 31
	s_lshl_b64 s[18:19], s[8:9], 3
	v_mov_b32_e32 v3, s19
	v_add_co_u32_e32 v2, vcc, s18, v98
	v_addc_co_u32_e32 v3, vcc, v99, v3, vcc
	global_load_dwordx4 v[4:7], v[2:3], off
	global_load_dwordx4 v[16:19], v[2:3], off offset:16
	s_cmp_eq_u32 s8, 0
	s_waitcnt vmcnt(1)
	v_mul_f64 v[10:11], v[4:5], s[0:1]
	v_mul_f64 v[8:9], v[6:7], s[0:1]
	s_waitcnt vmcnt(0)
	v_mul_f64 v[6:7], v[16:17], s[0:1]
	v_mul_f64 v[4:5], v[18:19], s[0:1]
	s_cbranch_scc1 .LBB110_65
; %bb.58:                               ;   in Loop: Header=BB110_57 Depth=1
	s_lshl_b32 s6, s16, 2
	s_add_i32 s6, s12, s6
	s_cmp_lt_u32 s6, 3
	s_cbranch_scc1 .LBB110_62
; %bb.59:                               ;   in Loop: Header=BB110_57 Depth=1
	s_mov_b32 s6, 0
	v_pk_mov_b32 v[12:13], v[0:1], v[0:1] op_sel:[0,1]
	s_mov_b32 s9, s13
.LBB110_60:                             ;   Parent Loop BB110_57 Depth=1
                                        ; =>  This Inner Loop Header: Depth=2
	global_load_dwordx4 v[16:19], v[12:13], off offset:-16
	global_load_dwordx4 v[20:23], v[12:13], off
	v_mov_b32_e32 v52, s9
	ds_read2_b64 v[24:27], v52 offset1:1
	ds_read2_b64 v[28:31], v52 offset0:2 offset1:3
	ds_read2_b64 v[32:35], v52 offset0:64 offset1:65
	;; [unrolled: 1-line block ×7, first 2 shown]
	s_add_i32 s6, s6, 4
	s_addk_i32 s9, 0x800
	v_add_co_u32_e32 v12, vcc, 32, v12
	v_addc_co_u32_e32 v13, vcc, 0, v13, vcc
	s_cmp_lg_u32 s14, s6
	s_waitcnt vmcnt(1) lgkmcnt(7)
	v_fma_f64 v[10:11], -v[16:17], v[24:25], v[10:11]
	v_fma_f64 v[8:9], -v[16:17], v[26:27], v[8:9]
	s_waitcnt lgkmcnt(6)
	v_fma_f64 v[6:7], -v[16:17], v[28:29], v[6:7]
	v_fma_f64 v[4:5], -v[16:17], v[30:31], v[4:5]
	s_waitcnt lgkmcnt(5)
	;; [unrolled: 3-line block ×3, first 2 shown]
	v_fma_f64 v[6:7], -v[18:19], v[36:37], v[6:7]
	v_fma_f64 v[4:5], -v[18:19], v[38:39], v[4:5]
	s_waitcnt vmcnt(0) lgkmcnt(3)
	v_fma_f64 v[10:11], -v[20:21], v[40:41], v[10:11]
	v_fma_f64 v[8:9], -v[20:21], v[42:43], v[8:9]
	s_waitcnt lgkmcnt(2)
	v_fma_f64 v[6:7], -v[20:21], v[44:45], v[6:7]
	v_fma_f64 v[4:5], -v[20:21], v[46:47], v[4:5]
	s_waitcnt lgkmcnt(1)
	;; [unrolled: 3-line block ×3, first 2 shown]
	v_fma_f64 v[6:7], -v[22:23], v[52:53], v[6:7]
	v_fma_f64 v[4:5], -v[22:23], v[54:55], v[4:5]
	s_cbranch_scc1 .LBB110_60
; %bb.61:                               ;   in Loop: Header=BB110_57 Depth=1
	s_mov_b32 s6, s14
	s_and_b32 s9, s8, 3
	s_cmp_eq_u32 s9, 0
	s_cbranch_scc0 .LBB110_63
	s_branch .LBB110_65
.LBB110_62:                             ;   in Loop: Header=BB110_57 Depth=1
	s_mov_b32 s6, 0
	s_and_b32 s9, s8, 3
	s_cmp_eq_u32 s9, 0
	s_cbranch_scc1 .LBB110_65
.LBB110_63:                             ;   in Loop: Header=BB110_57 Depth=1
	s_lshl_b64 s[18:19], s[6:7], 3
	v_mov_b32_e32 v13, s19
	v_add_co_u32_e32 v12, vcc, s18, v14
	v_addc_co_u32_e32 v13, vcc, v15, v13, vcc
	s_lshl_b32 s6, s6, 9
	s_mov_b32 s9, s15
.LBB110_64:                             ;   Parent Loop BB110_57 Depth=1
                                        ; =>  This Inner Loop Header: Depth=2
	global_load_dwordx2 v[24:25], v[12:13], off
	s_add_i32 s17, s13, s6
	v_mov_b32_e32 v20, s17
	ds_read2_b64 v[16:19], v20 offset1:1
	ds_read2_b64 v[20:23], v20 offset0:2 offset1:3
	s_add_i32 s9, s9, -1
	v_add_co_u32_e32 v12, vcc, 8, v12
	s_addk_i32 s6, 0x200
	v_addc_co_u32_e32 v13, vcc, 0, v13, vcc
	s_cmp_lg_u32 s9, 0
	s_waitcnt vmcnt(0) lgkmcnt(1)
	v_fma_f64 v[10:11], -v[24:25], v[16:17], v[10:11]
	v_fma_f64 v[8:9], -v[24:25], v[18:19], v[8:9]
	s_waitcnt lgkmcnt(0)
	v_fma_f64 v[6:7], -v[24:25], v[20:21], v[6:7]
	v_fma_f64 v[4:5], -v[24:25], v[22:23], v[4:5]
	s_cbranch_scc1 .LBB110_64
.LBB110_65:                             ;   in Loop: Header=BB110_57 Depth=1
	s_mul_i32 s6, s8, 0x208
	v_mov_b32_e32 v32, s6
	ds_read2_b64 v[16:19], v32 offset1:1
	s_lshl_b32 s6, s8, 6
	ds_read2_b64 v[20:23], v32 offset0:65 offset1:66
	ds_read2_b64 v[24:27], v32 offset0:2 offset1:3
	;; [unrolled: 1-line block ×3, first 2 shown]
	s_add_i32 s6, s6, s8
	s_lshl_b32 s6, s6, 3
	s_waitcnt lgkmcnt(3)
	v_mul_f64 v[10:11], v[16:17], v[10:11]
	v_fma_f64 v[8:9], -v[10:11], v[18:19], v[8:9]
	s_waitcnt lgkmcnt(2)
	v_mul_f64 v[12:13], v[20:21], v[8:9]
	v_mov_b32_e32 v8, s6
	ds_read_b64 v[8:9], v8 offset:536
	ds_read_b64 v[16:17], v32 offset:1560
	s_waitcnt lgkmcnt(3)
	v_fma_f64 v[6:7], -v[10:11], v[24:25], v[6:7]
	v_fma_f64 v[6:7], -v[12:13], v[22:23], v[6:7]
	;; [unrolled: 1-line block ×3, first 2 shown]
	s_waitcnt lgkmcnt(2)
	v_mul_f64 v[6:7], v[28:29], v[6:7]
	s_waitcnt lgkmcnt(1)
	v_fma_f64 v[4:5], -v[12:13], v[8:9], v[4:5]
	v_fma_f64 v[4:5], -v[6:7], v[30:31], v[4:5]
	s_add_i32 s6, s8, 4
	s_add_i32 s8, s8, 7
	s_add_i32 s16, s16, 1
	s_add_i32 s13, s13, 32
	s_add_i32 s14, s14, 4
	s_waitcnt lgkmcnt(0)
	v_mul_f64 v[8:9], v[16:17], v[4:5]
	s_cmp_lt_i32 s8, s33
	global_store_dwordx4 v[2:3], v[10:13], off
	global_store_dwordx4 v[2:3], v[6:9], off offset:16
	s_cbranch_scc0 .LBB110_68
; %bb.66:                               ;   in Loop: Header=BB110_57 Depth=1
	s_mov_b32 s8, s6
	s_branch .LBB110_57
.LBB110_67:
	s_mov_b32 s6, s8
.LBB110_68:
	s_cmp_ge_i32 s6, s33
	s_cbranch_scc1 .LBB110_79
; %bb.69:
	s_add_i32 s8, s6, -1
	s_lshl_b32 s9, s6, 3
	s_add_u32 s4, s10, s4
	s_addc_u32 s5, s11, s5
	s_add_u32 s2, s4, s2
	s_addc_u32 s3, s5, s3
	v_mov_b32_e32 v0, s3
	v_add_co_u32_e32 v8, vcc, s2, v56
	v_addc_co_u32_e32 v9, vcc, v0, v57, vcc
	v_add_co_u32_e32 v0, vcc, 56, v8
	v_addc_co_u32_e32 v1, vcc, 0, v9, vcc
	s_mov_b32 s3, 0
	s_mov_b32 s5, s6
	;; [unrolled: 1-line block ×3, first 2 shown]
	s_branch .LBB110_71
.LBB110_70:                             ;   in Loop: Header=BB110_71 Depth=1
	s_mul_i32 s2, s6, 0x208
	v_mov_b32_e32 v6, s2
	ds_read_b64 v[6:7], v6
	s_add_i32 s6, s6, 1
	s_add_i32 s4, s4, 1
	;; [unrolled: 1-line block ×3, first 2 shown]
	v_add_u16_e64 v10, s5, 1
	s_waitcnt lgkmcnt(0)
	v_mul_f64 v[4:5], v[6:7], v[4:5]
	s_cmp_ge_i32 s6, s33
	v_readfirstlane_b32 s5, v10
	global_store_dwordx2 v[2:3], v[4:5], off
	s_cbranch_scc1 .LBB110_79
.LBB110_71:                             ; =>This Loop Header: Depth=1
                                        ;     Child Loop BB110_74 Depth 2
                                        ;     Child Loop BB110_78 Depth 2
	s_ashr_i32 s7, s6, 31
	s_lshl_b64 s[10:11], s[6:7], 3
	v_mov_b32_e32 v3, s11
	v_add_co_u32_e32 v2, vcc, s10, v98
	v_addc_co_u32_e32 v3, vcc, v99, v3, vcc
	global_load_dwordx2 v[4:5], v[2:3], off
	s_cmp_eq_u32 s6, 0
	s_waitcnt vmcnt(0)
	v_mul_f64 v[4:5], v[4:5], s[0:1]
	s_cbranch_scc1 .LBB110_70
; %bb.72:                               ;   in Loop: Header=BB110_71 Depth=1
	s_add_i32 s2, s8, s4
	s_cmp_lt_u32 s2, 7
	s_cbranch_scc1 .LBB110_76
; %bb.73:                               ;   in Loop: Header=BB110_71 Depth=1
	s_and_b32 s2, s6, -8
	s_mov_b32 s7, 0
	v_pk_mov_b32 v[6:7], v[0:1], v[0:1] op_sel:[0,1]
	s_mov_b32 s10, s9
.LBB110_74:                             ;   Parent Loop BB110_71 Depth=1
                                        ; =>  This Inner Loop Header: Depth=2
	global_load_dwordx4 v[10:13], v[6:7], off offset:-56
	global_load_dwordx4 v[14:17], v[6:7], off offset:-40
	;; [unrolled: 1-line block ×4, first 2 shown]
	v_mov_b32_e32 v38, s10
	ds_read2st64_b64 v[26:29], v38 offset1:1
	ds_read2st64_b64 v[30:33], v38 offset0:2 offset1:3
	ds_read2st64_b64 v[34:37], v38 offset0:4 offset1:5
	;; [unrolled: 1-line block ×3, first 2 shown]
	s_add_i32 s7, s7, 8
	s_addk_i32 s10, 0x1000
	v_add_co_u32_e32 v6, vcc, 64, v6
	v_addc_co_u32_e32 v7, vcc, 0, v7, vcc
	s_cmp_lg_u32 s2, s7
	s_waitcnt vmcnt(3) lgkmcnt(3)
	v_fma_f64 v[4:5], -v[10:11], v[26:27], v[4:5]
	v_fma_f64 v[4:5], -v[12:13], v[28:29], v[4:5]
	s_waitcnt vmcnt(2) lgkmcnt(2)
	v_fma_f64 v[4:5], -v[14:15], v[30:31], v[4:5]
	v_fma_f64 v[4:5], -v[16:17], v[32:33], v[4:5]
	;; [unrolled: 3-line block ×4, first 2 shown]
	s_cbranch_scc1 .LBB110_74
; %bb.75:                               ;   in Loop: Header=BB110_71 Depth=1
	s_and_b32 s7, s6, 7
	s_cmp_eq_u32 s7, 0
	s_cbranch_scc0 .LBB110_77
	s_branch .LBB110_70
.LBB110_76:                             ;   in Loop: Header=BB110_71 Depth=1
	s_mov_b32 s2, 0
	s_and_b32 s7, s6, 7
	s_cmp_eq_u32 s7, 0
	s_cbranch_scc1 .LBB110_70
.LBB110_77:                             ;   in Loop: Header=BB110_71 Depth=1
	s_lshl_b64 s[12:13], s[2:3], 3
	v_mov_b32_e32 v7, s13
	v_add_co_u32_e32 v6, vcc, s12, v8
	s_and_b32 s7, s5, 7
	s_lshl_b32 s10, s2, 9
	v_addc_co_u32_e32 v7, vcc, v9, v7, vcc
.LBB110_78:                             ;   Parent Loop BB110_71 Depth=1
                                        ; =>  This Inner Loop Header: Depth=2
	global_load_dwordx2 v[10:11], v[6:7], off
	s_add_i32 s2, s9, s10
	v_mov_b32_e32 v12, s2
	ds_read_b64 v[12:13], v12
	s_addk_i32 s10, 0x200
	v_add_co_u32_e32 v6, vcc, 8, v6
	s_add_i32 s7, s7, -1
	v_addc_co_u32_e32 v7, vcc, 0, v7, vcc
	s_cmp_lg_u32 s7, 0
	s_waitcnt vmcnt(0) lgkmcnt(0)
	v_fma_f64 v[4:5], -v[10:11], v[12:13], v[4:5]
	s_cbranch_scc1 .LBB110_78
	s_branch .LBB110_70
.LBB110_79:
	s_endpgm
	.section	.rodata,"a",@progbits
	.p2align	6, 0x0
	.amdhsa_kernel _ZL30rocblas_trsm_small_left_deviceILi64ELi32ELb1EddPKdPdEv13rocblas_fill_18rocblas_operation_17rocblas_diagonal_iiT3_T4_lilT5_lili
		.amdhsa_group_segment_fixed_size 32768
		.amdhsa_private_segment_fixed_size 0
		.amdhsa_kernarg_size 360
		.amdhsa_user_sgpr_count 6
		.amdhsa_user_sgpr_private_segment_buffer 1
		.amdhsa_user_sgpr_dispatch_ptr 0
		.amdhsa_user_sgpr_queue_ptr 0
		.amdhsa_user_sgpr_kernarg_segment_ptr 1
		.amdhsa_user_sgpr_dispatch_id 0
		.amdhsa_user_sgpr_flat_scratch_init 0
		.amdhsa_user_sgpr_kernarg_preload_length 0
		.amdhsa_user_sgpr_kernarg_preload_offset 0
		.amdhsa_user_sgpr_private_segment_size 0
		.amdhsa_uses_dynamic_stack 0
		.amdhsa_system_sgpr_private_segment_wavefront_offset 0
		.amdhsa_system_sgpr_workgroup_id_x 1
		.amdhsa_system_sgpr_workgroup_id_y 0
		.amdhsa_system_sgpr_workgroup_id_z 1
		.amdhsa_system_sgpr_workgroup_info 0
		.amdhsa_system_vgpr_workitem_id 0
		.amdhsa_next_free_vgpr 262
		.amdhsa_next_free_sgpr 37
		.amdhsa_accum_offset 256
		.amdhsa_reserve_vcc 1
		.amdhsa_reserve_flat_scratch 0
		.amdhsa_float_round_mode_32 0
		.amdhsa_float_round_mode_16_64 0
		.amdhsa_float_denorm_mode_32 3
		.amdhsa_float_denorm_mode_16_64 3
		.amdhsa_dx10_clamp 1
		.amdhsa_ieee_mode 1
		.amdhsa_fp16_overflow 0
		.amdhsa_tg_split 0
		.amdhsa_exception_fp_ieee_invalid_op 0
		.amdhsa_exception_fp_denorm_src 0
		.amdhsa_exception_fp_ieee_div_zero 0
		.amdhsa_exception_fp_ieee_overflow 0
		.amdhsa_exception_fp_ieee_underflow 0
		.amdhsa_exception_fp_ieee_inexact 0
		.amdhsa_exception_int_div_zero 0
	.end_amdhsa_kernel
	.section	.text._ZL30rocblas_trsm_small_left_deviceILi64ELi32ELb1EddPKdPdEv13rocblas_fill_18rocblas_operation_17rocblas_diagonal_iiT3_T4_lilT5_lili,"axG",@progbits,_ZL30rocblas_trsm_small_left_deviceILi64ELi32ELb1EddPKdPdEv13rocblas_fill_18rocblas_operation_17rocblas_diagonal_iiT3_T4_lilT5_lili,comdat
.Lfunc_end110:
	.size	_ZL30rocblas_trsm_small_left_deviceILi64ELi32ELb1EddPKdPdEv13rocblas_fill_18rocblas_operation_17rocblas_diagonal_iiT3_T4_lilT5_lili, .Lfunc_end110-_ZL30rocblas_trsm_small_left_deviceILi64ELi32ELb1EddPKdPdEv13rocblas_fill_18rocblas_operation_17rocblas_diagonal_iiT3_T4_lilT5_lili
                                        ; -- End function
	.section	.AMDGPU.csdata,"",@progbits
; Kernel info:
; codeLenInByte = 25152
; NumSgprs: 41
; NumVgprs: 256
; NumAgprs: 6
; TotalNumVgprs: 262
; ScratchSize: 0
; MemoryBound: 1
; FloatMode: 240
; IeeeMode: 1
; LDSByteSize: 32768 bytes/workgroup (compile time only)
; SGPRBlocks: 5
; VGPRBlocks: 32
; NumSGPRsForWavesPerEU: 41
; NumVGPRsForWavesPerEU: 262
; AccumOffset: 256
; Occupancy: 1
; WaveLimiterHint : 0
; COMPUTE_PGM_RSRC2:SCRATCH_EN: 0
; COMPUTE_PGM_RSRC2:USER_SGPR: 6
; COMPUTE_PGM_RSRC2:TRAP_HANDLER: 0
; COMPUTE_PGM_RSRC2:TGID_X_EN: 1
; COMPUTE_PGM_RSRC2:TGID_Y_EN: 0
; COMPUTE_PGM_RSRC2:TGID_Z_EN: 1
; COMPUTE_PGM_RSRC2:TIDIG_COMP_CNT: 0
; COMPUTE_PGM_RSRC3_GFX90A:ACCUM_OFFSET: 63
; COMPUTE_PGM_RSRC3_GFX90A:TG_SPLIT: 0
	.section	.text._ZL31rocblas_trsm_small_right_deviceIddPKdPdLi64EEv13rocblas_fill_18rocblas_operation_17rocblas_diagonal_iiT0_T1_lilT2_lili,"axG",@progbits,_ZL31rocblas_trsm_small_right_deviceIddPKdPdLi64EEv13rocblas_fill_18rocblas_operation_17rocblas_diagonal_iiT0_T1_lilT2_lili,comdat
	.globl	_ZL31rocblas_trsm_small_right_deviceIddPKdPdLi64EEv13rocblas_fill_18rocblas_operation_17rocblas_diagonal_iiT0_T1_lilT2_lili ; -- Begin function _ZL31rocblas_trsm_small_right_deviceIddPKdPdLi64EEv13rocblas_fill_18rocblas_operation_17rocblas_diagonal_iiT0_T1_lilT2_lili
	.p2align	8
	.type	_ZL31rocblas_trsm_small_right_deviceIddPKdPdLi64EEv13rocblas_fill_18rocblas_operation_17rocblas_diagonal_iiT0_T1_lilT2_lili,@function
_ZL31rocblas_trsm_small_right_deviceIddPKdPdLi64EEv13rocblas_fill_18rocblas_operation_17rocblas_diagonal_iiT0_T1_lilT2_lili: ; @_ZL31rocblas_trsm_small_right_deviceIddPKdPdLi64EEv13rocblas_fill_18rocblas_operation_17rocblas_diagonal_iiT0_T1_lilT2_lili
; %bb.0:
	s_load_dwordx4 s[8:11], s[4:5], 0x0
	s_load_dword s30, s[4:5], 0x10
	s_load_dwordx4 s[12:15], s[4:5], 0x18
	s_load_dwordx2 s[20:21], s[4:5], 0x28
	s_load_dwordx4 s[0:3], s[4:5], 0x38
	s_load_dwordx2 s[16:17], s[4:5], 0x48
	s_waitcnt lgkmcnt(0)
	s_min_i32 s31, s30, 64
	s_mov_b32 s34, 0
	s_add_i32 s33, s31, -1
	v_cmp_gt_i32_e32 vcc, s31, v0
	s_and_saveexec_b64 s[18:19], vcc
	s_cbranch_execz .LBB111_9
; %bb.1:
	s_load_dword s22, s[4:5], 0x30
	s_mul_i32 s1, s7, s1
	s_mul_hi_u32 s24, s7, s0
	s_add_i32 s1, s24, s1
	s_mul_i32 s0, s7, s0
	s_waitcnt lgkmcnt(0)
	s_ashr_i32 s23, s22, 31
	s_cmp_lt_u32 s33, 3
	s_cbranch_scc1 .LBB111_4
; %bb.2:
	s_lshl_b64 s[24:25], s[0:1], 3
	s_add_u32 s26, s14, s24
	s_addc_u32 s27, s15, s25
	s_lshl_b64 s[24:25], s[20:21], 3
	s_add_u32 s24, s26, s24
	s_addc_u32 s25, s27, s25
	v_lshlrev_b32_e32 v1, 3, v0
	v_mov_b32_e32 v3, s25
	v_add_co_u32_e32 v2, vcc, s24, v1
	s_mul_hi_i32 s37, s22, 24
	s_lshl_b64 s[24:25], s[22:23], 5
	s_lshl_b64 s[26:27], s[22:23], 4
	;; [unrolled: 1-line block ×3, first 2 shown]
	v_addc_co_u32_e32 v3, vcc, 0, v3, vcc
	s_and_b32 s34, s31, -4
	s_mul_i32 s35, s22, 24
	s_mov_b32 s36, 0
	v_mov_b32_e32 v4, s29
	v_mov_b32_e32 v5, s27
	;; [unrolled: 1-line block ×4, first 2 shown]
.LBB111_3:                              ; =>This Inner Loop Header: Depth=1
	v_add_co_u32_e32 v10, vcc, s28, v2
	v_addc_co_u32_e32 v11, vcc, v3, v4, vcc
	v_add_co_u32_e32 v12, vcc, s26, v2
	v_addc_co_u32_e32 v13, vcc, v3, v5, vcc
	v_add_co_u32_e32 v14, vcc, s35, v2
	global_load_dwordx2 v[8:9], v[2:3], off
	v_addc_co_u32_e32 v15, vcc, v3, v6, vcc
	global_load_dwordx2 v[16:17], v[10:11], off
	global_load_dwordx2 v[18:19], v[12:13], off
	;; [unrolled: 1-line block ×3, first 2 shown]
	s_add_i32 s36, s36, 4
	v_add_co_u32_e32 v2, vcc, s24, v2
	v_addc_co_u32_e32 v3, vcc, v3, v7, vcc
	s_cmp_eq_u32 s34, s36
	s_waitcnt vmcnt(2)
	ds_write2st64_b64 v1, v[8:9], v[16:17] offset1:1
	s_waitcnt vmcnt(0)
	ds_write2st64_b64 v1, v[18:19], v[20:21] offset0:2 offset1:3
	v_add_u32_e32 v1, 0x800, v1
	s_cbranch_scc0 .LBB111_3
.LBB111_4:
	s_and_b32 s24, s31, 3
	s_cmp_eq_u32 s24, 0
	s_cbranch_scc1 .LBB111_7
; %bb.5:
	s_mul_i32 s25, s23, s34
	s_mul_hi_u32 s26, s22, s34
	s_add_i32 s27, s26, s25
	s_mul_i32 s26, s22, s34
	s_lshl_b64 s[0:1], s[0:1], 3
	s_lshl_b64 s[26:27], s[26:27], 3
	s_add_u32 s25, s0, s26
	s_addc_u32 s26, s1, s27
	s_lshl_b64 s[0:1], s[20:21], 3
	s_add_u32 s0, s25, s0
	s_addc_u32 s1, s26, s1
	s_add_u32 s0, s14, s0
	v_lshlrev_b32_e32 v2, 3, v0
	s_addc_u32 s1, s15, s1
	v_lshl_or_b32 v1, s34, 9, v2
	v_mov_b32_e32 v3, s1
	v_add_co_u32_e32 v2, vcc, s0, v2
	s_lshl_b64 s[0:1], s[22:23], 3
	v_addc_co_u32_e32 v3, vcc, 0, v3, vcc
	v_mov_b32_e32 v4, s1
.LBB111_6:                              ; =>This Inner Loop Header: Depth=1
	global_load_dwordx2 v[6:7], v[2:3], off
	v_add_co_u32_e32 v2, vcc, s0, v2
	s_add_i32 s24, s24, -1
	v_addc_co_u32_e32 v3, vcc, v3, v4, vcc
	s_cmp_lg_u32 s24, 0
	s_waitcnt vmcnt(0)
	ds_write_b64 v1, v[6:7]
	v_add_u32_e32 v1, 0x200, v1
	s_cbranch_scc1 .LBB111_6
.LBB111_7:
	s_cmpk_eq_i32 s10, 0x84
	s_cbranch_scc0 .LBB111_9
; %bb.8:
	v_mul_u32_u24_e32 v1, 0x41, v0
	v_lshlrev_b32_e32 v1, 3, v1
	v_mov_b32_e32 v2, 0
	v_mov_b32_e32 v3, 0x3ff00000
	ds_write_b64 v1, v[2:3]
.LBB111_9:
	s_or_b64 exec, exec, s[18:19]
	s_load_dword s1, s[4:5], 0x68
	s_load_dwordx2 s[14:15], s[4:5], 0x58
	s_load_dword s0, s[4:5], 0x50
	s_mov_b32 s26, 0
	s_waitcnt lgkmcnt(0)
	s_mul_i32 s5, s7, s15
	s_mul_hi_u32 s10, s7, s14
	s_mul_i32 s4, s7, s14
	s_add_i32 s5, s10, s5
	s_lshl_b64 s[14:15], s[4:5], 3
	s_add_u32 s7, s2, s14
	s_addc_u32 s10, s3, s15
	s_lshl_b64 s[4:5], s[16:17], 3
	s_add_u32 s16, s7, s4
	s_addc_u32 s10, s10, s5
	s_lshl_b32 s7, s6, 6
	s_add_i32 s1, s1, -1
	s_sub_i32 s7, s11, s7
	s_cmp_ge_u32 s6, s1
	s_cselect_b32 s1, s7, 64
	s_ashr_i32 s7, s6, 31
	s_lshl_b64 s[6:7], s[6:7], 9
	s_add_u32 s24, s16, s6
	s_addc_u32 s25, s10, s7
	s_cmp_gt_i32 s30, 0
	v_cmp_gt_i32_e32 vcc, s1, v0
	s_cselect_b64 s[10:11], -1, 0
	s_and_b64 s[10:11], vcc, s[10:11]
	s_and_saveexec_b64 s[16:17], s[10:11]
	s_cbranch_execz .LBB111_16
; %bb.10:
	s_ashr_i32 s1, s0, 31
	s_cmp_lt_u32 s30, 4
	s_cbranch_scc1 .LBB111_13
; %bb.11:
	v_lshlrev_b32_e32 v1, 3, v0
	v_mov_b32_e32 v3, s25
	v_add_co_u32_e32 v2, vcc, s24, v1
	s_mul_hi_i32 s29, s0, 24
	s_lshl_b64 s[18:19], s[0:1], 5
	v_mov_b32_e32 v1, 0x8000
	s_lshl_b64 s[20:21], s[0:1], 4
	s_lshl_b64 s[22:23], s[0:1], 3
	v_addc_co_u32_e32 v3, vcc, 0, v3, vcc
	s_and_b32 s26, s30, 0x7ffffffc
	s_mul_i32 s27, s0, 24
	v_lshl_or_b32 v1, v0, 3, v1
	s_mov_b32 s28, 0
	v_mov_b32_e32 v4, s23
	v_mov_b32_e32 v5, s21
	;; [unrolled: 1-line block ×4, first 2 shown]
.LBB111_12:                             ; =>This Inner Loop Header: Depth=1
	v_add_co_u32_e32 v10, vcc, s22, v2
	v_addc_co_u32_e32 v11, vcc, v3, v4, vcc
	v_add_co_u32_e32 v12, vcc, s20, v2
	v_addc_co_u32_e32 v13, vcc, v3, v5, vcc
	global_load_dwordx2 v[8:9], v[2:3], off
	v_add_co_u32_e32 v14, vcc, s27, v2
	v_addc_co_u32_e32 v15, vcc, v3, v6, vcc
	global_load_dwordx2 v[16:17], v[10:11], off
	global_load_dwordx2 v[18:19], v[12:13], off
	;; [unrolled: 1-line block ×3, first 2 shown]
	s_add_i32 s28, s28, 4
	v_add_co_u32_e32 v2, vcc, s18, v2
	v_addc_co_u32_e32 v3, vcc, v3, v7, vcc
	s_cmp_lg_u32 s26, s28
	s_waitcnt vmcnt(3)
	v_mul_f64 v[8:9], v[8:9], s[12:13]
	s_waitcnt vmcnt(2)
	v_mul_f64 v[10:11], v[16:17], s[12:13]
	;; [unrolled: 2-line block ×4, first 2 shown]
	ds_write2st64_b64 v1, v[8:9], v[10:11] offset1:1
	ds_write2st64_b64 v1, v[12:13], v[14:15] offset0:2 offset1:3
	v_add_u32_e32 v1, 0x800, v1
	s_cbranch_scc1 .LBB111_12
.LBB111_13:
	s_and_b32 s20, s30, 3
	s_cmp_eq_u32 s20, 0
	s_cbranch_scc1 .LBB111_16
; %bb.14:
	s_mul_hi_i32 s19, s0, s26
	s_mul_i32 s18, s0, s26
	s_lshl_b64 s[18:19], s[18:19], 3
	s_add_u32 s18, s14, s18
	s_addc_u32 s19, s15, s19
	s_add_u32 s18, s18, s6
	s_addc_u32 s19, s19, s7
	s_add_u32 s18, s18, s4
	s_addc_u32 s19, s19, s5
	s_add_u32 s18, s2, s18
	v_lshlrev_b32_e32 v2, 3, v0
	s_addc_u32 s19, s3, s19
	v_lshl_or_b32 v1, s26, 9, v2
	v_mov_b32_e32 v3, s19
	v_add_co_u32_e32 v2, vcc, s18, v2
	s_lshl_b64 s[18:19], s[0:1], 3
	v_add_u32_e32 v1, 0x8000, v1
	v_addc_co_u32_e32 v3, vcc, 0, v3, vcc
	v_mov_b32_e32 v4, s19
.LBB111_15:                             ; =>This Inner Loop Header: Depth=1
	global_load_dwordx2 v[6:7], v[2:3], off
	v_add_co_u32_e32 v2, vcc, s18, v2
	s_add_i32 s20, s20, -1
	v_addc_co_u32_e32 v3, vcc, v3, v4, vcc
	s_cmp_lg_u32 s20, 0
	s_waitcnt vmcnt(0)
	v_mul_f64 v[6:7], v[6:7], s[12:13]
	ds_write_b64 v1, v[6:7]
	v_add_u32_e32 v1, 0x200, v1
	s_cbranch_scc1 .LBB111_15
.LBB111_16:
	s_or_b64 exec, exec, s[16:17]
	s_cmpk_eq_i32 s9, 0x6f
	s_cselect_b64 s[16:17], -1, 0
	s_cmpk_eq_i32 s8, 0x79
	s_cselect_b64 s[18:19], -1, 0
	s_cmpk_lg_i32 s8, 0x79
	s_cselect_b64 s[12:13], -1, 0
	s_and_b64 s[18:19], s[18:19], s[16:17]
	s_andn2_b64 vcc, exec, s[18:19]
	s_mov_b64 s[18:19], -1
	s_waitcnt lgkmcnt(0)
	; wave barrier
	s_waitcnt lgkmcnt(0)
	s_cbranch_vccz .LBB111_80
; %bb.17:
	s_cmpk_lg_i32 s8, 0x7a
	s_cselect_b64 s[8:9], -1, 0
	s_xor_b64 s[16:17], s[16:17], -1
	s_or_b64 s[16:17], s[8:9], s[16:17]
	s_cmp_gt_i32 s30, 3
	s_cselect_b64 s[8:9], -1, 0
	s_and_b64 vcc, exec, s[16:17]
	s_cbranch_vccz .LBB111_59
; %bb.18:
	s_andn2_b64 vcc, exec, s[12:13]
	s_mov_b64 s[12:13], -1
	s_cbranch_vccnz .LBB111_38
; %bb.19:
	s_andn2_b64 vcc, exec, s[8:9]
	s_mov_b32 s13, 0
	s_cbranch_vccnz .LBB111_26
; %bb.20:
	v_mov_b32_e32 v1, 0x8000
	v_lshl_or_b32 v1, v0, 3, v1
	s_mov_b32 s1, 0
	s_mov_b32 s12, 0
.LBB111_21:                             ; =>This Loop Header: Depth=1
                                        ;     Child Loop BB111_23 Depth 2
	s_lshl_b32 s13, s12, 6
	s_lshl_b32 s16, s12, 9
	v_or_b32_e32 v2, s13, v0
	s_or_b32 s13, s13, 64
	v_lshlrev_b32_e32 v10, 3, v2
	v_or_b32_e32 v2, s13, v0
	v_lshl_or_b32 v12, v0, 3, s16
	v_lshlrev_b32_e32 v11, 3, v2
	ds_read_b64 v[8:9], v10 offset:32768
	ds_read_b64 v[6:7], v11 offset:32768
	ds_read2st64_b64 v[2:5], v12 offset0:66 offset1:67
	s_cmp_eq_u32 s12, 0
	s_cbranch_scc1 .LBB111_24
; %bb.22:                               ;   in Loop: Header=BB111_21 Depth=1
	s_mov_b32 s16, 0
	v_mov_b32_e32 v13, v1
	s_mov_b32 s17, s1
.LBB111_23:                             ;   Parent Loop BB111_21 Depth=1
                                        ; =>  This Inner Loop Header: Depth=2
	ds_read2st64_b64 v[14:17], v13 offset1:1
	ds_read2st64_b64 v[18:21], v13 offset0:2 offset1:3
	v_mov_b32_e32 v50, s17
	ds_read_b128 v[22:25], v50
	ds_read_b128 v[26:29], v50 offset:16
	ds_read_b128 v[30:33], v50 offset:512
	;; [unrolled: 1-line block ×7, first 2 shown]
	s_add_i32 s16, s16, 4
	s_waitcnt lgkmcnt(7)
	v_fma_f64 v[8:9], -v[14:15], v[22:23], v[8:9]
	v_fma_f64 v[6:7], -v[14:15], v[24:25], v[6:7]
	s_waitcnt lgkmcnt(6)
	v_fma_f64 v[2:3], -v[14:15], v[26:27], v[2:3]
	v_fma_f64 v[4:5], -v[14:15], v[28:29], v[4:5]
	;; [unrolled: 3-line block ×4, first 2 shown]
	s_addk_i32 s17, 0x800
	s_waitcnt lgkmcnt(3)
	v_fma_f64 v[8:9], -v[18:19], v[38:39], v[8:9]
	v_fma_f64 v[6:7], -v[18:19], v[40:41], v[6:7]
	s_waitcnt lgkmcnt(2)
	v_fma_f64 v[2:3], -v[18:19], v[42:43], v[2:3]
	v_fma_f64 v[4:5], -v[18:19], v[44:45], v[4:5]
	v_add_u32_e32 v13, 0x800, v13
	s_cmp_ge_u32 s16, s12
	s_waitcnt lgkmcnt(1)
	v_fma_f64 v[8:9], -v[20:21], v[46:47], v[8:9]
	v_fma_f64 v[6:7], -v[20:21], v[48:49], v[6:7]
	s_waitcnt lgkmcnt(0)
	v_fma_f64 v[2:3], -v[20:21], v[50:51], v[2:3]
	v_fma_f64 v[4:5], -v[20:21], v[52:53], v[4:5]
	s_cbranch_scc0 .LBB111_23
.LBB111_24:                             ;   in Loop: Header=BB111_21 Depth=1
	s_mul_i32 s16, s12, 0x208
	v_add_u32_e32 v13, 0x8000, v10
	v_add_u32_e32 v14, 0x8400, v12
	;; [unrolled: 1-line block ×3, first 2 shown]
	v_mov_b32_e32 v12, s16
	ds_read_b128 v[16:19], v12
	ds_read_b128 v[20:23], v12 offset:16
	ds_read2_b64 v[24:27], v12 offset0:65 offset1:66
	ds_read_b128 v[28:31], v12 offset:1040
	s_add_i32 s13, s13, s12
	s_lshl_b32 s13, s13, 3
	s_waitcnt lgkmcnt(3)
	v_div_scale_f64 v[32:33], s[16:17], v[16:17], v[16:17], v[8:9]
	v_rcp_f64_e32 v[34:35], v[32:33]
	v_div_scale_f64 v[36:37], vcc, v[8:9], v[16:17], v[8:9]
	v_mov_b32_e32 v15, s13
	v_fma_f64 v[38:39], -v[32:33], v[34:35], 1.0
	v_fmac_f64_e32 v[34:35], v[34:35], v[38:39]
	v_fma_f64 v[38:39], -v[32:33], v[34:35], 1.0
	v_fmac_f64_e32 v[34:35], v[34:35], v[38:39]
	v_mul_f64 v[38:39], v[36:37], v[34:35]
	v_fma_f64 v[32:33], -v[32:33], v[38:39], v[36:37]
	v_div_fmas_f64 v[32:33], v[32:33], v[34:35], v[38:39]
	v_div_fixup_f64 v[8:9], v[32:33], v[16:17], v[8:9]
	v_fma_f64 v[6:7], -v[8:9], v[18:19], v[6:7]
	s_waitcnt lgkmcnt(1)
	v_div_scale_f64 v[16:17], s[16:17], v[24:25], v[24:25], v[6:7]
	v_rcp_f64_e32 v[18:19], v[16:17]
	v_div_scale_f64 v[32:33], vcc, v[6:7], v[24:25], v[6:7]
	v_fma_f64 v[2:3], -v[8:9], v[20:21], v[2:3]
	v_fma_f64 v[34:35], -v[16:17], v[18:19], 1.0
	v_fmac_f64_e32 v[18:19], v[18:19], v[34:35]
	v_fma_f64 v[34:35], -v[16:17], v[18:19], 1.0
	v_fmac_f64_e32 v[18:19], v[18:19], v[34:35]
	v_mul_f64 v[34:35], v[32:33], v[18:19]
	v_fma_f64 v[16:17], -v[16:17], v[34:35], v[32:33]
	v_div_fmas_f64 v[16:17], v[16:17], v[18:19], v[34:35]
	v_div_fixup_f64 v[6:7], v[16:17], v[24:25], v[6:7]
	v_fma_f64 v[2:3], -v[6:7], v[26:27], v[2:3]
	s_waitcnt lgkmcnt(0)
	v_div_scale_f64 v[16:17], s[16:17], v[28:29], v[28:29], v[2:3]
	v_rcp_f64_e32 v[18:19], v[16:17]
	v_fma_f64 v[4:5], -v[8:9], v[22:23], v[4:5]
	v_add_u32_e32 v11, 0x8000, v11
	s_add_i32 s13, s12, 4
	v_fma_f64 v[20:21], -v[16:17], v[18:19], 1.0
	v_fmac_f64_e32 v[18:19], v[18:19], v[20:21]
	v_fma_f64 v[20:21], -v[16:17], v[18:19], 1.0
	v_fmac_f64_e32 v[18:19], v[18:19], v[20:21]
	v_div_scale_f64 v[20:21], vcc, v[2:3], v[28:29], v[2:3]
	v_mul_f64 v[24:25], v[20:21], v[18:19]
	v_fma_f64 v[16:17], -v[16:17], v[24:25], v[20:21]
	ds_read_b64 v[20:21], v15 offset:24
	s_nop 0
	v_div_fmas_f64 v[16:17], v[16:17], v[18:19], v[24:25]
	v_div_fixup_f64 v[2:3], v[16:17], v[28:29], v[2:3]
	ds_read_b64 v[16:17], v12 offset:1560
	ds_write_b64 v13, v[8:9]
	ds_write_b64 v11, v[6:7]
	;; [unrolled: 1-line block ×3, first 2 shown]
	s_waitcnt lgkmcnt(4)
	v_fma_f64 v[4:5], -v[6:7], v[20:21], v[4:5]
	v_fma_f64 v[4:5], -v[2:3], v[30:31], v[4:5]
	s_add_i32 s12, s12, 7
	s_waitcnt lgkmcnt(3)
	v_div_scale_f64 v[18:19], s[16:17], v[16:17], v[16:17], v[4:5]
	v_rcp_f64_e32 v[20:21], v[18:19]
	s_add_i32 s1, s1, 32
	s_cmp_ge_i32 s12, s31
	v_fma_f64 v[2:3], -v[18:19], v[20:21], 1.0
	v_fmac_f64_e32 v[20:21], v[20:21], v[2:3]
	v_fma_f64 v[2:3], -v[18:19], v[20:21], 1.0
	v_fmac_f64_e32 v[20:21], v[20:21], v[2:3]
	v_div_scale_f64 v[2:3], vcc, v[4:5], v[16:17], v[4:5]
	v_mul_f64 v[6:7], v[2:3], v[20:21]
	v_fma_f64 v[2:3], -v[18:19], v[6:7], v[2:3]
	s_nop 1
	v_div_fmas_f64 v[2:3], v[2:3], v[20:21], v[6:7]
	v_div_fixup_f64 v[2:3], v[2:3], v[16:17], v[4:5]
	ds_write_b64 v10, v[2:3]
	s_cbranch_scc1 .LBB111_26
; %bb.25:                               ;   in Loop: Header=BB111_21 Depth=1
	s_mov_b32 s12, s13
	s_branch .LBB111_21
.LBB111_26:
	s_cmp_ge_i32 s13, s31
	s_cbranch_scc1 .LBB111_37
; %bb.27:
	v_mov_b32_e32 v1, 0x8000
	s_add_i32 s1, s13, -1
	v_lshl_or_b32 v1, v0, 3, v1
	s_lshl_b32 s12, s13, 3
	s_mov_b32 s16, 0
	v_lshlrev_b32_e32 v4, 3, v0
	s_mov_b32 s17, s13
	s_branch .LBB111_29
.LBB111_28:                             ;   in Loop: Header=BB111_29 Depth=1
	s_mul_i32 s18, s13, 0x208
	v_mov_b32_e32 v6, s18
	ds_read_b64 v[6:7], v6
	v_add_u32_e32 v5, 0x8000, v5
	s_add_i32 s13, s13, 1
	s_add_i32 s16, s16, 1
	;; [unrolled: 1-line block ×3, first 2 shown]
	s_waitcnt lgkmcnt(0)
	v_div_scale_f64 v[8:9], s[18:19], v[6:7], v[6:7], v[2:3]
	v_rcp_f64_e32 v[10:11], v[8:9]
	v_div_scale_f64 v[12:13], vcc, v[2:3], v[6:7], v[2:3]
	s_cmp_ge_i32 s13, s31
	v_fma_f64 v[14:15], -v[8:9], v[10:11], 1.0
	v_fmac_f64_e32 v[10:11], v[10:11], v[14:15]
	v_fma_f64 v[14:15], -v[8:9], v[10:11], 1.0
	v_fmac_f64_e32 v[10:11], v[10:11], v[14:15]
	v_mul_f64 v[14:15], v[12:13], v[10:11]
	v_fma_f64 v[8:9], -v[8:9], v[14:15], v[12:13]
	v_div_fmas_f64 v[8:9], v[8:9], v[10:11], v[14:15]
	v_div_fixup_f64 v[2:3], v[8:9], v[6:7], v[2:3]
	ds_write_b64 v5, v[2:3]
	v_add_u16_e64 v2, s17, 1
	v_readfirstlane_b32 s17, v2
	s_cbranch_scc1 .LBB111_37
.LBB111_29:                             ; =>This Loop Header: Depth=1
                                        ;     Child Loop BB111_32 Depth 2
                                        ;     Child Loop BB111_36 Depth 2
	v_lshl_or_b32 v5, s13, 9, v4
	ds_read_b64 v[2:3], v5 offset:32768
	s_cmp_eq_u32 s13, 0
	s_cbranch_scc1 .LBB111_28
; %bb.30:                               ;   in Loop: Header=BB111_29 Depth=1
	s_add_i32 s18, s1, s16
	s_cmp_lt_u32 s18, 7
	s_cbranch_scc1 .LBB111_34
; %bb.31:                               ;   in Loop: Header=BB111_29 Depth=1
	s_and_b32 s18, s13, -8
	s_mov_b32 s19, 0
	s_mov_b32 s20, s12
	v_mov_b32_e32 v6, v1
.LBB111_32:                             ;   Parent Loop BB111_29 Depth=1
                                        ; =>  This Inner Loop Header: Depth=2
	v_mov_b32_e32 v7, s20
	ds_read2st64_b64 v[8:11], v6 offset1:1
	ds_read2st64_b64 v[12:15], v6 offset0:2 offset1:3
	ds_read2st64_b64 v[16:19], v6 offset0:4 offset1:5
	;; [unrolled: 1-line block ×3, first 2 shown]
	ds_read2st64_b64 v[24:27], v7 offset1:1
	ds_read2st64_b64 v[28:31], v7 offset0:2 offset1:3
	ds_read2st64_b64 v[32:35], v7 offset0:4 offset1:5
	ds_read2st64_b64 v[36:39], v7 offset0:6 offset1:7
	s_add_i32 s19, s19, 8
	s_waitcnt lgkmcnt(3)
	v_fma_f64 v[2:3], -v[8:9], v[24:25], v[2:3]
	v_fma_f64 v[2:3], -v[10:11], v[26:27], v[2:3]
	s_waitcnt lgkmcnt(2)
	v_fma_f64 v[2:3], -v[12:13], v[28:29], v[2:3]
	v_fma_f64 v[2:3], -v[14:15], v[30:31], v[2:3]
	;; [unrolled: 3-line block ×3, first 2 shown]
	s_addk_i32 s20, 0x1000
	s_waitcnt lgkmcnt(0)
	v_fma_f64 v[2:3], -v[20:21], v[36:37], v[2:3]
	v_add_u32_e32 v6, 0x1000, v6
	s_cmp_eq_u32 s18, s19
	v_fma_f64 v[2:3], -v[22:23], v[38:39], v[2:3]
	s_cbranch_scc0 .LBB111_32
; %bb.33:                               ;   in Loop: Header=BB111_29 Depth=1
	s_and_b32 s19, s13, 7
	s_cmp_eq_u32 s19, 0
	s_cbranch_scc0 .LBB111_35
	s_branch .LBB111_28
.LBB111_34:                             ;   in Loop: Header=BB111_29 Depth=1
	s_mov_b32 s18, 0
	s_and_b32 s19, s13, 7
	s_cmp_eq_u32 s19, 0
	s_cbranch_scc1 .LBB111_28
.LBB111_35:                             ;   in Loop: Header=BB111_29 Depth=1
	s_and_b32 s19, s17, 7
	s_lshl_b32 s18, s18, 9
.LBB111_36:                             ;   Parent Loop BB111_29 Depth=1
                                        ; =>  This Inner Loop Header: Depth=2
	s_add_i32 s20, s12, s18
	v_add_u32_e32 v6, s18, v1
	v_mov_b32_e32 v8, s20
	ds_read_b64 v[6:7], v6
	ds_read_b64 v[8:9], v8
	s_addk_i32 s18, 0x200
	s_add_i32 s19, s19, -1
	s_cmp_lg_u32 s19, 0
	s_waitcnt lgkmcnt(0)
	v_fma_f64 v[2:3], -v[6:7], v[8:9], v[2:3]
	s_cbranch_scc1 .LBB111_36
	s_branch .LBB111_28
.LBB111_37:
	s_mov_b64 s[12:13], 0
.LBB111_38:
	s_and_b64 vcc, exec, s[12:13]
	s_cbranch_vccz .LBB111_58
; %bb.39:
	s_andn2_b64 vcc, exec, s[8:9]
	s_mov_b32 s13, s33
	s_cbranch_vccnz .LBB111_45
; %bb.40:
	v_lshlrev_b32_e32 v1, 3, v0
	v_lshl_or_b32 v2, s31, 9, v1
	s_mul_i32 s1, s31, 0x208
	v_add_u32_e32 v10, 0x7800, v2
	s_addk_i32 s1, 0xf7e0
	s_mov_b32 s12, s33
.LBB111_41:                             ; =>This Loop Header: Depth=1
                                        ;     Child Loop BB111_42 Depth 2
	s_lshl_b32 s18, s12, 6
	s_add_i32 s19, s12, -1
	v_or_b32_e32 v2, s18, v0
	s_lshl_b32 s17, s19, 6
	v_lshlrev_b32_e32 v11, 3, v2
	v_or_b32_e32 v2, s17, v0
	s_add_i32 s13, s18, 0xffffff80
	v_lshlrev_b32_e32 v12, 3, v2
	v_or_b32_e32 v2, s13, v0
	s_add_i32 s16, s12, -3
	v_lshlrev_b32_e32 v13, 3, v2
	v_lshl_or_b32 v14, s16, 9, v1
	ds_read_b64 v[8:9], v11 offset:32768
	ds_read_b64 v[6:7], v12 offset:32768
	;; [unrolled: 1-line block ×4, first 2 shown]
	s_cmp_le_i32 s33, s12
	s_mov_b32 s20, s1
	v_mov_b32_e32 v15, v10
	s_mov_b32 s21, s33
	s_cbranch_scc1 .LBB111_43
.LBB111_42:                             ;   Parent Loop BB111_41 Depth=1
                                        ; =>  This Inner Loop Header: Depth=2
	ds_read2st64_b64 v[16:19], v15 offset0:2 offset1:3
	ds_read2st64_b64 v[20:23], v15 offset1:1
	v_mov_b32_e32 v52, s20
	ds_read2_b64 v[24:27], v52 offset0:194 offset1:195
	ds_read2_b64 v[28:31], v52 offset0:192 offset1:193
	;; [unrolled: 1-line block ×7, first 2 shown]
	ds_read2_b64 v[52:55], v52 offset1:1
	s_add_i32 s21, s21, -4
	s_waitcnt lgkmcnt(7)
	v_fma_f64 v[8:9], -v[18:19], v[26:27], v[8:9]
	v_fma_f64 v[6:7], -v[18:19], v[24:25], v[6:7]
	s_waitcnt lgkmcnt(6)
	v_fma_f64 v[4:5], -v[18:19], v[30:31], v[4:5]
	v_fma_f64 v[2:3], -v[18:19], v[28:29], v[2:3]
	s_waitcnt lgkmcnt(5)
	v_fma_f64 v[8:9], -v[16:17], v[34:35], v[8:9]
	v_fma_f64 v[6:7], -v[16:17], v[32:33], v[6:7]
	s_waitcnt lgkmcnt(4)
	v_fma_f64 v[4:5], -v[16:17], v[38:39], v[4:5]
	v_fma_f64 v[2:3], -v[16:17], v[36:37], v[2:3]
	s_addk_i32 s20, 0xf800
	s_waitcnt lgkmcnt(3)
	v_fma_f64 v[8:9], -v[22:23], v[42:43], v[8:9]
	v_fma_f64 v[6:7], -v[22:23], v[40:41], v[6:7]
	s_waitcnt lgkmcnt(2)
	v_fma_f64 v[4:5], -v[22:23], v[46:47], v[4:5]
	v_fma_f64 v[2:3], -v[22:23], v[44:45], v[2:3]
	v_add_u32_e32 v15, 0xfffff800, v15
	s_cmp_le_i32 s21, s12
	s_waitcnt lgkmcnt(1)
	v_fma_f64 v[8:9], -v[20:21], v[50:51], v[8:9]
	v_fma_f64 v[6:7], -v[20:21], v[48:49], v[6:7]
	s_waitcnt lgkmcnt(0)
	v_fma_f64 v[4:5], -v[20:21], v[54:55], v[4:5]
	v_fma_f64 v[2:3], -v[20:21], v[52:53], v[2:3]
	s_cbranch_scc0 .LBB111_42
.LBB111_43:                             ;   in Loop: Header=BB111_41 Depth=1
	s_add_i32 s19, s18, s19
	s_lshl_b32 s19, s19, 3
	v_add_u32_e32 v15, 0x8000, v11
	v_add_u32_e32 v11, 0x8000, v14
	v_mov_b32_e32 v14, s19
	ds_read2_b64 v[16:19], v14 offset1:1
	s_mul_i32 s22, s12, 0x208
	s_add_i32 s19, s22, 0xfffffdf8
	v_mov_b32_e32 v14, s19
	ds_read_b64 v[20:21], v14
	s_waitcnt lgkmcnt(1)
	v_div_scale_f64 v[22:23], s[20:21], v[18:19], v[18:19], v[8:9]
	v_rcp_f64_e32 v[24:25], v[22:23]
	v_div_scale_f64 v[26:27], vcc, v[8:9], v[18:19], v[8:9]
	s_add_i32 s18, s18, s16
	v_fma_f64 v[28:29], -v[22:23], v[24:25], 1.0
	v_fmac_f64_e32 v[24:25], v[24:25], v[28:29]
	v_fma_f64 v[28:29], -v[22:23], v[24:25], 1.0
	v_fmac_f64_e32 v[24:25], v[24:25], v[28:29]
	v_mul_f64 v[28:29], v[26:27], v[24:25]
	v_fma_f64 v[22:23], -v[22:23], v[28:29], v[26:27]
	v_div_fmas_f64 v[22:23], v[22:23], v[24:25], v[28:29]
	v_div_fixup_f64 v[22:23], v[22:23], v[18:19], v[8:9]
	v_fma_f64 v[24:25], -v[22:23], v[16:17], v[6:7]
	s_waitcnt lgkmcnt(0)
	v_div_scale_f64 v[6:7], s[20:21], v[20:21], v[20:21], v[24:25]
	v_rcp_f64_e32 v[26:27], v[6:7]
	s_lshl_b32 s18, s18, 3
	s_add_i32 s17, s17, s16
	s_lshl_b32 s17, s17, 3
	v_fma_f64 v[8:9], -v[6:7], v[26:27], 1.0
	v_fmac_f64_e32 v[26:27], v[26:27], v[8:9]
	v_fma_f64 v[8:9], -v[6:7], v[26:27], 1.0
	v_fmac_f64_e32 v[26:27], v[26:27], v[8:9]
	v_div_scale_f64 v[8:9], vcc, v[24:25], v[20:21], v[24:25]
	v_mul_f64 v[28:29], v[8:9], v[26:27]
	v_fma_f64 v[30:31], -v[6:7], v[28:29], v[8:9]
	v_mov_b32_e32 v6, s18
	v_mov_b32_e32 v14, s17
	ds_read2_b64 v[6:9], v6 offset1:1
	ds_read2_b64 v[16:19], v14 offset1:1
	s_add_i32 s13, s13, s16
	v_div_fmas_f64 v[26:27], v[30:31], v[26:27], v[28:29]
	s_lshl_b32 s13, s13, 3
	v_div_fixup_f64 v[24:25], v[26:27], v[20:21], v[24:25]
	s_waitcnt lgkmcnt(1)
	v_fma_f64 v[4:5], -v[22:23], v[8:9], v[4:5]
	v_mov_b32_e32 v8, s13
	s_waitcnt lgkmcnt(0)
	v_fma_f64 v[4:5], -v[24:25], v[18:19], v[4:5]
	ds_read2_b64 v[18:21], v8 offset1:1
	s_add_i32 s13, s22, 0xfffff9e8
	v_mov_b32_e32 v8, s13
	ds_read_b64 v[8:9], v8
	v_fma_f64 v[2:3], -v[22:23], v[6:7], v[2:3]
	s_waitcnt lgkmcnt(1)
	v_div_scale_f64 v[26:27], s[16:17], v[20:21], v[20:21], v[4:5]
	v_rcp_f64_e32 v[28:29], v[26:27]
	v_fma_f64 v[2:3], -v[24:25], v[16:17], v[2:3]
	v_add_u32_e32 v12, 0x8000, v12
	v_add_u32_e32 v13, 0x8000, v13
	v_fma_f64 v[30:31], -v[26:27], v[28:29], 1.0
	v_fmac_f64_e32 v[28:29], v[28:29], v[30:31]
	v_fma_f64 v[30:31], -v[26:27], v[28:29], 1.0
	v_fmac_f64_e32 v[28:29], v[28:29], v[30:31]
	v_div_scale_f64 v[30:31], vcc, v[4:5], v[20:21], v[4:5]
	v_mul_f64 v[32:33], v[30:31], v[28:29]
	v_fma_f64 v[26:27], -v[26:27], v[32:33], v[30:31]
	s_add_i32 s13, s12, -4
	s_nop 0
	v_div_fmas_f64 v[26:27], v[26:27], v[28:29], v[32:33]
	v_div_fixup_f64 v[4:5], v[26:27], v[20:21], v[4:5]
	v_fma_f64 v[2:3], -v[4:5], v[18:19], v[2:3]
	s_waitcnt lgkmcnt(0)
	v_div_scale_f64 v[6:7], s[16:17], v[8:9], v[8:9], v[2:3]
	v_rcp_f64_e32 v[16:17], v[6:7]
	ds_write_b64 v15, v[22:23]
	ds_write_b64 v12, v[24:25]
	;; [unrolled: 1-line block ×3, first 2 shown]
	s_sub_i32 s1, s1, 32
	s_cmp_lt_i32 s12, 7
	v_fma_f64 v[4:5], -v[6:7], v[16:17], 1.0
	v_fmac_f64_e32 v[16:17], v[16:17], v[4:5]
	v_fma_f64 v[4:5], -v[6:7], v[16:17], 1.0
	v_fmac_f64_e32 v[16:17], v[16:17], v[4:5]
	v_div_scale_f64 v[4:5], vcc, v[2:3], v[8:9], v[2:3]
	v_mul_f64 v[12:13], v[4:5], v[16:17]
	v_fma_f64 v[4:5], -v[6:7], v[12:13], v[4:5]
	s_nop 1
	v_div_fmas_f64 v[4:5], v[4:5], v[16:17], v[12:13]
	v_div_fixup_f64 v[2:3], v[4:5], v[8:9], v[2:3]
	ds_write_b64 v11, v[2:3]
	s_cbranch_scc1 .LBB111_45
; %bb.44:                               ;   in Loop: Header=BB111_41 Depth=1
	s_mov_b32 s12, s13
	s_branch .LBB111_41
.LBB111_45:
	s_cmp_lt_i32 s13, 0
	s_cbranch_scc1 .LBB111_58
; %bb.46:
	s_bitcmp1_b32 s13, 0
	s_cselect_b64 s[16:17], -1, 0
	s_and_b64 vcc, exec, s[16:17]
	s_mov_b32 s1, s13
	s_cbranch_vccnz .LBB111_51
; %bb.47:
	v_lshlrev_b32_e32 v1, 3, v0
	v_lshl_or_b32 v1, s13, 9, v1
	ds_read_b64 v[2:3], v1 offset:32768
	s_cmp_le_i32 s33, s13
	s_cbranch_scc1 .LBB111_50
; %bb.48:
	s_lshl_b32 s12, s31, 9
	s_lshl_b32 s1, s13, 3
	s_add_i32 s1, s12, s1
	v_lshl_or_b32 v4, v0, 3, s12
	s_addk_i32 s1, 0xfe00
	v_add_u32_e32 v4, 0x7e00, v4
	s_mov_b32 s12, s33
.LBB111_49:                             ; =>This Inner Loop Header: Depth=1
	v_mov_b32_e32 v5, s1
	ds_read_b64 v[6:7], v4
	ds_read_b64 v[8:9], v5
	s_add_i32 s12, s12, -1
	s_addk_i32 s1, 0xfe00
	v_add_u32_e32 v4, 0xfffffe00, v4
	s_cmp_gt_i32 s12, s13
	s_waitcnt lgkmcnt(0)
	v_fma_f64 v[2:3], -v[6:7], v[8:9], v[2:3]
	s_cbranch_scc1 .LBB111_49
.LBB111_50:
	s_mul_i32 s1, s13, 0x208
	v_mov_b32_e32 v4, s1
	ds_read_b64 v[4:5], v4
	v_add_u32_e32 v1, 0x8000, v1
	s_add_i32 s1, s13, -1
	s_waitcnt lgkmcnt(0)
	v_div_scale_f64 v[6:7], s[16:17], v[4:5], v[4:5], v[2:3]
	v_rcp_f64_e32 v[8:9], v[6:7]
	v_div_scale_f64 v[10:11], vcc, v[2:3], v[4:5], v[2:3]
	v_fma_f64 v[12:13], -v[6:7], v[8:9], 1.0
	v_fmac_f64_e32 v[8:9], v[8:9], v[12:13]
	v_fma_f64 v[12:13], -v[6:7], v[8:9], 1.0
	v_fmac_f64_e32 v[8:9], v[8:9], v[12:13]
	v_mul_f64 v[12:13], v[10:11], v[8:9]
	v_fma_f64 v[6:7], -v[6:7], v[12:13], v[10:11]
	v_div_fmas_f64 v[6:7], v[6:7], v[8:9], v[12:13]
	v_div_fixup_f64 v[2:3], v[6:7], v[4:5], v[2:3]
	ds_write_b64 v1, v[2:3]
.LBB111_51:
	s_cmp_eq_u32 s13, 0
	s_cbranch_scc1 .LBB111_58
; %bb.52:
	s_lshl_b32 s12, s31, 9
	s_lshl_b32 s13, s1, 3
	v_lshl_or_b32 v1, v0, 3, s12
	s_add_i32 s13, s12, s13
	v_add_u32_e32 v1, 0x7e00, v1
	s_add_i32 s12, s13, 0xfffffe00
	s_addk_i32 s13, 0xfdf8
	v_lshlrev_b32_e32 v6, 3, v0
	s_branch .LBB111_54
.LBB111_53:                             ;   in Loop: Header=BB111_54 Depth=1
	s_addk_i32 s16, 0xfdf8
	v_mov_b32_e32 v5, s16
	ds_read_b64 v[8:9], v5
	s_add_i32 s18, s1, -2
	s_add_i32 s12, s12, -16
	;; [unrolled: 1-line block ×3, first 2 shown]
	v_add_u32_e32 v4, 0x8000, v7
	s_waitcnt lgkmcnt(0)
	v_div_scale_f64 v[10:11], s[16:17], v[8:9], v[8:9], v[2:3]
	v_rcp_f64_e32 v[12:13], v[10:11]
	v_div_scale_f64 v[14:15], vcc, v[2:3], v[8:9], v[2:3]
	s_cmp_lt_i32 s1, 2
	v_fma_f64 v[16:17], -v[10:11], v[12:13], 1.0
	v_fmac_f64_e32 v[12:13], v[12:13], v[16:17]
	v_fma_f64 v[16:17], -v[10:11], v[12:13], 1.0
	v_fmac_f64_e32 v[12:13], v[12:13], v[16:17]
	v_mul_f64 v[16:17], v[14:15], v[12:13]
	v_fma_f64 v[10:11], -v[10:11], v[16:17], v[14:15]
	v_div_fmas_f64 v[10:11], v[10:11], v[12:13], v[16:17]
	v_div_fixup_f64 v[2:3], v[10:11], v[8:9], v[2:3]
	s_mov_b32 s1, s18
	ds_write_b64 v4, v[2:3]
	s_cbranch_scc1 .LBB111_58
.LBB111_54:                             ; =>This Loop Header: Depth=1
                                        ;     Child Loop BB111_55 Depth 2
                                        ;     Child Loop BB111_57 Depth 2
	v_lshl_or_b32 v2, s1, 9, v6
	ds_read_b64 v[4:5], v2 offset:32768
	s_cmp_le_i32 s33, s1
	s_mov_b32 s16, s12
	v_mov_b32_e32 v3, v1
	s_mov_b32 s17, s33
	s_cbranch_scc1 .LBB111_56
.LBB111_55:                             ;   Parent Loop BB111_54 Depth=1
                                        ; =>  This Inner Loop Header: Depth=2
	v_mov_b32_e32 v7, s16
	ds_read_b64 v[8:9], v3
	ds_read_b64 v[10:11], v7
	s_add_i32 s17, s17, -1
	s_addk_i32 s16, 0xfe00
	v_add_u32_e32 v3, 0xfffffe00, v3
	s_cmp_le_i32 s17, s1
	s_waitcnt lgkmcnt(0)
	v_fma_f64 v[4:5], -v[8:9], v[10:11], v[4:5]
	s_cbranch_scc0 .LBB111_55
.LBB111_56:                             ;   in Loop: Header=BB111_54 Depth=1
	s_mul_i32 s16, s1, 0x208
	v_add_u32_e32 v8, 0x8000, v2
	v_mov_b32_e32 v2, s16
	ds_read_b64 v[10:11], v2
	s_lshl_b32 s17, s1, 9
	s_addk_i32 s17, 0xfe00
	v_lshl_or_b32 v7, v0, 3, s17
	ds_read_b64 v[2:3], v7 offset:32768
	s_waitcnt lgkmcnt(1)
	v_div_scale_f64 v[12:13], s[18:19], v[10:11], v[10:11], v[4:5]
	v_rcp_f64_e32 v[14:15], v[12:13]
	v_div_scale_f64 v[16:17], vcc, v[4:5], v[10:11], v[4:5]
	s_cmp_lt_i32 s33, s1
	v_fma_f64 v[18:19], -v[12:13], v[14:15], 1.0
	v_fmac_f64_e32 v[14:15], v[14:15], v[18:19]
	v_fma_f64 v[18:19], -v[12:13], v[14:15], 1.0
	v_fmac_f64_e32 v[14:15], v[14:15], v[18:19]
	v_mul_f64 v[18:19], v[16:17], v[14:15]
	v_fma_f64 v[12:13], -v[12:13], v[18:19], v[16:17]
	v_div_fmas_f64 v[12:13], v[12:13], v[14:15], v[18:19]
	v_div_fixup_f64 v[4:5], v[12:13], v[10:11], v[4:5]
	ds_write_b64 v8, v[4:5]
	v_mov_b32_e32 v4, v1
	s_mov_b32 s17, s13
	s_mov_b32 s18, s31
	s_cbranch_scc1 .LBB111_53
.LBB111_57:                             ;   Parent Loop BB111_54 Depth=1
                                        ; =>  This Inner Loop Header: Depth=2
	v_mov_b32_e32 v5, s17
	ds_read_b64 v[8:9], v4
	ds_read_b64 v[10:11], v5
	s_add_i32 s18, s18, -1
	s_addk_i32 s17, 0xfe00
	v_add_u32_e32 v4, 0xfffffe00, v4
	s_cmp_gt_i32 s18, s1
	s_waitcnt lgkmcnt(0)
	v_fma_f64 v[2:3], -v[8:9], v[10:11], v[2:3]
	s_cbranch_scc1 .LBB111_57
	s_branch .LBB111_53
.LBB111_58:
	s_mov_b64 s[18:19], 0
.LBB111_59:
	s_andn2_b64 vcc, exec, s[18:19]
	s_cbranch_vccnz .LBB111_79
; %bb.60:
	s_andn2_b64 vcc, exec, s[8:9]
	s_mov_b32 s9, s33
	s_cbranch_vccnz .LBB111_66
; %bb.61:
	v_lshlrev_b32_e32 v1, 3, v0
	s_mul_i32 s1, s31, 0x208
	v_lshl_or_b32 v2, s31, 9, v1
	s_addk_i32 s1, 0xf7e0
	v_add_u32_e32 v10, 0x7800, v2
	s_mov_b32 s8, s33
.LBB111_62:                             ; =>This Loop Header: Depth=1
                                        ;     Child Loop BB111_63 Depth 2
	s_lshl_b32 s12, s8, 6
	v_or_b32_e32 v2, s12, v0
	s_add_i32 s13, s12, 0xffffff80
	v_lshlrev_b32_e32 v11, 3, v2
	v_or_b32_e32 v2, s13, v0
	s_addk_i32 s12, 0xff40
	s_add_i32 s9, s8, -1
	v_lshlrev_b32_e32 v13, 3, v2
	v_or_b32_e32 v2, s12, v0
	v_lshl_or_b32 v12, s9, 9, v1
	v_lshlrev_b32_e32 v14, 3, v2
	ds_read_b64 v[8:9], v11 offset:32768
	ds_read_b64 v[6:7], v12 offset:32768
	;; [unrolled: 1-line block ×4, first 2 shown]
	s_cmp_le_i32 s33, s8
	v_mov_b32_e32 v15, v10
	s_mov_b32 s16, s1
	s_mov_b32 s17, s33
	s_cbranch_scc1 .LBB111_64
.LBB111_63:                             ;   Parent Loop BB111_62 Depth=1
                                        ; =>  This Inner Loop Header: Depth=2
	v_mov_b32_e32 v52, s16
	ds_read2st64_b64 v[16:19], v15 offset0:2 offset1:3
	ds_read2st64_b64 v[20:23], v15 offset1:1
	ds_read2_b64 v[24:27], v52 offset0:194 offset1:195
	ds_read2_b64 v[28:31], v52 offset0:192 offset1:193
	;; [unrolled: 1-line block ×7, first 2 shown]
	ds_read2_b64 v[52:55], v52 offset1:1
	s_add_i32 s17, s17, -4
	s_sub_i32 s16, s16, 32
	s_waitcnt lgkmcnt(7)
	v_fma_f64 v[8:9], -v[18:19], v[26:27], v[8:9]
	s_waitcnt lgkmcnt(5)
	v_fma_f64 v[6:7], -v[18:19], v[34:35], v[6:7]
	;; [unrolled: 2-line block ×4, first 2 shown]
	v_fma_f64 v[8:9], -v[16:17], v[24:25], v[8:9]
	v_fma_f64 v[6:7], -v[16:17], v[32:33], v[6:7]
	;; [unrolled: 1-line block ×7, first 2 shown]
	s_waitcnt lgkmcnt(0)
	v_fma_f64 v[2:3], -v[22:23], v[54:55], v[2:3]
	v_add_u32_e32 v15, 0xfffff800, v15
	s_cmp_le_i32 s17, s8
	v_fma_f64 v[8:9], -v[20:21], v[28:29], v[8:9]
	v_fma_f64 v[6:7], -v[20:21], v[36:37], v[6:7]
	v_fma_f64 v[4:5], -v[20:21], v[44:45], v[4:5]
	v_fma_f64 v[2:3], -v[20:21], v[52:53], v[2:3]
	s_cbranch_scc0 .LBB111_63
.LBB111_64:                             ;   in Loop: Header=BB111_62 Depth=1
	s_mul_i32 s18, s8, 0x208
	v_add_u32_e32 v15, 0x8000, v11
	v_add_u32_e32 v11, 0x8000, v14
	v_mov_b32_e32 v14, s18
	ds_read_b64 v[20:21], v14
	s_add_i32 s16, s18, 0xfffffdf8
	v_mov_b32_e32 v14, s16
	ds_read2_b64 v[16:19], v14 offset1:1
	s_add_i32 s13, s13, s8
	s_waitcnt lgkmcnt(1)
	v_div_scale_f64 v[22:23], s[16:17], v[20:21], v[20:21], v[8:9]
	v_rcp_f64_e32 v[24:25], v[22:23]
	v_div_scale_f64 v[26:27], vcc, v[8:9], v[20:21], v[8:9]
	s_lshl_b32 s13, s13, 3
	v_fma_f64 v[28:29], -v[22:23], v[24:25], 1.0
	v_fmac_f64_e32 v[24:25], v[24:25], v[28:29]
	v_fma_f64 v[28:29], -v[22:23], v[24:25], 1.0
	v_fmac_f64_e32 v[24:25], v[24:25], v[28:29]
	v_mul_f64 v[28:29], v[26:27], v[24:25]
	v_fma_f64 v[22:23], -v[22:23], v[28:29], v[26:27]
	v_div_fmas_f64 v[22:23], v[22:23], v[24:25], v[28:29]
	v_div_fixup_f64 v[24:25], v[22:23], v[20:21], v[8:9]
	s_waitcnt lgkmcnt(0)
	v_fma_f64 v[18:19], -v[24:25], v[18:19], v[6:7]
	v_div_scale_f64 v[6:7], s[16:17], v[16:17], v[16:17], v[18:19]
	v_rcp_f64_e32 v[20:21], v[6:7]
	v_div_scale_f64 v[8:9], vcc, v[18:19], v[16:17], v[18:19]
	s_add_i32 s12, s12, s9
	v_fma_f64 v[22:23], -v[6:7], v[20:21], 1.0
	v_fmac_f64_e32 v[20:21], v[20:21], v[22:23]
	v_fma_f64 v[22:23], -v[6:7], v[20:21], 1.0
	v_fmac_f64_e32 v[20:21], v[20:21], v[22:23]
	v_mul_f64 v[22:23], v[8:9], v[20:21]
	v_fma_f64 v[26:27], -v[6:7], v[22:23], v[8:9]
	v_mov_b32_e32 v6, s13
	s_add_i32 s13, s18, 0xfffffbf0
	v_mov_b32_e32 v7, s13
	ds_read_b64 v[28:29], v6
	ds_read2_b64 v[6:9], v7 offset1:1
	v_div_fmas_f64 v[20:21], v[26:27], v[20:21], v[22:23]
	v_div_fixup_f64 v[26:27], v[20:21], v[16:17], v[18:19]
	s_lshl_b32 s9, s12, 3
	s_waitcnt lgkmcnt(1)
	v_fma_f64 v[4:5], -v[24:25], v[28:29], v[4:5]
	s_waitcnt lgkmcnt(0)
	v_fma_f64 v[4:5], -v[26:27], v[8:9], v[4:5]
	v_div_scale_f64 v[8:9], s[16:17], v[6:7], v[6:7], v[4:5]
	v_rcp_f64_e32 v[28:29], v[8:9]
	v_mov_b32_e32 v14, s9
	s_add_i32 s9, s18, 0xfffff9e8
	v_mov_b32_e32 v20, s9
	v_fma_f64 v[16:17], -v[8:9], v[28:29], 1.0
	v_fmac_f64_e32 v[28:29], v[28:29], v[16:17]
	v_fma_f64 v[16:17], -v[8:9], v[28:29], 1.0
	v_fmac_f64_e32 v[28:29], v[28:29], v[16:17]
	v_div_scale_f64 v[16:17], vcc, v[4:5], v[6:7], v[4:5]
	v_mul_f64 v[30:31], v[16:17], v[28:29]
	v_fma_f64 v[8:9], -v[8:9], v[30:31], v[16:17]
	ds_read2_b64 v[16:19], v14 offset1:1
	ds_read2_b64 v[20:23], v20 offset1:1
	v_div_fmas_f64 v[8:9], v[8:9], v[28:29], v[30:31]
	v_div_fixup_f64 v[4:5], v[8:9], v[6:7], v[4:5]
	v_add_u32_e32 v12, 0x8000, v12
	s_waitcnt lgkmcnt(1)
	v_fma_f64 v[2:3], -v[24:25], v[18:19], v[2:3]
	v_fma_f64 v[2:3], -v[26:27], v[16:17], v[2:3]
	s_waitcnt lgkmcnt(0)
	v_fma_f64 v[2:3], -v[4:5], v[22:23], v[2:3]
	v_div_scale_f64 v[6:7], s[12:13], v[20:21], v[20:21], v[2:3]
	v_rcp_f64_e32 v[8:9], v[6:7]
	v_add_u32_e32 v13, 0x8000, v13
	ds_write_b64 v15, v[24:25]
	ds_write_b64 v12, v[26:27]
	;; [unrolled: 1-line block ×3, first 2 shown]
	s_add_i32 s9, s8, -4
	v_fma_f64 v[4:5], -v[6:7], v[8:9], 1.0
	v_fmac_f64_e32 v[8:9], v[8:9], v[4:5]
	v_fma_f64 v[4:5], -v[6:7], v[8:9], 1.0
	v_fmac_f64_e32 v[8:9], v[8:9], v[4:5]
	v_div_scale_f64 v[4:5], vcc, v[2:3], v[20:21], v[2:3]
	v_mul_f64 v[12:13], v[4:5], v[8:9]
	v_fma_f64 v[4:5], -v[6:7], v[12:13], v[4:5]
	s_addk_i32 s1, 0xf800
	s_nop 0
	v_div_fmas_f64 v[4:5], v[4:5], v[8:9], v[12:13]
	v_div_fixup_f64 v[2:3], v[4:5], v[20:21], v[2:3]
	s_cmp_lt_i32 s8, 7
	ds_write_b64 v11, v[2:3]
	s_cbranch_scc1 .LBB111_66
; %bb.65:                               ;   in Loop: Header=BB111_62 Depth=1
	s_mov_b32 s8, s9
	s_branch .LBB111_62
.LBB111_66:
	s_cmp_lt_i32 s9, 0
	s_cbranch_scc1 .LBB111_79
; %bb.67:
	s_bitcmp1_b32 s9, 0
	s_cselect_b64 s[12:13], -1, 0
	s_and_b64 vcc, exec, s[12:13]
	s_mov_b32 s1, s9
	s_cbranch_vccnz .LBB111_72
; %bb.68:
	v_lshlrev_b32_e32 v4, 3, v0
	v_lshl_or_b32 v1, s9, 9, v4
	ds_read_b64 v[2:3], v1 offset:32768
	s_cmp_le_i32 s33, s9
	s_cbranch_scc1 .LBB111_71
; %bb.69:
	s_lshl_b32 s1, s9, 9
	s_lshl_b32 s8, s31, 3
	s_add_i32 s1, s1, s8
	v_lshl_or_b32 v4, s31, 9, v4
	s_add_i32 s1, s1, -8
	v_add_u32_e32 v4, 0x7e00, v4
	s_mov_b32 s8, s33
.LBB111_70:                             ; =>This Inner Loop Header: Depth=1
	v_mov_b32_e32 v5, s1
	ds_read_b64 v[6:7], v4
	ds_read_b64 v[8:9], v5
	s_add_i32 s8, s8, -1
	s_add_i32 s1, s1, -8
	v_add_u32_e32 v4, 0xfffffe00, v4
	s_cmp_gt_i32 s8, s9
	s_waitcnt lgkmcnt(0)
	v_fma_f64 v[2:3], -v[6:7], v[8:9], v[2:3]
	s_cbranch_scc1 .LBB111_70
.LBB111_71:
	s_mul_i32 s1, s9, 0x208
	v_mov_b32_e32 v4, s1
	ds_read_b64 v[4:5], v4
	v_add_u32_e32 v1, 0x8000, v1
	s_add_i32 s1, s9, -1
	s_waitcnt lgkmcnt(0)
	v_div_scale_f64 v[6:7], s[12:13], v[4:5], v[4:5], v[2:3]
	v_rcp_f64_e32 v[8:9], v[6:7]
	v_div_scale_f64 v[10:11], vcc, v[2:3], v[4:5], v[2:3]
	v_fma_f64 v[12:13], -v[6:7], v[8:9], 1.0
	v_fmac_f64_e32 v[8:9], v[8:9], v[12:13]
	v_fma_f64 v[12:13], -v[6:7], v[8:9], 1.0
	v_fmac_f64_e32 v[8:9], v[8:9], v[12:13]
	v_mul_f64 v[12:13], v[10:11], v[8:9]
	v_fma_f64 v[6:7], -v[6:7], v[12:13], v[10:11]
	v_div_fmas_f64 v[6:7], v[6:7], v[8:9], v[12:13]
	v_div_fixup_f64 v[2:3], v[6:7], v[4:5], v[2:3]
	ds_write_b64 v1, v[2:3]
.LBB111_72:
	s_cmp_eq_u32 s9, 0
	s_cbranch_scc1 .LBB111_79
; %bb.73:
	v_lshlrev_b32_e32 v1, 3, v0
	s_lshl_b32 s8, s1, 9
	s_lshl_b32 s9, s31, 3
	v_lshl_or_b32 v2, s31, 9, v1
	s_add_i32 s9, s8, s9
	v_add_u32_e32 v6, 0x7e00, v2
	s_add_i32 s8, s9, -8
	s_addk_i32 s9, 0xfdf8
	s_branch .LBB111_75
.LBB111_74:                             ;   in Loop: Header=BB111_75 Depth=1
	s_addk_i32 s12, 0xfdf8
	v_mov_b32_e32 v5, s12
	ds_read_b64 v[8:9], v5
	s_add_i32 s16, s1, -2
	s_addk_i32 s8, 0xfc00
	s_addk_i32 s9, 0xfc00
	v_add_u32_e32 v4, 0x8000, v7
	s_waitcnt lgkmcnt(0)
	v_div_scale_f64 v[10:11], s[12:13], v[8:9], v[8:9], v[2:3]
	v_rcp_f64_e32 v[12:13], v[10:11]
	v_div_scale_f64 v[14:15], vcc, v[2:3], v[8:9], v[2:3]
	s_cmp_lt_i32 s1, 2
	v_fma_f64 v[16:17], -v[10:11], v[12:13], 1.0
	v_fmac_f64_e32 v[12:13], v[12:13], v[16:17]
	v_fma_f64 v[16:17], -v[10:11], v[12:13], 1.0
	v_fmac_f64_e32 v[12:13], v[12:13], v[16:17]
	v_mul_f64 v[16:17], v[14:15], v[12:13]
	v_fma_f64 v[10:11], -v[10:11], v[16:17], v[14:15]
	v_div_fmas_f64 v[10:11], v[10:11], v[12:13], v[16:17]
	v_div_fixup_f64 v[2:3], v[10:11], v[8:9], v[2:3]
	s_mov_b32 s1, s16
	ds_write_b64 v4, v[2:3]
	s_cbranch_scc1 .LBB111_79
.LBB111_75:                             ; =>This Loop Header: Depth=1
                                        ;     Child Loop BB111_76 Depth 2
                                        ;     Child Loop BB111_78 Depth 2
	v_lshl_or_b32 v2, s1, 9, v1
	ds_read_b64 v[4:5], v2 offset:32768
	s_cmp_le_i32 s33, s1
	s_mov_b32 s12, s8
	v_mov_b32_e32 v3, v6
	s_mov_b32 s13, s33
	s_cbranch_scc1 .LBB111_77
.LBB111_76:                             ;   Parent Loop BB111_75 Depth=1
                                        ; =>  This Inner Loop Header: Depth=2
	v_mov_b32_e32 v7, s12
	ds_read_b64 v[8:9], v3
	ds_read_b64 v[10:11], v7
	s_add_i32 s13, s13, -1
	s_add_i32 s12, s12, -8
	v_add_u32_e32 v3, 0xfffffe00, v3
	s_cmp_le_i32 s13, s1
	s_waitcnt lgkmcnt(0)
	v_fma_f64 v[4:5], -v[8:9], v[10:11], v[4:5]
	s_cbranch_scc0 .LBB111_76
.LBB111_77:                             ;   in Loop: Header=BB111_75 Depth=1
	s_mul_i32 s12, s1, 0x208
	v_add_u32_e32 v8, 0x8000, v2
	v_mov_b32_e32 v2, s12
	ds_read_b64 v[10:11], v2
	s_lshl_b32 s13, s1, 9
	s_addk_i32 s13, 0xfe00
	v_lshl_or_b32 v7, v0, 3, s13
	ds_read_b64 v[2:3], v7 offset:32768
	s_waitcnt lgkmcnt(1)
	v_div_scale_f64 v[12:13], s[16:17], v[10:11], v[10:11], v[4:5]
	v_rcp_f64_e32 v[14:15], v[12:13]
	v_div_scale_f64 v[16:17], vcc, v[4:5], v[10:11], v[4:5]
	s_cmp_lt_i32 s33, s1
	v_fma_f64 v[18:19], -v[12:13], v[14:15], 1.0
	v_fmac_f64_e32 v[14:15], v[14:15], v[18:19]
	v_fma_f64 v[18:19], -v[12:13], v[14:15], 1.0
	v_fmac_f64_e32 v[14:15], v[14:15], v[18:19]
	v_mul_f64 v[18:19], v[16:17], v[14:15]
	v_fma_f64 v[12:13], -v[12:13], v[18:19], v[16:17]
	v_div_fmas_f64 v[12:13], v[12:13], v[14:15], v[18:19]
	v_div_fixup_f64 v[4:5], v[12:13], v[10:11], v[4:5]
	ds_write_b64 v8, v[4:5]
	v_mov_b32_e32 v4, v6
	s_mov_b32 s13, s9
	s_mov_b32 s16, s31
	s_cbranch_scc1 .LBB111_74
.LBB111_78:                             ;   Parent Loop BB111_75 Depth=1
                                        ; =>  This Inner Loop Header: Depth=2
	v_mov_b32_e32 v5, s13
	ds_read_b64 v[8:9], v4
	ds_read_b64 v[10:11], v5
	s_add_i32 s16, s16, -1
	s_add_i32 s13, s13, -8
	v_add_u32_e32 v4, 0xfffffe00, v4
	s_cmp_gt_i32 s16, s1
	s_waitcnt lgkmcnt(0)
	v_fma_f64 v[2:3], -v[8:9], v[10:11], v[2:3]
	s_cbranch_scc1 .LBB111_78
	s_branch .LBB111_74
.LBB111_79:
	s_mov_b64 s[18:19], 0
.LBB111_80:
	s_andn2_b64 vcc, exec, s[18:19]
	s_cbranch_vccnz .LBB111_99
; %bb.81:
	s_cmp_lt_i32 s30, 4
	s_mov_b32 s9, 0
	s_cbranch_scc1 .LBB111_88
; %bb.82:
	v_mov_b32_e32 v1, 0x8000
	v_lshl_or_b32 v1, v0, 3, v1
	s_mov_b32 s1, 0
	s_mov_b32 s8, 0
.LBB111_83:                             ; =>This Loop Header: Depth=1
                                        ;     Child Loop BB111_85 Depth 2
	s_lshl_b32 s9, s8, 6
	v_or_b32_e32 v2, s9, v0
	s_or_b32 s13, s9, 64
	v_lshlrev_b32_e32 v10, 3, v2
	v_or_b32_e32 v2, s13, v0
	s_or_b32 s12, s9, 0x80
	v_lshlrev_b32_e32 v11, 3, v2
	;; [unrolled: 3-line block ×3, first 2 shown]
	v_or_b32_e32 v2, s9, v0
	v_lshlrev_b32_e32 v13, 3, v2
	ds_read_b64 v[8:9], v10 offset:32768
	ds_read_b64 v[6:7], v11 offset:32768
	;; [unrolled: 1-line block ×4, first 2 shown]
	s_cmp_eq_u32 s8, 0
	s_cbranch_scc1 .LBB111_86
; %bb.84:                               ;   in Loop: Header=BB111_83 Depth=1
	s_mov_b32 s16, 0
	s_mov_b32 s17, s1
	v_mov_b32_e32 v14, v1
.LBB111_85:                             ;   Parent Loop BB111_83 Depth=1
                                        ; =>  This Inner Loop Header: Depth=2
	v_mov_b32_e32 v15, s17
	ds_read2st64_b64 v[16:19], v14 offset1:1
	ds_read2st64_b64 v[20:23], v14 offset0:2 offset1:3
	ds_read_b128 v[24:27], v15
	ds_read_b128 v[28:31], v15 offset:16
	ds_read_b128 v[32:35], v15 offset:512
	;; [unrolled: 1-line block ×7, first 2 shown]
	s_add_i32 s16, s16, 4
	s_add_i32 s17, s17, 32
	s_waitcnt lgkmcnt(7)
	v_fma_f64 v[8:9], -v[16:17], v[24:25], v[8:9]
	s_waitcnt lgkmcnt(5)
	v_fma_f64 v[6:7], -v[16:17], v[32:33], v[6:7]
	;; [unrolled: 2-line block ×4, first 2 shown]
	v_fma_f64 v[8:9], -v[18:19], v[26:27], v[8:9]
	v_fma_f64 v[6:7], -v[18:19], v[34:35], v[6:7]
	;; [unrolled: 1-line block ×7, first 2 shown]
	s_waitcnt lgkmcnt(0)
	v_fma_f64 v[2:3], -v[20:21], v[52:53], v[2:3]
	v_add_u32_e32 v14, 0x800, v14
	s_cmp_ge_u32 s16, s8
	v_fma_f64 v[8:9], -v[22:23], v[30:31], v[8:9]
	v_fma_f64 v[6:7], -v[22:23], v[38:39], v[6:7]
	;; [unrolled: 1-line block ×4, first 2 shown]
	s_cbranch_scc0 .LBB111_85
.LBB111_86:                             ;   in Loop: Header=BB111_83 Depth=1
	s_mul_i32 s16, s8, 0x208
	v_add_u32_e32 v14, 0x8000, v10
	v_add_u32_e32 v10, 0x8000, v13
	v_mov_b32_e32 v13, s16
	ds_read2_b64 v[16:19], v13 offset1:130
	s_add_i32 s13, s13, s8
	s_lshl_b32 s13, s13, 3
	v_mov_b32_e32 v13, s13
	s_add_i32 s12, s12, s8
	s_waitcnt lgkmcnt(0)
	v_div_scale_f64 v[20:21], s[16:17], v[16:17], v[16:17], v[8:9]
	v_rcp_f64_e32 v[22:23], v[20:21]
	v_div_scale_f64 v[24:25], vcc, v[8:9], v[16:17], v[8:9]
	s_lshl_b32 s12, s12, 3
	v_fma_f64 v[26:27], -v[20:21], v[22:23], 1.0
	v_fmac_f64_e32 v[22:23], v[22:23], v[26:27]
	v_fma_f64 v[26:27], -v[20:21], v[22:23], 1.0
	v_fmac_f64_e32 v[22:23], v[22:23], v[26:27]
	v_mul_f64 v[26:27], v[24:25], v[22:23]
	v_fma_f64 v[20:21], -v[20:21], v[26:27], v[24:25]
	v_div_fmas_f64 v[20:21], v[20:21], v[22:23], v[26:27]
	v_div_fixup_f64 v[8:9], v[20:21], v[16:17], v[8:9]
	ds_read_b128 v[20:23], v13
	v_mov_b32_e32 v13, s12
	ds_read_b128 v[24:27], v13
	s_add_i32 s9, s9, s8
	s_lshl_b32 s9, s9, 3
	s_waitcnt lgkmcnt(1)
	v_fma_f64 v[6:7], -v[8:9], v[20:21], v[6:7]
	v_div_scale_f64 v[16:17], s[12:13], v[22:23], v[22:23], v[6:7]
	v_rcp_f64_e32 v[20:21], v[16:17]
	s_waitcnt lgkmcnt(0)
	v_fma_f64 v[4:5], -v[8:9], v[24:25], v[4:5]
	v_mov_b32_e32 v13, s9
	v_add_u32_e32 v11, 0x8000, v11
	v_fma_f64 v[28:29], -v[16:17], v[20:21], 1.0
	v_fmac_f64_e32 v[20:21], v[20:21], v[28:29]
	v_fma_f64 v[28:29], -v[16:17], v[20:21], 1.0
	v_fmac_f64_e32 v[20:21], v[20:21], v[28:29]
	v_div_scale_f64 v[28:29], vcc, v[6:7], v[22:23], v[6:7]
	v_mul_f64 v[30:31], v[28:29], v[20:21]
	v_fma_f64 v[16:17], -v[16:17], v[30:31], v[28:29]
	v_add_u32_e32 v12, 0x8000, v12
	s_nop 0
	v_div_fmas_f64 v[16:17], v[16:17], v[20:21], v[30:31]
	v_div_fixup_f64 v[16:17], v[16:17], v[22:23], v[6:7]
	v_fma_f64 v[24:25], -v[16:17], v[26:27], v[4:5]
	v_div_scale_f64 v[4:5], s[12:13], v[18:19], v[18:19], v[24:25]
	v_rcp_f64_e32 v[26:27], v[4:5]
	s_add_i32 s9, s8, 4
	s_add_i32 s8, s8, 7
	s_addk_i32 s1, 0x800
	v_fma_f64 v[6:7], -v[4:5], v[26:27], 1.0
	v_fmac_f64_e32 v[26:27], v[26:27], v[6:7]
	v_fma_f64 v[6:7], -v[4:5], v[26:27], 1.0
	v_fmac_f64_e32 v[26:27], v[26:27], v[6:7]
	v_div_scale_f64 v[6:7], vcc, v[24:25], v[18:19], v[24:25]
	v_mul_f64 v[28:29], v[6:7], v[26:27]
	v_fma_f64 v[30:31], -v[4:5], v[28:29], v[6:7]
	ds_read_b128 v[4:7], v13
	ds_read_b128 v[20:23], v13 offset:16
	v_div_fmas_f64 v[26:27], v[30:31], v[26:27], v[28:29]
	v_div_fixup_f64 v[18:19], v[26:27], v[18:19], v[24:25]
	ds_write_b64 v14, v[8:9]
	ds_write_b64 v11, v[16:17]
	;; [unrolled: 1-line block ×3, first 2 shown]
	s_waitcnt lgkmcnt(4)
	v_fma_f64 v[2:3], -v[8:9], v[4:5], v[2:3]
	v_fma_f64 v[2:3], -v[16:17], v[6:7], v[2:3]
	s_waitcnt lgkmcnt(3)
	v_fma_f64 v[2:3], -v[18:19], v[20:21], v[2:3]
	v_div_scale_f64 v[4:5], s[12:13], v[22:23], v[22:23], v[2:3]
	v_rcp_f64_e32 v[6:7], v[4:5]
	s_cmp_ge_i32 s8, s31
	v_fma_f64 v[8:9], -v[4:5], v[6:7], 1.0
	v_fmac_f64_e32 v[6:7], v[6:7], v[8:9]
	v_fma_f64 v[8:9], -v[4:5], v[6:7], 1.0
	v_fmac_f64_e32 v[6:7], v[6:7], v[8:9]
	v_div_scale_f64 v[8:9], vcc, v[2:3], v[22:23], v[2:3]
	v_mul_f64 v[12:13], v[8:9], v[6:7]
	v_fma_f64 v[4:5], -v[4:5], v[12:13], v[8:9]
	s_nop 1
	v_div_fmas_f64 v[4:5], v[4:5], v[6:7], v[12:13]
	v_div_fixup_f64 v[2:3], v[4:5], v[22:23], v[2:3]
	ds_write_b64 v10, v[2:3]
	s_cbranch_scc1 .LBB111_88
; %bb.87:                               ;   in Loop: Header=BB111_83 Depth=1
	s_mov_b32 s8, s9
	s_branch .LBB111_83
.LBB111_88:
	s_cmp_ge_i32 s9, s31
	s_cbranch_scc1 .LBB111_99
; %bb.89:
	v_mov_b32_e32 v1, 0x8000
	s_add_i32 s1, s9, -1
	v_lshl_or_b32 v1, v0, 3, v1
	s_lshl_b32 s8, s9, 9
	s_mov_b32 s12, 0
	v_lshlrev_b32_e32 v4, 3, v0
	s_mov_b32 s13, s9
	s_branch .LBB111_91
.LBB111_90:                             ;   in Loop: Header=BB111_91 Depth=1
	s_mul_i32 s16, s9, 0x208
	v_mov_b32_e32 v6, s16
	ds_read_b64 v[6:7], v6
	v_add_u32_e32 v5, 0x8000, v5
	s_add_i32 s9, s9, 1
	s_add_i32 s12, s12, 1
	s_addk_i32 s8, 0x200
	s_waitcnt lgkmcnt(0)
	v_div_scale_f64 v[8:9], s[16:17], v[6:7], v[6:7], v[2:3]
	v_rcp_f64_e32 v[10:11], v[8:9]
	v_div_scale_f64 v[12:13], vcc, v[2:3], v[6:7], v[2:3]
	s_cmp_ge_i32 s9, s31
	v_fma_f64 v[14:15], -v[8:9], v[10:11], 1.0
	v_fmac_f64_e32 v[10:11], v[10:11], v[14:15]
	v_fma_f64 v[14:15], -v[8:9], v[10:11], 1.0
	v_fmac_f64_e32 v[10:11], v[10:11], v[14:15]
	v_mul_f64 v[14:15], v[12:13], v[10:11]
	v_fma_f64 v[8:9], -v[8:9], v[14:15], v[12:13]
	v_div_fmas_f64 v[8:9], v[8:9], v[10:11], v[14:15]
	v_div_fixup_f64 v[2:3], v[8:9], v[6:7], v[2:3]
	ds_write_b64 v5, v[2:3]
	v_add_u16_e64 v2, s13, 1
	v_readfirstlane_b32 s13, v2
	s_cbranch_scc1 .LBB111_99
.LBB111_91:                             ; =>This Loop Header: Depth=1
                                        ;     Child Loop BB111_94 Depth 2
                                        ;     Child Loop BB111_98 Depth 2
	v_lshl_or_b32 v5, s9, 9, v4
	ds_read_b64 v[2:3], v5 offset:32768
	s_cmp_eq_u32 s9, 0
	s_cbranch_scc1 .LBB111_90
; %bb.92:                               ;   in Loop: Header=BB111_91 Depth=1
	s_add_i32 s16, s1, s12
	s_cmp_lt_u32 s16, 7
	s_cbranch_scc1 .LBB111_96
; %bb.93:                               ;   in Loop: Header=BB111_91 Depth=1
	s_and_b32 s16, s9, -8
	s_mov_b32 s17, 0
	s_mov_b32 s18, s8
	v_mov_b32_e32 v6, v1
.LBB111_94:                             ;   Parent Loop BB111_91 Depth=1
                                        ; =>  This Inner Loop Header: Depth=2
	v_mov_b32_e32 v7, s18
	ds_read2st64_b64 v[8:11], v6 offset1:1
	ds_read2st64_b64 v[12:15], v6 offset0:2 offset1:3
	ds_read2st64_b64 v[16:19], v6 offset0:4 offset1:5
	;; [unrolled: 1-line block ×3, first 2 shown]
	ds_read_b128 v[24:27], v7
	ds_read_b128 v[28:31], v7 offset:16
	ds_read_b128 v[32:35], v7 offset:32
	;; [unrolled: 1-line block ×3, first 2 shown]
	s_add_i32 s17, s17, 8
	s_waitcnt lgkmcnt(3)
	v_fma_f64 v[2:3], -v[8:9], v[24:25], v[2:3]
	v_fma_f64 v[2:3], -v[10:11], v[26:27], v[2:3]
	s_waitcnt lgkmcnt(2)
	v_fma_f64 v[2:3], -v[12:13], v[28:29], v[2:3]
	v_fma_f64 v[2:3], -v[14:15], v[30:31], v[2:3]
	;; [unrolled: 3-line block ×3, first 2 shown]
	s_add_i32 s18, s18, 64
	s_waitcnt lgkmcnt(0)
	v_fma_f64 v[2:3], -v[20:21], v[36:37], v[2:3]
	v_add_u32_e32 v6, 0x1000, v6
	s_cmp_eq_u32 s16, s17
	v_fma_f64 v[2:3], -v[22:23], v[38:39], v[2:3]
	s_cbranch_scc0 .LBB111_94
; %bb.95:                               ;   in Loop: Header=BB111_91 Depth=1
	s_and_b32 s17, s9, 7
	s_cmp_eq_u32 s17, 0
	s_cbranch_scc0 .LBB111_97
	s_branch .LBB111_90
.LBB111_96:                             ;   in Loop: Header=BB111_91 Depth=1
	s_mov_b32 s16, 0
	s_and_b32 s17, s9, 7
	s_cmp_eq_u32 s17, 0
	s_cbranch_scc1 .LBB111_90
.LBB111_97:                             ;   in Loop: Header=BB111_91 Depth=1
	s_and_b32 s17, s13, 7
	s_lshl_b32 s18, s16, 3
	v_lshl_add_u32 v6, s16, 9, v1
.LBB111_98:                             ;   Parent Loop BB111_91 Depth=1
                                        ; =>  This Inner Loop Header: Depth=2
	s_add_i32 s16, s8, s18
	v_mov_b32_e32 v7, s16
	ds_read_b64 v[8:9], v6
	ds_read_b64 v[10:11], v7
	s_add_i32 s18, s18, 8
	s_add_i32 s17, s17, -1
	v_add_u32_e32 v6, 0x200, v6
	s_cmp_lg_u32 s17, 0
	s_waitcnt lgkmcnt(0)
	v_fma_f64 v[2:3], -v[8:9], v[10:11], v[2:3]
	s_cbranch_scc1 .LBB111_98
	s_branch .LBB111_90
.LBB111_99:
	s_and_saveexec_b64 s[8:9], s[10:11]
	s_cbranch_execz .LBB111_106
; %bb.100:
	s_ashr_i32 s1, s0, 31
	s_mov_b32 s16, 0
	s_cmp_lt_u32 s30, 4
	v_lshlrev_b32_e32 v4, 3, v0
	s_cbranch_scc1 .LBB111_103
; %bb.101:
	v_mov_b32_e32 v1, s25
	v_add_co_u32_e32 v2, vcc, s24, v4
	v_addc_co_u32_e32 v3, vcc, 0, v1, vcc
	v_mov_b32_e32 v1, 0x8000
	s_mul_hi_i32 s19, s0, 24
	s_lshl_b64 s[8:9], s[0:1], 5
	s_lshl_b64 s[10:11], s[0:1], 4
	s_lshl_b64 s[12:13], s[0:1], 3
	s_and_b32 s16, s30, 0x7ffffffc
	v_lshl_or_b32 v0, v0, 3, v1
	s_mul_i32 s17, s0, 24
	s_mov_b32 s18, 0
	v_mov_b32_e32 v1, s13
	v_mov_b32_e32 v5, s11
	;; [unrolled: 1-line block ×4, first 2 shown]
.LBB111_102:                            ; =>This Inner Loop Header: Depth=1
	v_add_co_u32_e32 v16, vcc, s12, v2
	v_addc_co_u32_e32 v17, vcc, v3, v1, vcc
	ds_read2st64_b64 v[8:11], v0 offset1:1
	ds_read2st64_b64 v[12:15], v0 offset0:2 offset1:3
	v_add_co_u32_e32 v18, vcc, s10, v2
	v_addc_co_u32_e32 v19, vcc, v3, v5, vcc
	v_add_co_u32_e32 v20, vcc, s17, v2
	v_addc_co_u32_e32 v21, vcc, v3, v6, vcc
	s_add_i32 s18, s18, 4
	s_waitcnt lgkmcnt(1)
	global_store_dwordx2 v[2:3], v[8:9], off
	global_store_dwordx2 v[16:17], v[10:11], off
	s_waitcnt lgkmcnt(0)
	global_store_dwordx2 v[18:19], v[12:13], off
	global_store_dwordx2 v[20:21], v[14:15], off
	v_add_co_u32_e32 v2, vcc, s8, v2
	v_add_u32_e32 v0, 0x800, v0
	s_cmp_lg_u32 s16, s18
	v_addc_co_u32_e32 v3, vcc, v3, v7, vcc
	s_cbranch_scc1 .LBB111_102
.LBB111_103:
	s_and_b32 s8, s30, 3
	s_cmp_eq_u32 s8, 0
	s_cbranch_scc1 .LBB111_106
; %bb.104:
	s_mul_hi_i32 s11, s0, s16
	s_mul_i32 s10, s0, s16
	s_lshl_b64 s[10:11], s[10:11], 3
	s_add_u32 s9, s14, s10
	s_addc_u32 s10, s15, s11
	s_add_u32 s6, s9, s6
	s_addc_u32 s7, s10, s7
	;; [unrolled: 2-line block ×4, first 2 shown]
	v_mov_b32_e32 v1, s3
	v_add_co_u32_e32 v0, vcc, s2, v4
	s_lshl_b64 s[0:1], s[0:1], 3
	v_lshl_or_b32 v2, s16, 9, v4
	v_addc_co_u32_e32 v1, vcc, 0, v1, vcc
	v_add_u32_e32 v2, 0x8000, v2
	v_mov_b32_e32 v3, s1
.LBB111_105:                            ; =>This Inner Loop Header: Depth=1
	ds_read_b64 v[4:5], v2
	s_add_i32 s8, s8, -1
	v_add_u32_e32 v2, 0x200, v2
	s_cmp_lg_u32 s8, 0
	s_waitcnt lgkmcnt(0)
	global_store_dwordx2 v[0:1], v[4:5], off
	v_add_co_u32_e32 v0, vcc, s0, v0
	v_addc_co_u32_e32 v1, vcc, v1, v3, vcc
	s_cbranch_scc1 .LBB111_105
.LBB111_106:
	s_endpgm
	.section	.rodata,"a",@progbits
	.p2align	6, 0x0
	.amdhsa_kernel _ZL31rocblas_trsm_small_right_deviceIddPKdPdLi64EEv13rocblas_fill_18rocblas_operation_17rocblas_diagonal_iiT0_T1_lilT2_lili
		.amdhsa_group_segment_fixed_size 65536
		.amdhsa_private_segment_fixed_size 0
		.amdhsa_kernarg_size 360
		.amdhsa_user_sgpr_count 6
		.amdhsa_user_sgpr_private_segment_buffer 1
		.amdhsa_user_sgpr_dispatch_ptr 0
		.amdhsa_user_sgpr_queue_ptr 0
		.amdhsa_user_sgpr_kernarg_segment_ptr 1
		.amdhsa_user_sgpr_dispatch_id 0
		.amdhsa_user_sgpr_flat_scratch_init 0
		.amdhsa_user_sgpr_kernarg_preload_length 0
		.amdhsa_user_sgpr_kernarg_preload_offset 0
		.amdhsa_user_sgpr_private_segment_size 0
		.amdhsa_uses_dynamic_stack 0
		.amdhsa_system_sgpr_private_segment_wavefront_offset 0
		.amdhsa_system_sgpr_workgroup_id_x 1
		.amdhsa_system_sgpr_workgroup_id_y 0
		.amdhsa_system_sgpr_workgroup_id_z 1
		.amdhsa_system_sgpr_workgroup_info 0
		.amdhsa_system_vgpr_workitem_id 0
		.amdhsa_next_free_vgpr 56
		.amdhsa_next_free_sgpr 38
		.amdhsa_accum_offset 56
		.amdhsa_reserve_vcc 1
		.amdhsa_reserve_flat_scratch 0
		.amdhsa_float_round_mode_32 0
		.amdhsa_float_round_mode_16_64 0
		.amdhsa_float_denorm_mode_32 3
		.amdhsa_float_denorm_mode_16_64 3
		.amdhsa_dx10_clamp 1
		.amdhsa_ieee_mode 1
		.amdhsa_fp16_overflow 0
		.amdhsa_tg_split 0
		.amdhsa_exception_fp_ieee_invalid_op 0
		.amdhsa_exception_fp_denorm_src 0
		.amdhsa_exception_fp_ieee_div_zero 0
		.amdhsa_exception_fp_ieee_overflow 0
		.amdhsa_exception_fp_ieee_underflow 0
		.amdhsa_exception_fp_ieee_inexact 0
		.amdhsa_exception_int_div_zero 0
	.end_amdhsa_kernel
	.section	.text._ZL31rocblas_trsm_small_right_deviceIddPKdPdLi64EEv13rocblas_fill_18rocblas_operation_17rocblas_diagonal_iiT0_T1_lilT2_lili,"axG",@progbits,_ZL31rocblas_trsm_small_right_deviceIddPKdPdLi64EEv13rocblas_fill_18rocblas_operation_17rocblas_diagonal_iiT0_T1_lilT2_lili,comdat
.Lfunc_end111:
	.size	_ZL31rocblas_trsm_small_right_deviceIddPKdPdLi64EEv13rocblas_fill_18rocblas_operation_17rocblas_diagonal_iiT0_T1_lilT2_lili, .Lfunc_end111-_ZL31rocblas_trsm_small_right_deviceIddPKdPdLi64EEv13rocblas_fill_18rocblas_operation_17rocblas_diagonal_iiT0_T1_lilT2_lili
                                        ; -- End function
	.section	.AMDGPU.csdata,"",@progbits
; Kernel info:
; codeLenInByte = 8008
; NumSgprs: 42
; NumVgprs: 56
; NumAgprs: 0
; TotalNumVgprs: 56
; ScratchSize: 0
; MemoryBound: 0
; FloatMode: 240
; IeeeMode: 1
; LDSByteSize: 65536 bytes/workgroup (compile time only)
; SGPRBlocks: 5
; VGPRBlocks: 6
; NumSGPRsForWavesPerEU: 42
; NumVGPRsForWavesPerEU: 56
; AccumOffset: 56
; Occupancy: 1
; WaveLimiterHint : 0
; COMPUTE_PGM_RSRC2:SCRATCH_EN: 0
; COMPUTE_PGM_RSRC2:USER_SGPR: 6
; COMPUTE_PGM_RSRC2:TRAP_HANDLER: 0
; COMPUTE_PGM_RSRC2:TGID_X_EN: 1
; COMPUTE_PGM_RSRC2:TGID_Y_EN: 0
; COMPUTE_PGM_RSRC2:TGID_Z_EN: 1
; COMPUTE_PGM_RSRC2:TIDIG_COMP_CNT: 0
; COMPUTE_PGM_RSRC3_GFX90A:ACCUM_OFFSET: 13
; COMPUTE_PGM_RSRC3_GFX90A:TG_SPLIT: 0
	.section	.text._ZL39rocblas_trsm_block_forward_substitutionIddPKdPdLb0ELb0ELb0EEv18rocblas_operation_llT0_T1_lllT2_lllib,"axG",@progbits,_ZL39rocblas_trsm_block_forward_substitutionIddPKdPdLb0ELb0ELb0EEv18rocblas_operation_llT0_T1_lllT2_lllib,comdat
	.globl	_ZL39rocblas_trsm_block_forward_substitutionIddPKdPdLb0ELb0ELb0EEv18rocblas_operation_llT0_T1_lllT2_lllib ; -- Begin function _ZL39rocblas_trsm_block_forward_substitutionIddPKdPdLb0ELb0ELb0EEv18rocblas_operation_llT0_T1_lllT2_lllib
	.p2align	8
	.type	_ZL39rocblas_trsm_block_forward_substitutionIddPKdPdLb0ELb0ELb0EEv18rocblas_operation_llT0_T1_lllT2_lllib,@function
_ZL39rocblas_trsm_block_forward_substitutionIddPKdPdLb0ELb0ELb0EEv18rocblas_operation_llT0_T1_lllT2_lllib: ; @_ZL39rocblas_trsm_block_forward_substitutionIddPKdPdLb0ELb0ELb0EEv18rocblas_operation_llT0_T1_lllT2_lllib
; %bb.0:
	s_load_dword s9, s[4:5], 0x64
	s_load_dwordx16 s[12:27], s[4:5], 0x8
	s_load_dword s6, s[4:5], 0x74
	v_and_b32_e32 v2, 0x3ff, v0
	v_bfe_u32 v8, v0, 10, 10
	s_waitcnt lgkmcnt(0)
	s_bitcmp1_b32 s9, 0
	s_mul_i32 s2, s8, s25
	s_mul_hi_u32 s3, s8, s24
	s_cselect_b64 s[0:1], -1, 0
	s_add_i32 s3, s3, s2
	s_mul_i32 s2, s8, s24
	s_lshl_b64 s[2:3], s[2:3], 3
	s_add_u32 s10, s18, s2
	s_addc_u32 s11, s19, s3
	s_lshl_b64 s[2:3], s[20:21], 3
	s_add_u32 s2, s10, s2
	s_addc_u32 s3, s11, s3
	s_add_u32 s10, s4, 0x68
	s_addc_u32 s11, s5, 0
	s_lshr_b32 s6, s6, 16
	s_bitcmp0_b32 s9, 0
	s_cbranch_scc1 .LBB112_13
; %bb.1:
	s_lshl_b32 s9, s6, 3
	v_cmp_lt_i64_e64 s[20:21], s[12:13], 1
	s_add_i32 s18, s9, 0
	s_and_b64 vcc, exec, s[20:21]
	s_cbranch_vccnz .LBB112_12
; %bb.2:
	v_lshlrev_b32_e32 v0, 3, v2
	v_mov_b32_e32 v3, 0
	v_cmp_le_u64_e32 vcc, s[12:13], v[2:3]
	v_mov_b32_e32 v1, s3
	v_add_co_u32_e64 v3, s[2:3], s2, v0
	v_add_u32_e32 v9, s18, v0
	v_addc_co_u32_e64 v10, s[2:3], 0, v1, s[2:3]
	v_mad_u64_u32 v[0:1], s[2:3], v2, s22, 0
	v_mov_b32_e32 v4, v1
	v_mad_u64_u32 v[4:5], s[2:3], v2, s23, v[4:5]
	v_mov_b32_e32 v1, v4
	v_lshlrev_b64 v[0:1], 3, v[0:1]
	v_add_co_u32_e64 v0, s[2:3], v3, v0
	v_addc_co_u32_e64 v1, s[2:3], v10, v1, s[2:3]
	s_xor_b64 s[2:3], vcc, -1
	v_pk_mov_b32 v[4:5], s[12:13], s[12:13] op_sel:[0,1]
	s_mov_b32 s20, s6
	v_mov_b32_e32 v11, v8
	s_branch .LBB112_4
.LBB112_3:                              ;   in Loop: Header=BB112_4 Depth=1
	s_or_b64 exec, exec, s[28:29]
	s_ashr_i32 s21, s20, 31
	v_cmp_ge_i64_e32 vcc, s[20:21], v[4:5]
	v_add_u32_e32 v11, s6, v11
	s_add_i32 s20, s20, s6
	s_cbranch_vccnz .LBB112_12
.LBB112_4:                              ; =>This Inner Loop Header: Depth=1
	v_cmp_gt_i32_e32 vcc, v2, v11
	s_and_b64 s[28:29], s[2:3], vcc
	s_mov_b64 s[24:25], 0
                                        ; implicit-def: $vgpr6_vgpr7
	s_and_saveexec_b64 s[30:31], s[28:29]
	s_xor_b64 s[28:29], exec, s[30:31]
	s_cbranch_execnz .LBB112_7
; %bb.5:                                ;   in Loop: Header=BB112_4 Depth=1
	s_or_saveexec_b64 s[28:29], s[28:29]
	v_mov_b32_e32 v12, v11
	s_xor_b64 exec, exec, s[28:29]
	s_cbranch_execnz .LBB112_8
.LBB112_6:                              ;   in Loop: Header=BB112_4 Depth=1
	s_or_b64 exec, exec, s[28:29]
	s_and_saveexec_b64 s[28:29], s[24:25]
	s_cbranch_execz .LBB112_3
	s_branch .LBB112_11
.LBB112_7:                              ;   in Loop: Header=BB112_4 Depth=1
	s_waitcnt vmcnt(0)
	v_ashrrev_i32_e32 v6, 31, v11
	v_mul_lo_u32 v12, v11, s23
	v_mul_lo_u32 v13, v6, s22
	v_mad_u64_u32 v[6:7], s[30:31], v11, s22, 0
	v_add3_u32 v7, v7, v12, v13
	v_lshlrev_b64 v[6:7], 3, v[6:7]
	v_add_co_u32_e32 v6, vcc, v3, v6
	v_addc_co_u32_e32 v7, vcc, v10, v7, vcc
	global_load_dwordx2 v[6:7], v[6:7], off
	s_mov_b64 s[24:25], exec
	s_or_saveexec_b64 s[28:29], s[28:29]
	v_mov_b32_e32 v12, v11
	s_xor_b64 exec, exec, s[28:29]
	s_cbranch_execz .LBB112_6
.LBB112_8:                              ;   in Loop: Header=BB112_4 Depth=1
	v_cmp_eq_u32_e32 vcc, v2, v11
	s_and_b64 s[36:37], s[2:3], vcc
	s_mov_b64 s[34:35], s[24:25]
                                        ; implicit-def: $vgpr6_vgpr7
	s_and_saveexec_b64 s[30:31], s[36:37]
	s_cbranch_execz .LBB112_10
; %bb.9:                                ;   in Loop: Header=BB112_4 Depth=1
	global_load_dwordx2 v[6:7], v[0:1], off
	s_waitcnt vmcnt(0)
	v_div_scale_f64 v[12:13], s[34:35], v[6:7], v[6:7], 1.0
	v_rcp_f64_e32 v[14:15], v[12:13]
	v_div_scale_f64 v[16:17], vcc, 1.0, v[6:7], 1.0
	s_or_b64 s[34:35], s[24:25], exec
	v_fma_f64 v[18:19], -v[12:13], v[14:15], 1.0
	v_fmac_f64_e32 v[14:15], v[14:15], v[18:19]
	v_fma_f64 v[18:19], -v[12:13], v[14:15], 1.0
	v_fmac_f64_e32 v[14:15], v[14:15], v[18:19]
	v_mul_f64 v[18:19], v[16:17], v[14:15]
	v_fma_f64 v[12:13], -v[12:13], v[18:19], v[16:17]
	v_div_fmas_f64 v[12:13], v[12:13], v[14:15], v[18:19]
	v_div_fixup_f64 v[6:7], v[12:13], v[6:7], 1.0
.LBB112_10:                             ;   in Loop: Header=BB112_4 Depth=1
	s_or_b64 exec, exec, s[30:31]
	s_andn2_b64 s[24:25], s[24:25], exec
	s_and_b64 s[30:31], s[34:35], exec
	s_or_b64 s[24:25], s[24:25], s[30:31]
	v_mov_b32_e32 v12, v2
	s_or_b64 exec, exec, s[28:29]
	s_and_saveexec_b64 s[28:29], s[24:25]
	s_cbranch_execz .LBB112_3
.LBB112_11:                             ;   in Loop: Header=BB112_4 Depth=1
	s_load_dword s9, s[10:11], 0xc
	s_waitcnt lgkmcnt(0)
	s_and_b32 s9, s9, 0xffff
	v_mul_lo_u32 v12, v12, s9
	v_lshl_add_u32 v12, v12, 3, v9
	s_waitcnt vmcnt(0)
	ds_write_b64 v12, v[6:7]
	s_branch .LBB112_3
.LBB112_12:
	s_load_dword s9, s[10:11], 0xc
	s_mov_b64 s[2:3], src_shared_base
	s_mov_b32 s19, s3
	s_mov_b32 s23, 0
	s_mov_b64 s[2:3], s[18:19]
	s_waitcnt lgkmcnt(0)
	s_and_b32 s22, s9, 0xffff
.LBB112_13:
	s_mul_i32 s7, s7, s6
	v_add_u32_e32 v0, s7, v8
	v_mov_b32_e32 v1, 0
	v_cmp_gt_i64_e32 vcc, s[14:15], v[0:1]
	s_and_saveexec_b64 s[6:7], vcc
	s_cbranch_execz .LBB112_25
; %bb.14:
	v_mov_b32_e32 v3, v1
	v_cmp_gt_i64_e32 vcc, s[12:13], v[2:3]
	s_and_b64 exec, exec, vcc
	s_cbranch_execz .LBB112_25
; %bb.15:
	s_load_dwordx2 s[6:7], s[4:5], 0x58
	s_load_dwordx4 s[28:31], s[4:5], 0x48
	v_lshlrev_b32_e32 v9, 3, v2
	s_waitcnt lgkmcnt(0)
	s_mul_i32 s5, s8, s7
	s_mul_hi_u32 s7, s8, s6
	s_mul_i32 s4, s8, s6
	s_add_i32 s5, s7, s5
	s_lshl_b64 s[4:5], s[4:5], 3
	s_add_u32 s6, s26, s4
	s_addc_u32 s7, s27, s5
	s_lshl_b64 s[4:5], s[28:29], 3
	s_add_u32 s6, s6, s4
	s_addc_u32 s7, s7, s5
	v_mad_u64_u32 v[4:5], s[4:5], v0, s30, 0
	s_waitcnt vmcnt(0)
	v_mov_b32_e32 v6, v5
	v_mad_u64_u32 v[0:1], s[4:5], v0, s31, v[6:7]
	v_mov_b32_e32 v5, v0
	v_lshlrev_b64 v[0:1], 3, v[4:5]
	v_mov_b32_e32 v4, s7
	v_add_co_u32_e32 v0, vcc, s6, v0
	v_addc_co_u32_e32 v1, vcc, v4, v1, vcc
	v_add_co_u32_e32 v0, vcc, v0, v9
	v_addc_co_u32_e32 v1, vcc, 0, v1, vcc
	global_load_dwordx2 v[4:5], v[0:1], off
	v_cmp_lt_u64_e64 s[6:7], s[12:13], 2
	s_add_u32 s4, s12, -1
	s_addc_u32 s5, s13, -1
	s_and_b64 vcc, exec, s[6:7]
	s_waitcnt vmcnt(0)
	v_mul_f64 v[4:5], v[4:5], s[16:17]
	s_cbranch_vccnz .LBB112_22
; %bb.16:
	v_mad_u64_u32 v[6:7], s[6:7], v2, s22, v[2:3]
	v_mov_b32_e32 v10, v7
	v_mad_u64_u32 v[10:11], s[6:7], v2, s23, v[10:11]
	v_mov_b32_e32 v7, v10
	v_lshlrev_b64 v[6:7], 3, v[6:7]
	v_mov_b32_e32 v11, s3
	v_add_co_u32_e32 v6, vcc, s2, v6
	v_addc_co_u32_e32 v7, vcc, v11, v7, vcc
	v_lshl_add_u32 v10, v8, 3, 0
	v_add_co_u32_e32 v8, vcc, s2, v9
	s_lshl_b64 s[6:7], s[22:23], 3
	v_addc_co_u32_e32 v9, vcc, 0, v11, vcc
	s_mov_b64 s[8:9], 0
	v_mov_b32_e32 v11, s7
	s_branch .LBB112_18
.LBB112_17:                             ;   in Loop: Header=BB112_18 Depth=1
	s_or_b64 exec, exec, s[10:11]
	s_add_u32 s8, s8, 1
	s_addc_u32 s9, s9, 0
	v_add_co_u32_e32 v8, vcc, s6, v8
	s_cmp_eq_u64 s[4:5], s[8:9]
	v_addc_co_u32_e32 v9, vcc, v9, v11, vcc
	s_cbranch_scc1 .LBB112_22
.LBB112_18:                             ; =>This Inner Loop Header: Depth=1
	v_cmp_eq_u64_e32 vcc, s[8:9], v[2:3]
	s_barrier
	s_and_saveexec_b64 s[10:11], vcc
	s_cbranch_execz .LBB112_20
; %bb.19:                               ;   in Loop: Header=BB112_18 Depth=1
	flat_load_dwordx2 v[12:13], v[6:7]
	s_waitcnt vmcnt(0) lgkmcnt(0)
	v_div_scale_f64 v[14:15], s[12:13], v[12:13], v[12:13], 1.0
	v_rcp_f64_e32 v[16:17], v[14:15]
	v_div_scale_f64 v[18:19], vcc, 1.0, v[12:13], 1.0
	v_fma_f64 v[20:21], -v[14:15], v[16:17], 1.0
	v_fmac_f64_e32 v[16:17], v[16:17], v[20:21]
	v_fma_f64 v[20:21], -v[14:15], v[16:17], 1.0
	v_fmac_f64_e32 v[16:17], v[16:17], v[20:21]
	v_mul_f64 v[20:21], v[18:19], v[16:17]
	v_fma_f64 v[14:15], -v[14:15], v[20:21], v[18:19]
	v_div_fmas_f64 v[14:15], v[14:15], v[16:17], v[20:21]
	v_div_fixup_f64 v[14:15], v[14:15], v[12:13], 1.0
	v_cndmask_b32_e64 v13, v15, v13, s[0:1]
	v_cndmask_b32_e64 v12, v14, v12, s[0:1]
	v_mul_f64 v[4:5], v[4:5], v[12:13]
	ds_write_b64 v10, v[4:5]
.LBB112_20:                             ;   in Loop: Header=BB112_18 Depth=1
	s_or_b64 exec, exec, s[10:11]
	v_cmp_lt_u64_e32 vcc, s[8:9], v[2:3]
	s_waitcnt lgkmcnt(0)
	s_barrier
	s_and_saveexec_b64 s[10:11], vcc
	s_cbranch_execz .LBB112_17
; %bb.21:                               ;   in Loop: Header=BB112_18 Depth=1
	flat_load_dwordx2 v[12:13], v[8:9]
	ds_read_b64 v[14:15], v10
	s_waitcnt vmcnt(0) lgkmcnt(0)
	v_fma_f64 v[4:5], -v[12:13], v[14:15], v[4:5]
	s_branch .LBB112_17
.LBB112_22:
	v_cmp_eq_u64_e32 vcc, s[4:5], v[2:3]
	s_and_saveexec_b64 s[4:5], vcc
	s_cbranch_execz .LBB112_24
; %bb.23:
	v_mad_u64_u32 v[6:7], s[6:7], v2, s22, v[2:3]
	v_mov_b32_e32 v8, v7
	v_mad_u64_u32 v[2:3], s[6:7], v2, s23, v[8:9]
	v_mov_b32_e32 v7, v2
	v_lshlrev_b64 v[2:3], 3, v[6:7]
	v_mov_b32_e32 v6, s3
	v_add_co_u32_e32 v2, vcc, s2, v2
	v_addc_co_u32_e32 v3, vcc, v6, v3, vcc
	flat_load_dwordx2 v[2:3], v[2:3]
	s_waitcnt vmcnt(0) lgkmcnt(0)
	v_div_scale_f64 v[6:7], s[2:3], v[2:3], v[2:3], 1.0
	v_rcp_f64_e32 v[8:9], v[6:7]
	v_div_scale_f64 v[10:11], vcc, 1.0, v[2:3], 1.0
	v_fma_f64 v[12:13], -v[6:7], v[8:9], 1.0
	v_fmac_f64_e32 v[8:9], v[8:9], v[12:13]
	v_fma_f64 v[12:13], -v[6:7], v[8:9], 1.0
	v_fmac_f64_e32 v[8:9], v[8:9], v[12:13]
	v_mul_f64 v[12:13], v[10:11], v[8:9]
	v_fma_f64 v[6:7], -v[6:7], v[12:13], v[10:11]
	v_div_fmas_f64 v[6:7], v[6:7], v[8:9], v[12:13]
	v_div_fixup_f64 v[6:7], v[6:7], v[2:3], 1.0
	v_cndmask_b32_e64 v3, v7, v3, s[0:1]
	v_cndmask_b32_e64 v2, v6, v2, s[0:1]
	v_mul_f64 v[4:5], v[4:5], v[2:3]
.LBB112_24:
	s_or_b64 exec, exec, s[4:5]
	global_store_dwordx2 v[0:1], v[4:5], off
.LBB112_25:
	s_endpgm
	.section	.rodata,"a",@progbits
	.p2align	6, 0x0
	.amdhsa_kernel _ZL39rocblas_trsm_block_forward_substitutionIddPKdPdLb0ELb0ELb0EEv18rocblas_operation_llT0_T1_lllT2_lllib
		.amdhsa_group_segment_fixed_size 0
		.amdhsa_private_segment_fixed_size 0
		.amdhsa_kernarg_size 360
		.amdhsa_user_sgpr_count 6
		.amdhsa_user_sgpr_private_segment_buffer 1
		.amdhsa_user_sgpr_dispatch_ptr 0
		.amdhsa_user_sgpr_queue_ptr 0
		.amdhsa_user_sgpr_kernarg_segment_ptr 1
		.amdhsa_user_sgpr_dispatch_id 0
		.amdhsa_user_sgpr_flat_scratch_init 0
		.amdhsa_user_sgpr_kernarg_preload_length 0
		.amdhsa_user_sgpr_kernarg_preload_offset 0
		.amdhsa_user_sgpr_private_segment_size 0
		.amdhsa_uses_dynamic_stack 0
		.amdhsa_system_sgpr_private_segment_wavefront_offset 0
		.amdhsa_system_sgpr_workgroup_id_x 1
		.amdhsa_system_sgpr_workgroup_id_y 1
		.amdhsa_system_sgpr_workgroup_id_z 1
		.amdhsa_system_sgpr_workgroup_info 0
		.amdhsa_system_vgpr_workitem_id 1
		.amdhsa_next_free_vgpr 22
		.amdhsa_next_free_sgpr 38
		.amdhsa_accum_offset 24
		.amdhsa_reserve_vcc 1
		.amdhsa_reserve_flat_scratch 0
		.amdhsa_float_round_mode_32 0
		.amdhsa_float_round_mode_16_64 0
		.amdhsa_float_denorm_mode_32 3
		.amdhsa_float_denorm_mode_16_64 3
		.amdhsa_dx10_clamp 1
		.amdhsa_ieee_mode 1
		.amdhsa_fp16_overflow 0
		.amdhsa_tg_split 0
		.amdhsa_exception_fp_ieee_invalid_op 0
		.amdhsa_exception_fp_denorm_src 0
		.amdhsa_exception_fp_ieee_div_zero 0
		.amdhsa_exception_fp_ieee_overflow 0
		.amdhsa_exception_fp_ieee_underflow 0
		.amdhsa_exception_fp_ieee_inexact 0
		.amdhsa_exception_int_div_zero 0
	.end_amdhsa_kernel
	.section	.text._ZL39rocblas_trsm_block_forward_substitutionIddPKdPdLb0ELb0ELb0EEv18rocblas_operation_llT0_T1_lllT2_lllib,"axG",@progbits,_ZL39rocblas_trsm_block_forward_substitutionIddPKdPdLb0ELb0ELb0EEv18rocblas_operation_llT0_T1_lllT2_lllib,comdat
.Lfunc_end112:
	.size	_ZL39rocblas_trsm_block_forward_substitutionIddPKdPdLb0ELb0ELb0EEv18rocblas_operation_llT0_T1_lllT2_lllib, .Lfunc_end112-_ZL39rocblas_trsm_block_forward_substitutionIddPKdPdLb0ELb0ELb0EEv18rocblas_operation_llT0_T1_lllT2_lllib
                                        ; -- End function
	.section	.AMDGPU.csdata,"",@progbits
; Kernel info:
; codeLenInByte = 1328
; NumSgprs: 42
; NumVgprs: 22
; NumAgprs: 0
; TotalNumVgprs: 22
; ScratchSize: 0
; MemoryBound: 1
; FloatMode: 240
; IeeeMode: 1
; LDSByteSize: 0 bytes/workgroup (compile time only)
; SGPRBlocks: 5
; VGPRBlocks: 2
; NumSGPRsForWavesPerEU: 42
; NumVGPRsForWavesPerEU: 22
; AccumOffset: 24
; Occupancy: 8
; WaveLimiterHint : 1
; COMPUTE_PGM_RSRC2:SCRATCH_EN: 0
; COMPUTE_PGM_RSRC2:USER_SGPR: 6
; COMPUTE_PGM_RSRC2:TRAP_HANDLER: 0
; COMPUTE_PGM_RSRC2:TGID_X_EN: 1
; COMPUTE_PGM_RSRC2:TGID_Y_EN: 1
; COMPUTE_PGM_RSRC2:TGID_Z_EN: 1
; COMPUTE_PGM_RSRC2:TIDIG_COMP_CNT: 1
; COMPUTE_PGM_RSRC3_GFX90A:ACCUM_OFFSET: 5
; COMPUTE_PGM_RSRC3_GFX90A:TG_SPLIT: 0
	.section	.text._ZL40rocblas_trsm_block_backward_substitutionIddPKdPdLb0ELb0ELb0EEv18rocblas_operation_llT0_T1_lllT2_lllib,"axG",@progbits,_ZL40rocblas_trsm_block_backward_substitutionIddPKdPdLb0ELb0ELb0EEv18rocblas_operation_llT0_T1_lllT2_lllib,comdat
	.globl	_ZL40rocblas_trsm_block_backward_substitutionIddPKdPdLb0ELb0ELb0EEv18rocblas_operation_llT0_T1_lllT2_lllib ; -- Begin function _ZL40rocblas_trsm_block_backward_substitutionIddPKdPdLb0ELb0ELb0EEv18rocblas_operation_llT0_T1_lllT2_lllib
	.p2align	8
	.type	_ZL40rocblas_trsm_block_backward_substitutionIddPKdPdLb0ELb0ELb0EEv18rocblas_operation_llT0_T1_lllT2_lllib,@function
_ZL40rocblas_trsm_block_backward_substitutionIddPKdPdLb0ELb0ELb0EEv18rocblas_operation_llT0_T1_lllT2_lllib: ; @_ZL40rocblas_trsm_block_backward_substitutionIddPKdPdLb0ELb0ELb0EEv18rocblas_operation_llT0_T1_lllT2_lllib
; %bb.0:
	s_load_dwordx16 s[12:27], s[4:5], 0x8
	s_load_dword s9, s[4:5], 0x64
	s_load_dword s6, s[4:5], 0x74
	v_and_b32_e32 v2, 0x3ff, v0
	v_bfe_u32 v10, v0, 10, 10
	s_waitcnt lgkmcnt(0)
	s_mul_i32 s2, s8, s25
	s_bitcmp1_b32 s9, 0
	s_mul_hi_u32 s3, s8, s24
	s_cselect_b64 s[0:1], -1, 0
	s_add_i32 s3, s3, s2
	s_mul_i32 s2, s8, s24
	s_lshl_b64 s[2:3], s[2:3], 3
	s_add_u32 s10, s18, s2
	s_addc_u32 s11, s19, s3
	s_lshl_b64 s[2:3], s[20:21], 3
	s_add_u32 s10, s10, s2
	s_addc_u32 s11, s11, s3
	s_add_u32 s18, s4, 0x68
	s_addc_u32 s19, s5, 0
	s_lshr_b32 s6, s6, 16
	s_bitcmp0_b32 s9, 0
	s_mov_b64 s[2:3], 1
	s_cbranch_scc1 .LBB113_14
; %bb.1:
	s_lshl_b32 s2, s6, 3
	s_add_i32 s20, s2, 0
	v_cmp_lt_i64_e64 s[2:3], s[12:13], 1
	s_mov_b64 s[28:29], 1
	s_and_b64 vcc, exec, s[2:3]
	s_cbranch_vccnz .LBB113_15
; %bb.2:
	v_mad_u64_u32 v[0:1], s[30:31], v2, s22, 0
	v_mov_b32_e32 v4, v1
	v_mad_u64_u32 v[4:5], s[22:23], v2, s23, v[4:5]
	v_mov_b32_e32 v1, v4
	v_mov_b32_e32 v3, 0
	v_lshlrev_b64 v[0:1], 3, v[0:1]
	v_cmp_le_u64_e64 s[24:25], s[12:13], v[2:3]
	v_cmp_gt_u64_e64 s[2:3], s[12:13], v[2:3]
	v_mov_b32_e32 v4, s11
	v_add_co_u32_e32 v3, vcc, s10, v0
	v_lshlrev_b32_e32 v6, 3, v2
	v_addc_co_u32_e32 v12, vcc, v4, v1, vcc
	v_add_co_u32_e32 v0, vcc, v3, v6
	v_add_u32_e32 v11, s20, v6
	v_addc_co_u32_e32 v1, vcc, 0, v12, vcc
	s_xor_b64 s[22:23], s[24:25], -1
	v_pk_mov_b32 v[4:5], s[12:13], s[12:13] op_sel:[0,1]
	s_mov_b32 s30, s6
	v_mov_b32_e32 v6, v10
	s_branch .LBB113_4
.LBB113_3:                              ;   in Loop: Header=BB113_4 Depth=1
	s_or_b64 exec, exec, s[34:35]
	s_ashr_i32 s31, s30, 31
	v_cmp_ge_i64_e32 vcc, s[30:31], v[4:5]
	v_add_u32_e32 v6, s6, v6
	s_add_i32 s30, s30, s6
	s_cbranch_vccnz .LBB113_15
.LBB113_4:                              ; =>This Inner Loop Header: Depth=1
	s_mov_b64 s[10:11], 0
	s_mov_b64 s[36:37], s[24:25]
                                        ; implicit-def: $vgpr8_vgpr9
                                        ; implicit-def: $vgpr7
	s_and_saveexec_b64 s[34:35], s[2:3]
	s_cbranch_execnz .LBB113_7
; %bb.5:                                ;   in Loop: Header=BB113_4 Depth=1
	s_or_b64 exec, exec, s[34:35]
	s_and_saveexec_b64 s[34:35], s[36:37]
	s_cbranch_execnz .LBB113_10
.LBB113_6:                              ;   in Loop: Header=BB113_4 Depth=1
	s_or_b64 exec, exec, s[34:35]
	s_and_saveexec_b64 s[34:35], s[10:11]
	s_cbranch_execz .LBB113_3
	s_branch .LBB113_13
.LBB113_7:                              ;   in Loop: Header=BB113_4 Depth=1
	v_ashrrev_i32_e32 v7, 31, v6
	v_cmp_gt_i64_e32 vcc, s[12:13], v[6:7]
	v_cmp_lt_i32_e64 s[10:11], v2, v6
	s_and_b64 s[40:41], s[10:11], vcc
	s_mov_b64 s[36:37], -1
	s_mov_b64 s[10:11], 0
                                        ; implicit-def: $vgpr8_vgpr9
	s_and_saveexec_b64 s[38:39], s[40:41]
	s_cbranch_execz .LBB113_9
; %bb.8:                                ;   in Loop: Header=BB113_4 Depth=1
	s_waitcnt vmcnt(0)
	v_lshlrev_b64 v[8:9], 3, v[6:7]
	v_add_co_u32_e32 v8, vcc, v3, v8
	v_addc_co_u32_e32 v9, vcc, v12, v9, vcc
	global_load_dwordx2 v[8:9], v[8:9], off
	s_mov_b64 s[10:11], exec
	s_xor_b64 s[36:37], exec, -1
.LBB113_9:                              ;   in Loop: Header=BB113_4 Depth=1
	s_or_b64 exec, exec, s[38:39]
	s_andn2_b64 s[38:39], s[24:25], exec
	s_and_b64 s[36:37], s[36:37], exec
	s_and_b64 s[10:11], s[10:11], exec
	s_or_b64 s[36:37], s[38:39], s[36:37]
	v_mov_b32_e32 v7, v6
	s_or_b64 exec, exec, s[34:35]
	s_and_saveexec_b64 s[34:35], s[36:37]
	s_cbranch_execz .LBB113_6
.LBB113_10:                             ;   in Loop: Header=BB113_4 Depth=1
	v_cmp_eq_u32_e32 vcc, v2, v6
	s_and_b64 s[40:41], s[22:23], vcc
	s_mov_b64 s[38:39], s[10:11]
                                        ; implicit-def: $vgpr8_vgpr9
	s_and_saveexec_b64 s[36:37], s[40:41]
	s_cbranch_execz .LBB113_12
; %bb.11:                               ;   in Loop: Header=BB113_4 Depth=1
	global_load_dwordx2 v[8:9], v[0:1], off
	s_waitcnt vmcnt(0)
	v_div_scale_f64 v[14:15], s[38:39], v[8:9], v[8:9], 1.0
	v_rcp_f64_e32 v[16:17], v[14:15]
	v_div_scale_f64 v[18:19], vcc, 1.0, v[8:9], 1.0
	s_or_b64 s[38:39], s[10:11], exec
	v_fma_f64 v[20:21], -v[14:15], v[16:17], 1.0
	v_fmac_f64_e32 v[16:17], v[16:17], v[20:21]
	v_fma_f64 v[20:21], -v[14:15], v[16:17], 1.0
	v_fmac_f64_e32 v[16:17], v[16:17], v[20:21]
	v_mul_f64 v[20:21], v[18:19], v[16:17]
	v_fma_f64 v[14:15], -v[14:15], v[20:21], v[18:19]
	v_div_fmas_f64 v[14:15], v[14:15], v[16:17], v[20:21]
	v_div_fixup_f64 v[8:9], v[14:15], v[8:9], 1.0
.LBB113_12:                             ;   in Loop: Header=BB113_4 Depth=1
	s_or_b64 exec, exec, s[36:37]
	s_andn2_b64 s[10:11], s[10:11], exec
	s_and_b64 s[36:37], s[38:39], exec
	s_or_b64 s[10:11], s[10:11], s[36:37]
	v_mov_b32_e32 v7, v2
	s_or_b64 exec, exec, s[34:35]
	s_and_saveexec_b64 s[34:35], s[10:11]
	s_cbranch_execz .LBB113_3
.LBB113_13:                             ;   in Loop: Header=BB113_4 Depth=1
	s_load_dword s9, s[18:19], 0xc
	s_waitcnt lgkmcnt(0)
	s_and_b32 s9, s9, 0xffff
	v_mul_lo_u32 v7, v7, s9
	v_lshl_add_u32 v7, v7, 3, v11
	s_waitcnt vmcnt(0)
	ds_write_b64 v7, v[8:9]
	s_branch .LBB113_3
.LBB113_14:
	s_mov_b32 s28, s22
	s_mov_b32 s29, s23
	s_branch .LBB113_16
.LBB113_15:
	s_load_dword s2, s[18:19], 0xc
	s_mov_b64 s[10:11], src_shared_base
	s_mov_b32 s21, s11
	s_mov_b32 s3, 0
	s_mov_b64 s[10:11], s[20:21]
	s_waitcnt lgkmcnt(0)
	s_and_b32 s2, s2, 0xffff
.LBB113_16:
	s_mul_i32 s7, s7, s6
	v_add_u32_e32 v0, s7, v10
	v_mov_b32_e32 v1, 0
	v_cmp_gt_i64_e32 vcc, s[14:15], v[0:1]
	s_and_saveexec_b64 s[6:7], vcc
	s_cbranch_execz .LBB113_29
; %bb.17:
	v_mov_b32_e32 v3, v1
	v_cmp_gt_i64_e32 vcc, s[12:13], v[2:3]
	s_and_b64 exec, exec, vcc
	s_cbranch_execz .LBB113_29
; %bb.18:
	s_load_dwordx2 s[6:7], s[4:5], 0x58
	s_load_dwordx4 s[20:23], s[4:5], 0x48
	v_lshlrev_b64 v[0:1], 3, v[0:1]
	s_waitcnt lgkmcnt(0)
	s_mul_i32 s5, s8, s7
	s_mul_hi_u32 s7, s8, s6
	s_mul_i32 s4, s8, s6
	s_add_i32 s5, s7, s5
	s_lshl_b64 s[4:5], s[4:5], 3
	s_add_u32 s6, s26, s4
	s_addc_u32 s7, s27, s5
	s_lshl_b64 s[4:5], s[20:21], 3
	s_add_u32 s6, s6, s4
	s_addc_u32 s7, s7, s5
	v_mad_u64_u32 v[4:5], s[4:5], v2, s22, 0
	v_mov_b32_e32 v6, v5
	v_mad_u64_u32 v[6:7], s[4:5], v2, s23, v[6:7]
	v_mov_b32_e32 v5, v6
	v_lshlrev_b64 v[4:5], 3, v[4:5]
	v_mov_b32_e32 v6, s7
	v_add_co_u32_e32 v4, vcc, s6, v4
	v_addc_co_u32_e32 v5, vcc, v6, v5, vcc
	v_add_co_u32_e32 v0, vcc, v4, v0
	v_addc_co_u32_e32 v1, vcc, v5, v1, vcc
	global_load_dwordx2 v[4:5], v[0:1], off
	v_cmp_lt_u64_e64 s[4:5], s[12:13], 2
	s_and_b64 vcc, exec, s[4:5]
	s_waitcnt vmcnt(0)
	v_mul_f64 v[4:5], v[4:5], s[16:17]
	s_cbranch_vccnz .LBB113_26
; %bb.19:
	s_add_u32 s4, s2, s28
	v_mad_u64_u32 v[6:7], s[4:5], s4, v2, 0
	s_addc_u32 s6, s3, s29
	v_mov_b32_e32 v8, v7
	v_mad_u64_u32 v[8:9], s[4:5], s6, v2, v[8:9]
	v_mov_b32_e32 v7, v8
	v_lshlrev_b64 v[6:7], 3, v[6:7]
	v_mov_b32_e32 v8, s11
	v_add_co_u32_e32 v6, vcc, s10, v6
	v_addc_co_u32_e32 v7, vcc, v8, v7, vcc
	v_mad_u64_u32 v[8:9], s[4:5], s28, v2, 0
	v_mov_b32_e32 v12, v9
	v_mad_u64_u32 v[12:13], s[4:5], s29, v2, v[12:13]
	s_add_u32 s4, s12, -1
	s_addc_u32 s5, s13, -1
	s_mul_i32 s6, s2, s5
	s_mul_hi_u32 s7, s2, s4
	s_add_i32 s7, s7, s6
	s_mul_i32 s6, s2, s4
	v_mov_b32_e32 v9, v12
	s_lshl_b64 s[6:7], s[6:7], 3
	v_lshlrev_b64 v[8:9], 3, v[8:9]
	s_add_u32 s6, s10, s6
	s_addc_u32 s7, s11, s7
	v_add_co_u32_e32 v8, vcc, s6, v8
	s_lshl_b32 s6, s2, 3
	v_mov_b32_e32 v11, s7
	s_sub_u32 s8, 0, s6
	v_lshl_add_u32 v10, v10, 3, 0
	v_addc_co_u32_e32 v9, vcc, v11, v9, vcc
	s_subb_u32 s9, 0, 0
.LBB113_20:                             ; =>This Inner Loop Header: Depth=1
	v_cmp_eq_u64_e32 vcc, s[4:5], v[2:3]
	s_barrier
	s_and_saveexec_b64 s[6:7], vcc
	s_cbranch_execz .LBB113_22
; %bb.21:                               ;   in Loop: Header=BB113_20 Depth=1
	flat_load_dwordx2 v[12:13], v[6:7]
	s_waitcnt vmcnt(0) lgkmcnt(0)
	v_div_scale_f64 v[14:15], s[12:13], v[12:13], v[12:13], 1.0
	v_rcp_f64_e32 v[16:17], v[14:15]
	v_div_scale_f64 v[18:19], vcc, 1.0, v[12:13], 1.0
	v_fma_f64 v[20:21], -v[14:15], v[16:17], 1.0
	v_fmac_f64_e32 v[16:17], v[16:17], v[20:21]
	v_fma_f64 v[20:21], -v[14:15], v[16:17], 1.0
	v_fmac_f64_e32 v[16:17], v[16:17], v[20:21]
	v_mul_f64 v[20:21], v[18:19], v[16:17]
	v_fma_f64 v[14:15], -v[14:15], v[20:21], v[18:19]
	v_div_fmas_f64 v[14:15], v[14:15], v[16:17], v[20:21]
	v_div_fixup_f64 v[14:15], v[14:15], v[12:13], 1.0
	v_cndmask_b32_e64 v13, v15, v13, s[0:1]
	v_cndmask_b32_e64 v12, v14, v12, s[0:1]
	v_mul_f64 v[4:5], v[4:5], v[12:13]
	ds_write_b64 v10, v[4:5]
.LBB113_22:                             ;   in Loop: Header=BB113_20 Depth=1
	s_or_b64 exec, exec, s[6:7]
	v_cmp_gt_i64_e32 vcc, s[4:5], v[2:3]
	s_waitcnt lgkmcnt(0)
	s_barrier
	s_and_saveexec_b64 s[6:7], vcc
	s_cbranch_execz .LBB113_24
; %bb.23:                               ;   in Loop: Header=BB113_20 Depth=1
	flat_load_dwordx2 v[12:13], v[8:9]
	ds_read_b64 v[14:15], v10
	s_waitcnt vmcnt(0) lgkmcnt(0)
	v_fma_f64 v[4:5], -v[12:13], v[14:15], v[4:5]
.LBB113_24:                             ;   in Loop: Header=BB113_20 Depth=1
	s_or_b64 exec, exec, s[6:7]
	s_add_u32 s6, s4, -1
	s_addc_u32 s7, s5, -1
	s_add_u32 s4, s4, 1
	s_addc_u32 s5, s5, 0
	v_mov_b32_e32 v11, s9
	v_add_co_u32_e32 v8, vcc, s8, v8
	v_addc_co_u32_e32 v9, vcc, v9, v11, vcc
	v_cmp_lt_u64_e64 s[4:5], s[4:5], 3
	s_and_b64 vcc, exec, s[4:5]
	s_cbranch_vccnz .LBB113_26
; %bb.25:                               ;   in Loop: Header=BB113_20 Depth=1
	s_mov_b64 s[4:5], s[6:7]
	s_branch .LBB113_20
.LBB113_26:
	v_cmp_eq_u32_e32 vcc, 0, v2
	s_and_saveexec_b64 s[4:5], vcc
	s_cbranch_execz .LBB113_28
; %bb.27:
	s_add_u32 s2, s2, s28
	s_addc_u32 s6, s3, s29
	v_mad_u64_u32 v[6:7], s[2:3], s2, v2, 0
	v_mov_b32_e32 v8, v7
	v_mad_u64_u32 v[2:3], s[2:3], s6, v2, v[8:9]
	v_mov_b32_e32 v7, v2
	v_lshlrev_b64 v[2:3], 3, v[6:7]
	v_mov_b32_e32 v6, s11
	v_add_co_u32_e32 v2, vcc, s10, v2
	v_addc_co_u32_e32 v3, vcc, v6, v3, vcc
	flat_load_dwordx2 v[2:3], v[2:3]
	s_waitcnt vmcnt(0) lgkmcnt(0)
	v_div_scale_f64 v[6:7], s[2:3], v[2:3], v[2:3], 1.0
	v_rcp_f64_e32 v[8:9], v[6:7]
	v_div_scale_f64 v[10:11], vcc, 1.0, v[2:3], 1.0
	v_fma_f64 v[12:13], -v[6:7], v[8:9], 1.0
	v_fmac_f64_e32 v[8:9], v[8:9], v[12:13]
	v_fma_f64 v[12:13], -v[6:7], v[8:9], 1.0
	v_fmac_f64_e32 v[8:9], v[8:9], v[12:13]
	v_mul_f64 v[12:13], v[10:11], v[8:9]
	v_fma_f64 v[6:7], -v[6:7], v[12:13], v[10:11]
	v_div_fmas_f64 v[6:7], v[6:7], v[8:9], v[12:13]
	v_div_fixup_f64 v[6:7], v[6:7], v[2:3], 1.0
	v_cndmask_b32_e64 v3, v7, v3, s[0:1]
	v_cndmask_b32_e64 v2, v6, v2, s[0:1]
	v_mul_f64 v[4:5], v[4:5], v[2:3]
.LBB113_28:
	s_or_b64 exec, exec, s[4:5]
	global_store_dwordx2 v[0:1], v[4:5], off
.LBB113_29:
	s_endpgm
	.section	.rodata,"a",@progbits
	.p2align	6, 0x0
	.amdhsa_kernel _ZL40rocblas_trsm_block_backward_substitutionIddPKdPdLb0ELb0ELb0EEv18rocblas_operation_llT0_T1_lllT2_lllib
		.amdhsa_group_segment_fixed_size 0
		.amdhsa_private_segment_fixed_size 0
		.amdhsa_kernarg_size 360
		.amdhsa_user_sgpr_count 6
		.amdhsa_user_sgpr_private_segment_buffer 1
		.amdhsa_user_sgpr_dispatch_ptr 0
		.amdhsa_user_sgpr_queue_ptr 0
		.amdhsa_user_sgpr_kernarg_segment_ptr 1
		.amdhsa_user_sgpr_dispatch_id 0
		.amdhsa_user_sgpr_flat_scratch_init 0
		.amdhsa_user_sgpr_kernarg_preload_length 0
		.amdhsa_user_sgpr_kernarg_preload_offset 0
		.amdhsa_user_sgpr_private_segment_size 0
		.amdhsa_uses_dynamic_stack 0
		.amdhsa_system_sgpr_private_segment_wavefront_offset 0
		.amdhsa_system_sgpr_workgroup_id_x 1
		.amdhsa_system_sgpr_workgroup_id_y 1
		.amdhsa_system_sgpr_workgroup_id_z 1
		.amdhsa_system_sgpr_workgroup_info 0
		.amdhsa_system_vgpr_workitem_id 1
		.amdhsa_next_free_vgpr 22
		.amdhsa_next_free_sgpr 42
		.amdhsa_accum_offset 24
		.amdhsa_reserve_vcc 1
		.amdhsa_reserve_flat_scratch 0
		.amdhsa_float_round_mode_32 0
		.amdhsa_float_round_mode_16_64 0
		.amdhsa_float_denorm_mode_32 3
		.amdhsa_float_denorm_mode_16_64 3
		.amdhsa_dx10_clamp 1
		.amdhsa_ieee_mode 1
		.amdhsa_fp16_overflow 0
		.amdhsa_tg_split 0
		.amdhsa_exception_fp_ieee_invalid_op 0
		.amdhsa_exception_fp_denorm_src 0
		.amdhsa_exception_fp_ieee_div_zero 0
		.amdhsa_exception_fp_ieee_overflow 0
		.amdhsa_exception_fp_ieee_underflow 0
		.amdhsa_exception_fp_ieee_inexact 0
		.amdhsa_exception_int_div_zero 0
	.end_amdhsa_kernel
	.section	.text._ZL40rocblas_trsm_block_backward_substitutionIddPKdPdLb0ELb0ELb0EEv18rocblas_operation_llT0_T1_lllT2_lllib,"axG",@progbits,_ZL40rocblas_trsm_block_backward_substitutionIddPKdPdLb0ELb0ELb0EEv18rocblas_operation_llT0_T1_lllT2_lllib,comdat
.Lfunc_end113:
	.size	_ZL40rocblas_trsm_block_backward_substitutionIddPKdPdLb0ELb0ELb0EEv18rocblas_operation_llT0_T1_lllT2_lllib, .Lfunc_end113-_ZL40rocblas_trsm_block_backward_substitutionIddPKdPdLb0ELb0ELb0EEv18rocblas_operation_llT0_T1_lllT2_lllib
                                        ; -- End function
	.section	.AMDGPU.csdata,"",@progbits
; Kernel info:
; codeLenInByte = 1456
; NumSgprs: 46
; NumVgprs: 22
; NumAgprs: 0
; TotalNumVgprs: 22
; ScratchSize: 0
; MemoryBound: 1
; FloatMode: 240
; IeeeMode: 1
; LDSByteSize: 0 bytes/workgroup (compile time only)
; SGPRBlocks: 5
; VGPRBlocks: 2
; NumSGPRsForWavesPerEU: 46
; NumVGPRsForWavesPerEU: 22
; AccumOffset: 24
; Occupancy: 8
; WaveLimiterHint : 1
; COMPUTE_PGM_RSRC2:SCRATCH_EN: 0
; COMPUTE_PGM_RSRC2:USER_SGPR: 6
; COMPUTE_PGM_RSRC2:TRAP_HANDLER: 0
; COMPUTE_PGM_RSRC2:TGID_X_EN: 1
; COMPUTE_PGM_RSRC2:TGID_Y_EN: 1
; COMPUTE_PGM_RSRC2:TGID_Z_EN: 1
; COMPUTE_PGM_RSRC2:TIDIG_COMP_CNT: 1
; COMPUTE_PGM_RSRC3_GFX90A:ACCUM_OFFSET: 5
; COMPUTE_PGM_RSRC3_GFX90A:TG_SPLIT: 0
	.section	.text._ZL39rocblas_trsm_block_forward_substitutionIddPKdPdLb0ELb0ELb1EEv18rocblas_operation_llT0_T1_lllT2_lllib,"axG",@progbits,_ZL39rocblas_trsm_block_forward_substitutionIddPKdPdLb0ELb0ELb1EEv18rocblas_operation_llT0_T1_lllT2_lllib,comdat
	.globl	_ZL39rocblas_trsm_block_forward_substitutionIddPKdPdLb0ELb0ELb1EEv18rocblas_operation_llT0_T1_lllT2_lllib ; -- Begin function _ZL39rocblas_trsm_block_forward_substitutionIddPKdPdLb0ELb0ELb1EEv18rocblas_operation_llT0_T1_lllT2_lllib
	.p2align	8
	.type	_ZL39rocblas_trsm_block_forward_substitutionIddPKdPdLb0ELb0ELb1EEv18rocblas_operation_llT0_T1_lllT2_lllib,@function
_ZL39rocblas_trsm_block_forward_substitutionIddPKdPdLb0ELb0ELb1EEv18rocblas_operation_llT0_T1_lllT2_lllib: ; @_ZL39rocblas_trsm_block_forward_substitutionIddPKdPdLb0ELb0ELb1EEv18rocblas_operation_llT0_T1_lllT2_lllib
; %bb.0:
	s_load_dwordx16 s[12:27], s[4:5], 0x8
	v_and_b32_e32 v2, 0x3ff, v0
	v_bfe_u32 v6, v0, 10, 10
	s_waitcnt lgkmcnt(0)
	s_mul_i32 s0, s8, s25
	s_mul_hi_u32 s1, s8, s24
	s_add_i32 s1, s1, s0
	s_mul_i32 s0, s8, s24
	s_lshl_b64 s[0:1], s[0:1], 3
	s_add_u32 s2, s18, s0
	s_addc_u32 s3, s19, s1
	s_lshl_b64 s[0:1], s[20:21], 3
	s_add_u32 s2, s2, s0
	s_load_dword s0, s[4:5], 0x64
	s_load_dword s6, s[4:5], 0x74
	s_addc_u32 s3, s3, s1
	s_add_u32 s10, s4, 0x68
	s_addc_u32 s11, s5, 0
	s_waitcnt lgkmcnt(0)
	s_lshr_b32 s6, s6, 16
	s_bitcmp0_b32 s0, 0
	s_cbranch_scc1 .LBB114_7
; %bb.1:
	s_lshl_b32 s0, s6, 3
	s_add_i32 s18, s0, 0
	v_cmp_lt_i64_e64 s[0:1], s[12:13], 1
	s_and_b64 vcc, exec, s[0:1]
	s_cbranch_vccnz .LBB114_6
; %bb.2:
	v_lshlrev_b32_e32 v0, 3, v2
	v_mov_b32_e32 v3, 0
	v_cmp_gt_u64_e64 s[0:1], s[12:13], v[2:3]
	v_mov_b32_e32 v1, s3
	v_add_co_u32_e32 v3, vcc, s2, v0
	v_add_u32_e32 v4, s18, v0
	s_mov_b32 s20, 0
	v_addc_co_u32_e32 v5, vcc, 0, v1, vcc
	v_pk_mov_b32 v[0:1], s[12:13], s[12:13] op_sel:[0,1]
	s_branch .LBB114_4
.LBB114_3:                              ;   in Loop: Header=BB114_4 Depth=1
	s_or_b64 exec, exec, s[2:3]
	s_add_i32 s20, s20, s6
	s_ashr_i32 s21, s20, 31
	v_cmp_ge_i64_e32 vcc, s[20:21], v[0:1]
	s_cbranch_vccnz .LBB114_6
.LBB114_4:                              ; =>This Inner Loop Header: Depth=1
	v_add_u32_e32 v7, s20, v6
	v_cmp_gt_i32_e32 vcc, v2, v7
	s_and_b64 s[24:25], s[0:1], vcc
	s_and_saveexec_b64 s[2:3], s[24:25]
	s_cbranch_execz .LBB114_3
; %bb.5:                                ;   in Loop: Header=BB114_4 Depth=1
	v_ashrrev_i32_e32 v8, 31, v7
	v_mul_lo_u32 v10, v7, s23
	v_mul_lo_u32 v11, v8, s22
	v_mad_u64_u32 v[8:9], s[24:25], v7, s22, 0
	v_add3_u32 v9, v9, v10, v11
	v_lshlrev_b64 v[8:9], 3, v[8:9]
	v_add_co_u32_e32 v8, vcc, v3, v8
	v_addc_co_u32_e32 v9, vcc, v5, v9, vcc
	global_load_dwordx2 v[8:9], v[8:9], off
	s_load_dword s9, s[10:11], 0xc
	s_waitcnt lgkmcnt(0)
	s_and_b32 s9, s9, 0xffff
	v_mul_lo_u32 v7, v7, s9
	v_lshl_add_u32 v7, v7, 3, v4
	s_waitcnt vmcnt(0)
	ds_write_b64 v7, v[8:9]
	s_branch .LBB114_3
.LBB114_6:
	s_load_dword s2, s[10:11], 0xc
	s_mov_b64 s[0:1], src_shared_base
	s_mov_b32 s19, s1
	s_mov_b32 s23, 0
	s_waitcnt lgkmcnt(0)
	s_and_b32 s22, s2, 0xffff
	s_mov_b64 s[2:3], s[18:19]
.LBB114_7:
	s_mul_i32 s7, s7, s6
	v_add_u32_e32 v0, s7, v6
	v_mov_b32_e32 v1, 0
	v_cmp_gt_i64_e32 vcc, s[14:15], v[0:1]
	s_and_saveexec_b64 s[0:1], vcc
	s_cbranch_execz .LBB114_17
; %bb.8:
	v_mov_b32_e32 v3, v1
	v_cmp_gt_i64_e32 vcc, s[12:13], v[2:3]
	s_and_b64 exec, exec, vcc
	s_cbranch_execz .LBB114_17
; %bb.9:
	s_load_dwordx2 s[0:1], s[4:5], 0x58
	s_load_dwordx4 s[28:31], s[4:5], 0x48
	v_lshlrev_b32_e32 v7, 3, v2
	s_waitcnt lgkmcnt(0)
	s_mul_i32 s1, s8, s1
	s_mul_hi_u32 s4, s8, s0
	s_mul_i32 s0, s8, s0
	s_add_i32 s1, s4, s1
	s_lshl_b64 s[0:1], s[0:1], 3
	s_add_u32 s4, s26, s0
	s_addc_u32 s5, s27, s1
	s_lshl_b64 s[0:1], s[28:29], 3
	s_add_u32 s4, s4, s0
	s_addc_u32 s5, s5, s1
	v_mad_u64_u32 v[4:5], s[0:1], v0, s30, 0
	v_mov_b32_e32 v8, v5
	v_mad_u64_u32 v[0:1], s[0:1], v0, s31, v[8:9]
	v_mov_b32_e32 v5, v0
	v_lshlrev_b64 v[0:1], 3, v[4:5]
	v_mov_b32_e32 v4, s5
	v_add_co_u32_e32 v0, vcc, s4, v0
	v_addc_co_u32_e32 v1, vcc, v4, v1, vcc
	v_add_co_u32_e32 v0, vcc, v0, v7
	v_addc_co_u32_e32 v1, vcc, 0, v1, vcc
	global_load_dwordx2 v[4:5], v[0:1], off
	v_cmp_lt_u64_e64 s[0:1], s[12:13], 2
	s_and_b64 vcc, exec, s[0:1]
	s_waitcnt vmcnt(0)
	v_mul_f64 v[4:5], v[4:5], s[16:17]
	s_cbranch_vccnz .LBB114_16
; %bb.10:
	s_add_u32 s0, s12, -1
	v_lshl_add_u32 v8, v6, 3, 0
	s_addc_u32 s1, s13, -1
	v_mov_b32_e32 v9, s3
	v_add_co_u32_e32 v6, vcc, s2, v7
	s_lshl_b64 s[2:3], s[22:23], 3
	v_addc_co_u32_e32 v7, vcc, 0, v9, vcc
	s_mov_b64 s[4:5], 0
	v_mov_b32_e32 v9, s3
	s_branch .LBB114_12
.LBB114_11:                             ;   in Loop: Header=BB114_12 Depth=1
	s_or_b64 exec, exec, s[6:7]
	s_add_u32 s4, s4, 1
	s_addc_u32 s5, s5, 0
	v_add_co_u32_e32 v6, vcc, s2, v6
	s_cmp_eq_u64 s[0:1], s[4:5]
	v_addc_co_u32_e32 v7, vcc, v7, v9, vcc
	s_cbranch_scc1 .LBB114_16
.LBB114_12:                             ; =>This Inner Loop Header: Depth=1
	v_cmp_eq_u64_e32 vcc, s[4:5], v[2:3]
	s_barrier
	s_and_saveexec_b64 s[6:7], vcc
	s_cbranch_execz .LBB114_14
; %bb.13:                               ;   in Loop: Header=BB114_12 Depth=1
	ds_write_b64 v8, v[4:5]
.LBB114_14:                             ;   in Loop: Header=BB114_12 Depth=1
	s_or_b64 exec, exec, s[6:7]
	v_cmp_lt_u64_e32 vcc, s[4:5], v[2:3]
	s_waitcnt lgkmcnt(0)
	s_barrier
	s_and_saveexec_b64 s[6:7], vcc
	s_cbranch_execz .LBB114_11
; %bb.15:                               ;   in Loop: Header=BB114_12 Depth=1
	flat_load_dwordx2 v[10:11], v[6:7]
	ds_read_b64 v[12:13], v8
	s_waitcnt vmcnt(0) lgkmcnt(0)
	v_fma_f64 v[4:5], -v[10:11], v[12:13], v[4:5]
	s_branch .LBB114_11
.LBB114_16:
	global_store_dwordx2 v[0:1], v[4:5], off
.LBB114_17:
	s_endpgm
	.section	.rodata,"a",@progbits
	.p2align	6, 0x0
	.amdhsa_kernel _ZL39rocblas_trsm_block_forward_substitutionIddPKdPdLb0ELb0ELb1EEv18rocblas_operation_llT0_T1_lllT2_lllib
		.amdhsa_group_segment_fixed_size 0
		.amdhsa_private_segment_fixed_size 0
		.amdhsa_kernarg_size 360
		.amdhsa_user_sgpr_count 6
		.amdhsa_user_sgpr_private_segment_buffer 1
		.amdhsa_user_sgpr_dispatch_ptr 0
		.amdhsa_user_sgpr_queue_ptr 0
		.amdhsa_user_sgpr_kernarg_segment_ptr 1
		.amdhsa_user_sgpr_dispatch_id 0
		.amdhsa_user_sgpr_flat_scratch_init 0
		.amdhsa_user_sgpr_kernarg_preload_length 0
		.amdhsa_user_sgpr_kernarg_preload_offset 0
		.amdhsa_user_sgpr_private_segment_size 0
		.amdhsa_uses_dynamic_stack 0
		.amdhsa_system_sgpr_private_segment_wavefront_offset 0
		.amdhsa_system_sgpr_workgroup_id_x 1
		.amdhsa_system_sgpr_workgroup_id_y 1
		.amdhsa_system_sgpr_workgroup_id_z 1
		.amdhsa_system_sgpr_workgroup_info 0
		.amdhsa_system_vgpr_workitem_id 1
		.amdhsa_next_free_vgpr 14
		.amdhsa_next_free_sgpr 32
		.amdhsa_accum_offset 16
		.amdhsa_reserve_vcc 1
		.amdhsa_reserve_flat_scratch 0
		.amdhsa_float_round_mode_32 0
		.amdhsa_float_round_mode_16_64 0
		.amdhsa_float_denorm_mode_32 3
		.amdhsa_float_denorm_mode_16_64 3
		.amdhsa_dx10_clamp 1
		.amdhsa_ieee_mode 1
		.amdhsa_fp16_overflow 0
		.amdhsa_tg_split 0
		.amdhsa_exception_fp_ieee_invalid_op 0
		.amdhsa_exception_fp_denorm_src 0
		.amdhsa_exception_fp_ieee_div_zero 0
		.amdhsa_exception_fp_ieee_overflow 0
		.amdhsa_exception_fp_ieee_underflow 0
		.amdhsa_exception_fp_ieee_inexact 0
		.amdhsa_exception_int_div_zero 0
	.end_amdhsa_kernel
	.section	.text._ZL39rocblas_trsm_block_forward_substitutionIddPKdPdLb0ELb0ELb1EEv18rocblas_operation_llT0_T1_lllT2_lllib,"axG",@progbits,_ZL39rocblas_trsm_block_forward_substitutionIddPKdPdLb0ELb0ELb1EEv18rocblas_operation_llT0_T1_lllT2_lllib,comdat
.Lfunc_end114:
	.size	_ZL39rocblas_trsm_block_forward_substitutionIddPKdPdLb0ELb0ELb1EEv18rocblas_operation_llT0_T1_lllT2_lllib, .Lfunc_end114-_ZL39rocblas_trsm_block_forward_substitutionIddPKdPdLb0ELb0ELb1EEv18rocblas_operation_llT0_T1_lllT2_lllib
                                        ; -- End function
	.section	.AMDGPU.csdata,"",@progbits
; Kernel info:
; codeLenInByte = 728
; NumSgprs: 36
; NumVgprs: 14
; NumAgprs: 0
; TotalNumVgprs: 14
; ScratchSize: 0
; MemoryBound: 0
; FloatMode: 240
; IeeeMode: 1
; LDSByteSize: 0 bytes/workgroup (compile time only)
; SGPRBlocks: 4
; VGPRBlocks: 1
; NumSGPRsForWavesPerEU: 36
; NumVGPRsForWavesPerEU: 14
; AccumOffset: 16
; Occupancy: 8
; WaveLimiterHint : 1
; COMPUTE_PGM_RSRC2:SCRATCH_EN: 0
; COMPUTE_PGM_RSRC2:USER_SGPR: 6
; COMPUTE_PGM_RSRC2:TRAP_HANDLER: 0
; COMPUTE_PGM_RSRC2:TGID_X_EN: 1
; COMPUTE_PGM_RSRC2:TGID_Y_EN: 1
; COMPUTE_PGM_RSRC2:TGID_Z_EN: 1
; COMPUTE_PGM_RSRC2:TIDIG_COMP_CNT: 1
; COMPUTE_PGM_RSRC3_GFX90A:ACCUM_OFFSET: 3
; COMPUTE_PGM_RSRC3_GFX90A:TG_SPLIT: 0
	.section	.text._ZL40rocblas_trsm_block_backward_substitutionIddPKdPdLb0ELb0ELb1EEv18rocblas_operation_llT0_T1_lllT2_lllib,"axG",@progbits,_ZL40rocblas_trsm_block_backward_substitutionIddPKdPdLb0ELb0ELb1EEv18rocblas_operation_llT0_T1_lllT2_lllib,comdat
	.globl	_ZL40rocblas_trsm_block_backward_substitutionIddPKdPdLb0ELb0ELb1EEv18rocblas_operation_llT0_T1_lllT2_lllib ; -- Begin function _ZL40rocblas_trsm_block_backward_substitutionIddPKdPdLb0ELb0ELb1EEv18rocblas_operation_llT0_T1_lllT2_lllib
	.p2align	8
	.type	_ZL40rocblas_trsm_block_backward_substitutionIddPKdPdLb0ELb0ELb1EEv18rocblas_operation_llT0_T1_lllT2_lllib,@function
_ZL40rocblas_trsm_block_backward_substitutionIddPKdPdLb0ELb0ELb1EEv18rocblas_operation_llT0_T1_lllT2_lllib: ; @_ZL40rocblas_trsm_block_backward_substitutionIddPKdPdLb0ELb0ELb1EEv18rocblas_operation_llT0_T1_lllT2_lllib
; %bb.0:
	s_load_dwordx16 s[12:27], s[4:5], 0x8
	v_and_b32_e32 v2, 0x3ff, v0
	v_bfe_u32 v6, v0, 10, 10
	s_waitcnt lgkmcnt(0)
	s_mul_i32 s0, s8, s25
	s_mul_hi_u32 s1, s8, s24
	s_add_i32 s1, s1, s0
	s_mul_i32 s0, s8, s24
	s_lshl_b64 s[0:1], s[0:1], 3
	s_add_u32 s2, s18, s0
	s_addc_u32 s3, s19, s1
	s_lshl_b64 s[0:1], s[20:21], 3
	s_add_u32 s2, s2, s0
	s_addc_u32 s3, s3, s1
	s_load_dword s0, s[4:5], 0x64
	s_load_dword s1, s[4:5], 0x74
	s_add_u32 s18, s4, 0x68
	s_addc_u32 s19, s5, 0
	s_waitcnt lgkmcnt(0)
	s_lshr_b32 s6, s1, 16
	s_bitcmp0_b32 s0, 0
	s_mov_b64 s[0:1], 1
	s_cbranch_scc1 .LBB115_6
; %bb.1:
	s_lshl_b32 s0, s6, 3
	s_add_i32 s20, s0, 0
	v_cmp_lt_i64_e64 s[0:1], s[12:13], 1
	s_mov_b64 s[10:11], 1
	s_and_b64 vcc, exec, s[0:1]
	s_cbranch_vccnz .LBB115_7
; %bb.2:
	v_mad_u64_u32 v[0:1], s[24:25], v2, s22, 0
	v_mov_b32_e32 v4, v1
	v_mad_u64_u32 v[4:5], s[22:23], v2, s23, v[4:5]
	v_mov_b32_e32 v1, v4
	v_mov_b32_e32 v3, 0
	v_lshlrev_b64 v[0:1], 3, v[0:1]
	v_cmp_gt_u64_e64 s[0:1], s[12:13], v[2:3]
	v_mov_b32_e32 v4, s3
	v_add_co_u32_e32 v3, vcc, s2, v0
	v_lshl_add_u32 v7, v2, 3, s20
	v_addc_co_u32_e32 v8, vcc, v4, v1, vcc
	s_mov_b32 s22, 0
	v_pk_mov_b32 v[0:1], s[12:13], s[12:13] op_sel:[0,1]
	s_branch .LBB115_4
.LBB115_3:                              ;   in Loop: Header=BB115_4 Depth=1
	s_or_b64 exec, exec, s[2:3]
	s_add_i32 s22, s22, s6
	s_ashr_i32 s23, s22, 31
	v_cmp_ge_i64_e32 vcc, s[22:23], v[0:1]
	s_cbranch_vccnz .LBB115_7
.LBB115_4:                              ; =>This Inner Loop Header: Depth=1
	v_add_u32_e32 v4, s22, v6
	v_ashrrev_i32_e32 v5, 31, v4
	v_cmp_gt_i64_e32 vcc, s[12:13], v[4:5]
	v_cmp_lt_i32_e64 s[2:3], v2, v4
	s_and_b64 s[2:3], s[2:3], vcc
	s_and_b64 s[24:25], s[0:1], s[2:3]
	s_and_saveexec_b64 s[2:3], s[24:25]
	s_cbranch_execz .LBB115_3
; %bb.5:                                ;   in Loop: Header=BB115_4 Depth=1
	v_lshlrev_b64 v[10:11], 3, v[4:5]
	v_add_co_u32_e32 v10, vcc, v3, v10
	v_addc_co_u32_e32 v11, vcc, v8, v11, vcc
	global_load_dwordx2 v[10:11], v[10:11], off
	s_load_dword s9, s[18:19], 0xc
	s_waitcnt lgkmcnt(0)
	s_and_b32 s9, s9, 0xffff
	v_mul_lo_u32 v4, v4, s9
	v_lshl_add_u32 v4, v4, 3, v7
	s_waitcnt vmcnt(0)
	ds_write_b64 v4, v[10:11]
	s_branch .LBB115_3
.LBB115_6:
	s_mov_b32 s10, s22
	s_mov_b32 s11, s23
	s_branch .LBB115_8
.LBB115_7:
	s_load_dword s2, s[18:19], 0xc
	s_mov_b64 s[0:1], src_shared_base
	s_mov_b32 s21, s1
	s_waitcnt lgkmcnt(0)
	s_and_b32 s0, s2, 0xffff
	s_mov_b64 s[2:3], s[20:21]
.LBB115_8:
	s_mul_i32 s7, s7, s6
	v_add_u32_e32 v0, s7, v6
	v_mov_b32_e32 v1, 0
	v_cmp_gt_i64_e32 vcc, s[14:15], v[0:1]
	s_and_saveexec_b64 s[6:7], vcc
	s_cbranch_execz .LBB115_19
; %bb.9:
	v_mov_b32_e32 v3, v1
	v_cmp_gt_i64_e32 vcc, s[12:13], v[2:3]
	s_and_b64 exec, exec, vcc
	s_cbranch_execz .LBB115_19
; %bb.10:
	s_load_dwordx2 s[6:7], s[4:5], 0x58
	s_load_dwordx4 s[20:23], s[4:5], 0x48
	v_lshlrev_b64 v[0:1], 3, v[0:1]
	s_waitcnt lgkmcnt(0)
	s_mul_i32 s1, s8, s7
	s_mul_hi_u32 s5, s8, s6
	s_mul_i32 s4, s8, s6
	s_add_i32 s5, s5, s1
	s_lshl_b64 s[4:5], s[4:5], 3
	s_add_u32 s1, s26, s4
	s_addc_u32 s6, s27, s5
	s_lshl_b64 s[4:5], s[20:21], 3
	s_add_u32 s1, s1, s4
	s_addc_u32 s6, s6, s5
	v_mad_u64_u32 v[4:5], s[4:5], v2, s22, 0
	v_mov_b32_e32 v8, v5
	v_mad_u64_u32 v[8:9], s[4:5], v2, s23, v[8:9]
	v_mov_b32_e32 v5, v8
	v_lshlrev_b64 v[4:5], 3, v[4:5]
	v_mov_b32_e32 v7, s6
	v_add_co_u32_e32 v4, vcc, s1, v4
	v_addc_co_u32_e32 v5, vcc, v7, v5, vcc
	v_add_co_u32_e32 v0, vcc, v4, v0
	v_addc_co_u32_e32 v1, vcc, v5, v1, vcc
	global_load_dwordx2 v[4:5], v[0:1], off
	v_cmp_lt_u64_e64 s[4:5], s[12:13], 2
	s_and_b64 vcc, exec, s[4:5]
	s_waitcnt vmcnt(0)
	v_mul_f64 v[4:5], v[4:5], s[16:17]
	s_cbranch_vccnz .LBB115_18
; %bb.11:
	v_lshl_add_u32 v8, v6, 3, 0
	v_mad_u64_u32 v[6:7], s[4:5], s10, v2, 0
	v_mov_b32_e32 v10, v7
	v_mad_u64_u32 v[10:11], s[4:5], s11, v2, v[10:11]
	s_add_u32 s4, s12, -1
	s_addc_u32 s5, s13, -1
	s_mul_i32 s1, s0, s5
	s_mul_hi_u32 s6, s0, s4
	s_add_i32 s7, s6, s1
	s_mul_i32 s6, s0, s4
	s_lshl_b64 s[6:7], s[6:7], 3
	s_add_u32 s1, s2, s6
	v_mov_b32_e32 v7, v10
	s_addc_u32 s2, s3, s7
	s_lshl_b32 s0, s0, 3
	v_lshlrev_b64 v[6:7], 3, v[6:7]
	v_mov_b32_e32 v9, s2
	s_sub_u32 s2, 0, s0
	v_add_co_u32_e32 v6, vcc, s1, v6
	s_subb_u32 s0, 0, 0
	v_addc_co_u32_e32 v7, vcc, v9, v7, vcc
	v_mov_b32_e32 v9, s0
.LBB115_12:                             ; =>This Inner Loop Header: Depth=1
	v_cmp_eq_u64_e32 vcc, s[4:5], v[2:3]
	s_barrier
	s_and_saveexec_b64 s[0:1], vcc
	s_cbranch_execz .LBB115_14
; %bb.13:                               ;   in Loop: Header=BB115_12 Depth=1
	ds_write_b64 v8, v[4:5]
.LBB115_14:                             ;   in Loop: Header=BB115_12 Depth=1
	s_or_b64 exec, exec, s[0:1]
	v_cmp_gt_i64_e32 vcc, s[4:5], v[2:3]
	s_waitcnt lgkmcnt(0)
	s_barrier
	s_and_saveexec_b64 s[0:1], vcc
	s_cbranch_execz .LBB115_16
; %bb.15:                               ;   in Loop: Header=BB115_12 Depth=1
	flat_load_dwordx2 v[10:11], v[6:7]
	ds_read_b64 v[12:13], v8
	s_waitcnt vmcnt(0) lgkmcnt(0)
	v_fma_f64 v[4:5], -v[10:11], v[12:13], v[4:5]
.LBB115_16:                             ;   in Loop: Header=BB115_12 Depth=1
	s_or_b64 exec, exec, s[0:1]
	s_add_u32 s0, s4, -1
	s_addc_u32 s1, s5, -1
	s_add_u32 s4, s4, 1
	s_addc_u32 s5, s5, 0
	v_add_co_u32_e32 v6, vcc, s2, v6
	v_addc_co_u32_e32 v7, vcc, v7, v9, vcc
	v_cmp_lt_u64_e64 s[4:5], s[4:5], 3
	s_and_b64 vcc, exec, s[4:5]
	s_cbranch_vccnz .LBB115_18
; %bb.17:                               ;   in Loop: Header=BB115_12 Depth=1
	s_mov_b64 s[4:5], s[0:1]
	s_branch .LBB115_12
.LBB115_18:
	global_store_dwordx2 v[0:1], v[4:5], off
.LBB115_19:
	s_endpgm
	.section	.rodata,"a",@progbits
	.p2align	6, 0x0
	.amdhsa_kernel _ZL40rocblas_trsm_block_backward_substitutionIddPKdPdLb0ELb0ELb1EEv18rocblas_operation_llT0_T1_lllT2_lllib
		.amdhsa_group_segment_fixed_size 0
		.amdhsa_private_segment_fixed_size 0
		.amdhsa_kernarg_size 360
		.amdhsa_user_sgpr_count 6
		.amdhsa_user_sgpr_private_segment_buffer 1
		.amdhsa_user_sgpr_dispatch_ptr 0
		.amdhsa_user_sgpr_queue_ptr 0
		.amdhsa_user_sgpr_kernarg_segment_ptr 1
		.amdhsa_user_sgpr_dispatch_id 0
		.amdhsa_user_sgpr_flat_scratch_init 0
		.amdhsa_user_sgpr_kernarg_preload_length 0
		.amdhsa_user_sgpr_kernarg_preload_offset 0
		.amdhsa_user_sgpr_private_segment_size 0
		.amdhsa_uses_dynamic_stack 0
		.amdhsa_system_sgpr_private_segment_wavefront_offset 0
		.amdhsa_system_sgpr_workgroup_id_x 1
		.amdhsa_system_sgpr_workgroup_id_y 1
		.amdhsa_system_sgpr_workgroup_id_z 1
		.amdhsa_system_sgpr_workgroup_info 0
		.amdhsa_system_vgpr_workitem_id 1
		.amdhsa_next_free_vgpr 14
		.amdhsa_next_free_sgpr 28
		.amdhsa_accum_offset 16
		.amdhsa_reserve_vcc 1
		.amdhsa_reserve_flat_scratch 0
		.amdhsa_float_round_mode_32 0
		.amdhsa_float_round_mode_16_64 0
		.amdhsa_float_denorm_mode_32 3
		.amdhsa_float_denorm_mode_16_64 3
		.amdhsa_dx10_clamp 1
		.amdhsa_ieee_mode 1
		.amdhsa_fp16_overflow 0
		.amdhsa_tg_split 0
		.amdhsa_exception_fp_ieee_invalid_op 0
		.amdhsa_exception_fp_denorm_src 0
		.amdhsa_exception_fp_ieee_div_zero 0
		.amdhsa_exception_fp_ieee_overflow 0
		.amdhsa_exception_fp_ieee_underflow 0
		.amdhsa_exception_fp_ieee_inexact 0
		.amdhsa_exception_int_div_zero 0
	.end_amdhsa_kernel
	.section	.text._ZL40rocblas_trsm_block_backward_substitutionIddPKdPdLb0ELb0ELb1EEv18rocblas_operation_llT0_T1_lllT2_lllib,"axG",@progbits,_ZL40rocblas_trsm_block_backward_substitutionIddPKdPdLb0ELb0ELb1EEv18rocblas_operation_llT0_T1_lllT2_lllib,comdat
.Lfunc_end115:
	.size	_ZL40rocblas_trsm_block_backward_substitutionIddPKdPdLb0ELb0ELb1EEv18rocblas_operation_llT0_T1_lllT2_lllib, .Lfunc_end115-_ZL40rocblas_trsm_block_backward_substitutionIddPKdPdLb0ELb0ELb1EEv18rocblas_operation_llT0_T1_lllT2_lllib
                                        ; -- End function
	.section	.AMDGPU.csdata,"",@progbits
; Kernel info:
; codeLenInByte = 840
; NumSgprs: 32
; NumVgprs: 14
; NumAgprs: 0
; TotalNumVgprs: 14
; ScratchSize: 0
; MemoryBound: 0
; FloatMode: 240
; IeeeMode: 1
; LDSByteSize: 0 bytes/workgroup (compile time only)
; SGPRBlocks: 3
; VGPRBlocks: 1
; NumSGPRsForWavesPerEU: 32
; NumVGPRsForWavesPerEU: 14
; AccumOffset: 16
; Occupancy: 8
; WaveLimiterHint : 1
; COMPUTE_PGM_RSRC2:SCRATCH_EN: 0
; COMPUTE_PGM_RSRC2:USER_SGPR: 6
; COMPUTE_PGM_RSRC2:TRAP_HANDLER: 0
; COMPUTE_PGM_RSRC2:TGID_X_EN: 1
; COMPUTE_PGM_RSRC2:TGID_Y_EN: 1
; COMPUTE_PGM_RSRC2:TGID_Z_EN: 1
; COMPUTE_PGM_RSRC2:TIDIG_COMP_CNT: 1
; COMPUTE_PGM_RSRC3_GFX90A:ACCUM_OFFSET: 3
; COMPUTE_PGM_RSRC3_GFX90A:TG_SPLIT: 0
	.section	.text._ZL39rocblas_trsm_block_forward_substitutionIddPKdPdLb0ELb1ELb0EEv18rocblas_operation_llT0_T1_lllT2_lllib,"axG",@progbits,_ZL39rocblas_trsm_block_forward_substitutionIddPKdPdLb0ELb1ELb0EEv18rocblas_operation_llT0_T1_lllT2_lllib,comdat
	.globl	_ZL39rocblas_trsm_block_forward_substitutionIddPKdPdLb0ELb1ELb0EEv18rocblas_operation_llT0_T1_lllT2_lllib ; -- Begin function _ZL39rocblas_trsm_block_forward_substitutionIddPKdPdLb0ELb1ELb0EEv18rocblas_operation_llT0_T1_lllT2_lllib
	.p2align	8
	.type	_ZL39rocblas_trsm_block_forward_substitutionIddPKdPdLb0ELb1ELb0EEv18rocblas_operation_llT0_T1_lllT2_lllib,@function
_ZL39rocblas_trsm_block_forward_substitutionIddPKdPdLb0ELb1ELb0EEv18rocblas_operation_llT0_T1_lllT2_lllib: ; @_ZL39rocblas_trsm_block_forward_substitutionIddPKdPdLb0ELb1ELb0EEv18rocblas_operation_llT0_T1_lllT2_lllib
; %bb.0:
	s_load_dword s9, s[4:5], 0x64
	s_load_dwordx16 s[12:27], s[4:5], 0x8
	s_load_dword s6, s[4:5], 0x74
	v_and_b32_e32 v2, 0x3ff, v0
	v_bfe_u32 v8, v0, 10, 10
	s_waitcnt lgkmcnt(0)
	s_bitcmp1_b32 s9, 0
	s_mul_i32 s2, s8, s25
	s_mul_hi_u32 s3, s8, s24
	s_cselect_b64 s[0:1], -1, 0
	s_add_i32 s3, s3, s2
	s_mul_i32 s2, s8, s24
	s_lshl_b64 s[2:3], s[2:3], 3
	s_add_u32 s10, s18, s2
	s_addc_u32 s11, s19, s3
	s_lshl_b64 s[2:3], s[20:21], 3
	s_add_u32 s2, s10, s2
	s_addc_u32 s3, s11, s3
	s_add_u32 s10, s4, 0x68
	s_addc_u32 s11, s5, 0
	s_lshr_b32 s6, s6, 16
	s_bitcmp0_b32 s9, 0
	s_cbranch_scc1 .LBB116_13
; %bb.1:
	s_lshl_b32 s9, s6, 3
	v_cmp_lt_i64_e64 s[20:21], s[12:13], 1
	s_add_i32 s18, s9, 0
	s_and_b64 vcc, exec, s[20:21]
	s_cbranch_vccnz .LBB116_12
; %bb.2:
	v_lshlrev_b32_e32 v0, 3, v2
	v_mov_b32_e32 v3, 0
	v_cmp_le_u64_e32 vcc, s[12:13], v[2:3]
	v_mov_b32_e32 v1, s3
	v_add_co_u32_e64 v3, s[2:3], s2, v0
	v_add_u32_e32 v9, s18, v0
	v_addc_co_u32_e64 v10, s[2:3], 0, v1, s[2:3]
	v_mad_u64_u32 v[0:1], s[2:3], v2, s22, 0
	v_mov_b32_e32 v4, v1
	v_mad_u64_u32 v[4:5], s[2:3], v2, s23, v[4:5]
	v_mov_b32_e32 v1, v4
	v_lshlrev_b64 v[0:1], 3, v[0:1]
	v_add_co_u32_e64 v0, s[2:3], v3, v0
	v_addc_co_u32_e64 v1, s[2:3], v10, v1, s[2:3]
	s_xor_b64 s[2:3], vcc, -1
	v_pk_mov_b32 v[4:5], s[12:13], s[12:13] op_sel:[0,1]
	s_mov_b32 s20, s6
	v_mov_b32_e32 v11, v8
	s_branch .LBB116_4
.LBB116_3:                              ;   in Loop: Header=BB116_4 Depth=1
	s_or_b64 exec, exec, s[28:29]
	s_ashr_i32 s21, s20, 31
	v_cmp_ge_i64_e32 vcc, s[20:21], v[4:5]
	v_add_u32_e32 v11, s6, v11
	s_add_i32 s20, s20, s6
	s_cbranch_vccnz .LBB116_12
.LBB116_4:                              ; =>This Inner Loop Header: Depth=1
	v_cmp_gt_i32_e32 vcc, v2, v11
	s_and_b64 s[28:29], s[2:3], vcc
	s_mov_b64 s[24:25], 0
                                        ; implicit-def: $vgpr6_vgpr7
	s_and_saveexec_b64 s[30:31], s[28:29]
	s_xor_b64 s[28:29], exec, s[30:31]
	s_cbranch_execnz .LBB116_7
; %bb.5:                                ;   in Loop: Header=BB116_4 Depth=1
	s_or_saveexec_b64 s[28:29], s[28:29]
	v_mov_b32_e32 v12, v11
	s_xor_b64 exec, exec, s[28:29]
	s_cbranch_execnz .LBB116_8
.LBB116_6:                              ;   in Loop: Header=BB116_4 Depth=1
	s_or_b64 exec, exec, s[28:29]
	s_and_saveexec_b64 s[28:29], s[24:25]
	s_cbranch_execz .LBB116_3
	s_branch .LBB116_11
.LBB116_7:                              ;   in Loop: Header=BB116_4 Depth=1
	s_waitcnt vmcnt(0)
	v_ashrrev_i32_e32 v6, 31, v11
	v_mul_lo_u32 v12, v11, s23
	v_mul_lo_u32 v13, v6, s22
	v_mad_u64_u32 v[6:7], s[30:31], v11, s22, 0
	v_add3_u32 v7, v7, v12, v13
	v_lshlrev_b64 v[6:7], 3, v[6:7]
	v_add_co_u32_e32 v6, vcc, v3, v6
	v_addc_co_u32_e32 v7, vcc, v10, v7, vcc
	global_load_dwordx2 v[6:7], v[6:7], off
	s_mov_b64 s[24:25], exec
	s_or_saveexec_b64 s[28:29], s[28:29]
	v_mov_b32_e32 v12, v11
	s_xor_b64 exec, exec, s[28:29]
	s_cbranch_execz .LBB116_6
.LBB116_8:                              ;   in Loop: Header=BB116_4 Depth=1
	v_cmp_eq_u32_e32 vcc, v2, v11
	s_and_b64 s[36:37], s[2:3], vcc
	s_mov_b64 s[34:35], s[24:25]
                                        ; implicit-def: $vgpr6_vgpr7
	s_and_saveexec_b64 s[30:31], s[36:37]
	s_cbranch_execz .LBB116_10
; %bb.9:                                ;   in Loop: Header=BB116_4 Depth=1
	global_load_dwordx2 v[6:7], v[0:1], off
	s_waitcnt vmcnt(0)
	v_div_scale_f64 v[12:13], s[34:35], v[6:7], v[6:7], 1.0
	v_rcp_f64_e32 v[14:15], v[12:13]
	v_div_scale_f64 v[16:17], vcc, 1.0, v[6:7], 1.0
	s_or_b64 s[34:35], s[24:25], exec
	v_fma_f64 v[18:19], -v[12:13], v[14:15], 1.0
	v_fmac_f64_e32 v[14:15], v[14:15], v[18:19]
	v_fma_f64 v[18:19], -v[12:13], v[14:15], 1.0
	v_fmac_f64_e32 v[14:15], v[14:15], v[18:19]
	v_mul_f64 v[18:19], v[16:17], v[14:15]
	v_fma_f64 v[12:13], -v[12:13], v[18:19], v[16:17]
	v_div_fmas_f64 v[12:13], v[12:13], v[14:15], v[18:19]
	v_div_fixup_f64 v[6:7], v[12:13], v[6:7], 1.0
.LBB116_10:                             ;   in Loop: Header=BB116_4 Depth=1
	s_or_b64 exec, exec, s[30:31]
	s_andn2_b64 s[24:25], s[24:25], exec
	s_and_b64 s[30:31], s[34:35], exec
	s_or_b64 s[24:25], s[24:25], s[30:31]
	v_mov_b32_e32 v12, v2
	s_or_b64 exec, exec, s[28:29]
	s_and_saveexec_b64 s[28:29], s[24:25]
	s_cbranch_execz .LBB116_3
.LBB116_11:                             ;   in Loop: Header=BB116_4 Depth=1
	s_load_dword s9, s[10:11], 0xc
	s_waitcnt lgkmcnt(0)
	s_and_b32 s9, s9, 0xffff
	v_mul_lo_u32 v12, v12, s9
	v_lshl_add_u32 v12, v12, 3, v9
	s_waitcnt vmcnt(0)
	ds_write_b64 v12, v[6:7]
	s_branch .LBB116_3
.LBB116_12:
	s_load_dword s9, s[10:11], 0xc
	s_mov_b64 s[2:3], src_shared_base
	s_mov_b32 s19, s3
	s_mov_b32 s23, 0
	s_mov_b64 s[2:3], s[18:19]
	s_waitcnt lgkmcnt(0)
	s_and_b32 s22, s9, 0xffff
.LBB116_13:
	s_mul_i32 s7, s7, s6
	v_add_u32_e32 v0, s7, v8
	v_mov_b32_e32 v1, 0
	v_cmp_gt_i64_e32 vcc, s[14:15], v[0:1]
	s_and_saveexec_b64 s[6:7], vcc
	s_cbranch_execz .LBB116_25
; %bb.14:
	v_mov_b32_e32 v3, v1
	v_cmp_gt_i64_e32 vcc, s[12:13], v[2:3]
	s_and_b64 exec, exec, vcc
	s_cbranch_execz .LBB116_25
; %bb.15:
	s_load_dwordx2 s[6:7], s[4:5], 0x58
	s_load_dwordx4 s[28:31], s[4:5], 0x48
	v_lshlrev_b64 v[0:1], 3, v[0:1]
	s_waitcnt lgkmcnt(0)
	s_mul_i32 s5, s8, s7
	s_mul_hi_u32 s7, s8, s6
	s_mul_i32 s4, s8, s6
	s_add_i32 s5, s7, s5
	s_lshl_b64 s[4:5], s[4:5], 3
	s_add_u32 s6, s26, s4
	s_addc_u32 s7, s27, s5
	s_lshl_b64 s[4:5], s[28:29], 3
	s_add_u32 s6, s6, s4
	s_addc_u32 s7, s7, s5
	v_mad_u64_u32 v[4:5], s[4:5], v2, s30, 0
	s_waitcnt vmcnt(0)
	v_mov_b32_e32 v6, v5
	v_mad_u64_u32 v[6:7], s[4:5], v2, s31, v[6:7]
	v_mov_b32_e32 v5, v6
	v_lshlrev_b64 v[4:5], 3, v[4:5]
	v_mov_b32_e32 v6, s7
	v_add_co_u32_e32 v4, vcc, s6, v4
	v_addc_co_u32_e32 v5, vcc, v6, v5, vcc
	v_add_co_u32_e32 v0, vcc, v4, v0
	v_addc_co_u32_e32 v1, vcc, v5, v1, vcc
	global_load_dwordx2 v[4:5], v[0:1], off
	v_cmp_lt_u64_e64 s[6:7], s[12:13], 2
	s_add_u32 s4, s12, -1
	s_addc_u32 s5, s13, -1
	s_and_b64 vcc, exec, s[6:7]
	s_waitcnt vmcnt(0)
	v_mul_f64 v[4:5], v[4:5], s[16:17]
	s_cbranch_vccnz .LBB116_22
; %bb.16:
	v_mad_u64_u32 v[6:7], s[6:7], v2, s22, v[2:3]
	v_mov_b32_e32 v10, v7
	v_mad_u64_u32 v[10:11], s[6:7], v2, s23, v[10:11]
	v_mov_b32_e32 v7, v10
	v_lshlrev_b64 v[6:7], 3, v[6:7]
	v_mov_b32_e32 v9, s3
	v_add_co_u32_e32 v6, vcc, s2, v6
	v_addc_co_u32_e32 v7, vcc, v9, v7, vcc
	v_lshl_add_u32 v10, v8, 3, 0
	v_lshlrev_b32_e32 v8, 3, v2
	v_add_co_u32_e32 v8, vcc, s2, v8
	s_lshl_b64 s[6:7], s[22:23], 3
	v_addc_co_u32_e32 v9, vcc, 0, v9, vcc
	s_mov_b64 s[8:9], 0
	v_mov_b32_e32 v11, s7
	s_branch .LBB116_18
.LBB116_17:                             ;   in Loop: Header=BB116_18 Depth=1
	s_or_b64 exec, exec, s[10:11]
	s_add_u32 s8, s8, 1
	s_addc_u32 s9, s9, 0
	v_add_co_u32_e32 v8, vcc, s6, v8
	s_cmp_eq_u64 s[4:5], s[8:9]
	v_addc_co_u32_e32 v9, vcc, v9, v11, vcc
	s_cbranch_scc1 .LBB116_22
.LBB116_18:                             ; =>This Inner Loop Header: Depth=1
	v_cmp_eq_u64_e32 vcc, s[8:9], v[2:3]
	s_barrier
	s_and_saveexec_b64 s[10:11], vcc
	s_cbranch_execz .LBB116_20
; %bb.19:                               ;   in Loop: Header=BB116_18 Depth=1
	flat_load_dwordx2 v[12:13], v[6:7]
	s_waitcnt vmcnt(0) lgkmcnt(0)
	v_div_scale_f64 v[14:15], s[12:13], v[12:13], v[12:13], 1.0
	v_rcp_f64_e32 v[16:17], v[14:15]
	v_div_scale_f64 v[18:19], vcc, 1.0, v[12:13], 1.0
	v_fma_f64 v[20:21], -v[14:15], v[16:17], 1.0
	v_fmac_f64_e32 v[16:17], v[16:17], v[20:21]
	v_fma_f64 v[20:21], -v[14:15], v[16:17], 1.0
	v_fmac_f64_e32 v[16:17], v[16:17], v[20:21]
	v_mul_f64 v[20:21], v[18:19], v[16:17]
	v_fma_f64 v[14:15], -v[14:15], v[20:21], v[18:19]
	v_div_fmas_f64 v[14:15], v[14:15], v[16:17], v[20:21]
	v_div_fixup_f64 v[14:15], v[14:15], v[12:13], 1.0
	v_cndmask_b32_e64 v13, v15, v13, s[0:1]
	v_cndmask_b32_e64 v12, v14, v12, s[0:1]
	v_mul_f64 v[4:5], v[4:5], v[12:13]
	ds_write_b64 v10, v[4:5]
.LBB116_20:                             ;   in Loop: Header=BB116_18 Depth=1
	s_or_b64 exec, exec, s[10:11]
	v_cmp_lt_u64_e32 vcc, s[8:9], v[2:3]
	s_waitcnt lgkmcnt(0)
	s_barrier
	s_and_saveexec_b64 s[10:11], vcc
	s_cbranch_execz .LBB116_17
; %bb.21:                               ;   in Loop: Header=BB116_18 Depth=1
	flat_load_dwordx2 v[12:13], v[8:9]
	ds_read_b64 v[14:15], v10
	s_waitcnt vmcnt(0) lgkmcnt(0)
	v_fma_f64 v[4:5], -v[12:13], v[14:15], v[4:5]
	s_branch .LBB116_17
.LBB116_22:
	v_cmp_eq_u64_e32 vcc, s[4:5], v[2:3]
	s_and_saveexec_b64 s[4:5], vcc
	s_cbranch_execz .LBB116_24
; %bb.23:
	v_mad_u64_u32 v[6:7], s[6:7], v2, s22, v[2:3]
	v_mov_b32_e32 v8, v7
	v_mad_u64_u32 v[2:3], s[6:7], v2, s23, v[8:9]
	v_mov_b32_e32 v7, v2
	v_lshlrev_b64 v[2:3], 3, v[6:7]
	v_mov_b32_e32 v6, s3
	v_add_co_u32_e32 v2, vcc, s2, v2
	v_addc_co_u32_e32 v3, vcc, v6, v3, vcc
	flat_load_dwordx2 v[2:3], v[2:3]
	s_waitcnt vmcnt(0) lgkmcnt(0)
	v_div_scale_f64 v[6:7], s[2:3], v[2:3], v[2:3], 1.0
	v_rcp_f64_e32 v[8:9], v[6:7]
	v_div_scale_f64 v[10:11], vcc, 1.0, v[2:3], 1.0
	v_fma_f64 v[12:13], -v[6:7], v[8:9], 1.0
	v_fmac_f64_e32 v[8:9], v[8:9], v[12:13]
	v_fma_f64 v[12:13], -v[6:7], v[8:9], 1.0
	v_fmac_f64_e32 v[8:9], v[8:9], v[12:13]
	v_mul_f64 v[12:13], v[10:11], v[8:9]
	v_fma_f64 v[6:7], -v[6:7], v[12:13], v[10:11]
	v_div_fmas_f64 v[6:7], v[6:7], v[8:9], v[12:13]
	v_div_fixup_f64 v[6:7], v[6:7], v[2:3], 1.0
	v_cndmask_b32_e64 v3, v7, v3, s[0:1]
	v_cndmask_b32_e64 v2, v6, v2, s[0:1]
	v_mul_f64 v[4:5], v[4:5], v[2:3]
.LBB116_24:
	s_or_b64 exec, exec, s[4:5]
	global_store_dwordx2 v[0:1], v[4:5], off
.LBB116_25:
	s_endpgm
	.section	.rodata,"a",@progbits
	.p2align	6, 0x0
	.amdhsa_kernel _ZL39rocblas_trsm_block_forward_substitutionIddPKdPdLb0ELb1ELb0EEv18rocblas_operation_llT0_T1_lllT2_lllib
		.amdhsa_group_segment_fixed_size 0
		.amdhsa_private_segment_fixed_size 0
		.amdhsa_kernarg_size 360
		.amdhsa_user_sgpr_count 6
		.amdhsa_user_sgpr_private_segment_buffer 1
		.amdhsa_user_sgpr_dispatch_ptr 0
		.amdhsa_user_sgpr_queue_ptr 0
		.amdhsa_user_sgpr_kernarg_segment_ptr 1
		.amdhsa_user_sgpr_dispatch_id 0
		.amdhsa_user_sgpr_flat_scratch_init 0
		.amdhsa_user_sgpr_kernarg_preload_length 0
		.amdhsa_user_sgpr_kernarg_preload_offset 0
		.amdhsa_user_sgpr_private_segment_size 0
		.amdhsa_uses_dynamic_stack 0
		.amdhsa_system_sgpr_private_segment_wavefront_offset 0
		.amdhsa_system_sgpr_workgroup_id_x 1
		.amdhsa_system_sgpr_workgroup_id_y 1
		.amdhsa_system_sgpr_workgroup_id_z 1
		.amdhsa_system_sgpr_workgroup_info 0
		.amdhsa_system_vgpr_workitem_id 1
		.amdhsa_next_free_vgpr 22
		.amdhsa_next_free_sgpr 38
		.amdhsa_accum_offset 24
		.amdhsa_reserve_vcc 1
		.amdhsa_reserve_flat_scratch 0
		.amdhsa_float_round_mode_32 0
		.amdhsa_float_round_mode_16_64 0
		.amdhsa_float_denorm_mode_32 3
		.amdhsa_float_denorm_mode_16_64 3
		.amdhsa_dx10_clamp 1
		.amdhsa_ieee_mode 1
		.amdhsa_fp16_overflow 0
		.amdhsa_tg_split 0
		.amdhsa_exception_fp_ieee_invalid_op 0
		.amdhsa_exception_fp_denorm_src 0
		.amdhsa_exception_fp_ieee_div_zero 0
		.amdhsa_exception_fp_ieee_overflow 0
		.amdhsa_exception_fp_ieee_underflow 0
		.amdhsa_exception_fp_ieee_inexact 0
		.amdhsa_exception_int_div_zero 0
	.end_amdhsa_kernel
	.section	.text._ZL39rocblas_trsm_block_forward_substitutionIddPKdPdLb0ELb1ELb0EEv18rocblas_operation_llT0_T1_lllT2_lllib,"axG",@progbits,_ZL39rocblas_trsm_block_forward_substitutionIddPKdPdLb0ELb1ELb0EEv18rocblas_operation_llT0_T1_lllT2_lllib,comdat
.Lfunc_end116:
	.size	_ZL39rocblas_trsm_block_forward_substitutionIddPKdPdLb0ELb1ELb0EEv18rocblas_operation_llT0_T1_lllT2_lllib, .Lfunc_end116-_ZL39rocblas_trsm_block_forward_substitutionIddPKdPdLb0ELb1ELb0EEv18rocblas_operation_llT0_T1_lllT2_lllib
                                        ; -- End function
	.section	.AMDGPU.csdata,"",@progbits
; Kernel info:
; codeLenInByte = 1336
; NumSgprs: 42
; NumVgprs: 22
; NumAgprs: 0
; TotalNumVgprs: 22
; ScratchSize: 0
; MemoryBound: 1
; FloatMode: 240
; IeeeMode: 1
; LDSByteSize: 0 bytes/workgroup (compile time only)
; SGPRBlocks: 5
; VGPRBlocks: 2
; NumSGPRsForWavesPerEU: 42
; NumVGPRsForWavesPerEU: 22
; AccumOffset: 24
; Occupancy: 8
; WaveLimiterHint : 1
; COMPUTE_PGM_RSRC2:SCRATCH_EN: 0
; COMPUTE_PGM_RSRC2:USER_SGPR: 6
; COMPUTE_PGM_RSRC2:TRAP_HANDLER: 0
; COMPUTE_PGM_RSRC2:TGID_X_EN: 1
; COMPUTE_PGM_RSRC2:TGID_Y_EN: 1
; COMPUTE_PGM_RSRC2:TGID_Z_EN: 1
; COMPUTE_PGM_RSRC2:TIDIG_COMP_CNT: 1
; COMPUTE_PGM_RSRC3_GFX90A:ACCUM_OFFSET: 5
; COMPUTE_PGM_RSRC3_GFX90A:TG_SPLIT: 0
	.section	.text._ZL40rocblas_trsm_block_backward_substitutionIddPKdPdLb0ELb1ELb0EEv18rocblas_operation_llT0_T1_lllT2_lllib,"axG",@progbits,_ZL40rocblas_trsm_block_backward_substitutionIddPKdPdLb0ELb1ELb0EEv18rocblas_operation_llT0_T1_lllT2_lllib,comdat
	.globl	_ZL40rocblas_trsm_block_backward_substitutionIddPKdPdLb0ELb1ELb0EEv18rocblas_operation_llT0_T1_lllT2_lllib ; -- Begin function _ZL40rocblas_trsm_block_backward_substitutionIddPKdPdLb0ELb1ELb0EEv18rocblas_operation_llT0_T1_lllT2_lllib
	.p2align	8
	.type	_ZL40rocblas_trsm_block_backward_substitutionIddPKdPdLb0ELb1ELb0EEv18rocblas_operation_llT0_T1_lllT2_lllib,@function
_ZL40rocblas_trsm_block_backward_substitutionIddPKdPdLb0ELb1ELb0EEv18rocblas_operation_llT0_T1_lllT2_lllib: ; @_ZL40rocblas_trsm_block_backward_substitutionIddPKdPdLb0ELb1ELb0EEv18rocblas_operation_llT0_T1_lllT2_lllib
; %bb.0:
	s_load_dwordx16 s[12:27], s[4:5], 0x8
	s_load_dword s9, s[4:5], 0x64
	s_load_dword s6, s[4:5], 0x74
	v_and_b32_e32 v2, 0x3ff, v0
	v_bfe_u32 v10, v0, 10, 10
	s_waitcnt lgkmcnt(0)
	s_mul_i32 s2, s8, s25
	s_bitcmp1_b32 s9, 0
	s_mul_hi_u32 s3, s8, s24
	s_cselect_b64 s[0:1], -1, 0
	s_add_i32 s3, s3, s2
	s_mul_i32 s2, s8, s24
	s_lshl_b64 s[2:3], s[2:3], 3
	s_add_u32 s10, s18, s2
	s_addc_u32 s11, s19, s3
	s_lshl_b64 s[2:3], s[20:21], 3
	s_add_u32 s10, s10, s2
	s_addc_u32 s11, s11, s3
	s_add_u32 s18, s4, 0x68
	s_addc_u32 s19, s5, 0
	s_lshr_b32 s6, s6, 16
	s_bitcmp0_b32 s9, 0
	s_mov_b64 s[2:3], 1
	s_cbranch_scc1 .LBB117_14
; %bb.1:
	s_lshl_b32 s2, s6, 3
	s_add_i32 s20, s2, 0
	v_cmp_lt_i64_e64 s[2:3], s[12:13], 1
	s_mov_b64 s[28:29], 1
	s_and_b64 vcc, exec, s[2:3]
	s_cbranch_vccnz .LBB117_15
; %bb.2:
	v_mad_u64_u32 v[0:1], s[30:31], v2, s22, 0
	v_mov_b32_e32 v4, v1
	v_mad_u64_u32 v[4:5], s[22:23], v2, s23, v[4:5]
	v_mov_b32_e32 v1, v4
	v_mov_b32_e32 v3, 0
	v_lshlrev_b64 v[0:1], 3, v[0:1]
	v_cmp_le_u64_e64 s[24:25], s[12:13], v[2:3]
	v_cmp_gt_u64_e64 s[2:3], s[12:13], v[2:3]
	v_mov_b32_e32 v4, s11
	v_add_co_u32_e32 v3, vcc, s10, v0
	v_lshlrev_b32_e32 v6, 3, v2
	v_addc_co_u32_e32 v12, vcc, v4, v1, vcc
	v_add_co_u32_e32 v0, vcc, v3, v6
	v_add_u32_e32 v11, s20, v6
	v_addc_co_u32_e32 v1, vcc, 0, v12, vcc
	s_xor_b64 s[22:23], s[24:25], -1
	v_pk_mov_b32 v[4:5], s[12:13], s[12:13] op_sel:[0,1]
	s_mov_b32 s30, s6
	v_mov_b32_e32 v6, v10
	s_branch .LBB117_4
.LBB117_3:                              ;   in Loop: Header=BB117_4 Depth=1
	s_or_b64 exec, exec, s[34:35]
	s_ashr_i32 s31, s30, 31
	v_cmp_ge_i64_e32 vcc, s[30:31], v[4:5]
	v_add_u32_e32 v6, s6, v6
	s_add_i32 s30, s30, s6
	s_cbranch_vccnz .LBB117_15
.LBB117_4:                              ; =>This Inner Loop Header: Depth=1
	s_mov_b64 s[10:11], 0
	s_mov_b64 s[36:37], s[24:25]
                                        ; implicit-def: $vgpr8_vgpr9
                                        ; implicit-def: $vgpr7
	s_and_saveexec_b64 s[34:35], s[2:3]
	s_cbranch_execnz .LBB117_7
; %bb.5:                                ;   in Loop: Header=BB117_4 Depth=1
	s_or_b64 exec, exec, s[34:35]
	s_and_saveexec_b64 s[34:35], s[36:37]
	s_cbranch_execnz .LBB117_10
.LBB117_6:                              ;   in Loop: Header=BB117_4 Depth=1
	s_or_b64 exec, exec, s[34:35]
	s_and_saveexec_b64 s[34:35], s[10:11]
	s_cbranch_execz .LBB117_3
	s_branch .LBB117_13
.LBB117_7:                              ;   in Loop: Header=BB117_4 Depth=1
	v_ashrrev_i32_e32 v7, 31, v6
	v_cmp_gt_i64_e32 vcc, s[12:13], v[6:7]
	v_cmp_lt_i32_e64 s[10:11], v2, v6
	s_and_b64 s[40:41], s[10:11], vcc
	s_mov_b64 s[36:37], -1
	s_mov_b64 s[10:11], 0
                                        ; implicit-def: $vgpr8_vgpr9
	s_and_saveexec_b64 s[38:39], s[40:41]
	s_cbranch_execz .LBB117_9
; %bb.8:                                ;   in Loop: Header=BB117_4 Depth=1
	s_waitcnt vmcnt(0)
	v_lshlrev_b64 v[8:9], 3, v[6:7]
	v_add_co_u32_e32 v8, vcc, v3, v8
	v_addc_co_u32_e32 v9, vcc, v12, v9, vcc
	global_load_dwordx2 v[8:9], v[8:9], off
	s_mov_b64 s[10:11], exec
	s_xor_b64 s[36:37], exec, -1
.LBB117_9:                              ;   in Loop: Header=BB117_4 Depth=1
	s_or_b64 exec, exec, s[38:39]
	s_andn2_b64 s[38:39], s[24:25], exec
	s_and_b64 s[36:37], s[36:37], exec
	s_and_b64 s[10:11], s[10:11], exec
	s_or_b64 s[36:37], s[38:39], s[36:37]
	v_mov_b32_e32 v7, v6
	s_or_b64 exec, exec, s[34:35]
	s_and_saveexec_b64 s[34:35], s[36:37]
	s_cbranch_execz .LBB117_6
.LBB117_10:                             ;   in Loop: Header=BB117_4 Depth=1
	v_cmp_eq_u32_e32 vcc, v2, v6
	s_and_b64 s[40:41], s[22:23], vcc
	s_mov_b64 s[38:39], s[10:11]
                                        ; implicit-def: $vgpr8_vgpr9
	s_and_saveexec_b64 s[36:37], s[40:41]
	s_cbranch_execz .LBB117_12
; %bb.11:                               ;   in Loop: Header=BB117_4 Depth=1
	global_load_dwordx2 v[8:9], v[0:1], off
	s_waitcnt vmcnt(0)
	v_div_scale_f64 v[14:15], s[38:39], v[8:9], v[8:9], 1.0
	v_rcp_f64_e32 v[16:17], v[14:15]
	v_div_scale_f64 v[18:19], vcc, 1.0, v[8:9], 1.0
	s_or_b64 s[38:39], s[10:11], exec
	v_fma_f64 v[20:21], -v[14:15], v[16:17], 1.0
	v_fmac_f64_e32 v[16:17], v[16:17], v[20:21]
	v_fma_f64 v[20:21], -v[14:15], v[16:17], 1.0
	v_fmac_f64_e32 v[16:17], v[16:17], v[20:21]
	v_mul_f64 v[20:21], v[18:19], v[16:17]
	v_fma_f64 v[14:15], -v[14:15], v[20:21], v[18:19]
	v_div_fmas_f64 v[14:15], v[14:15], v[16:17], v[20:21]
	v_div_fixup_f64 v[8:9], v[14:15], v[8:9], 1.0
.LBB117_12:                             ;   in Loop: Header=BB117_4 Depth=1
	s_or_b64 exec, exec, s[36:37]
	s_andn2_b64 s[10:11], s[10:11], exec
	s_and_b64 s[36:37], s[38:39], exec
	s_or_b64 s[10:11], s[10:11], s[36:37]
	v_mov_b32_e32 v7, v2
	s_or_b64 exec, exec, s[34:35]
	s_and_saveexec_b64 s[34:35], s[10:11]
	s_cbranch_execz .LBB117_3
.LBB117_13:                             ;   in Loop: Header=BB117_4 Depth=1
	s_load_dword s9, s[18:19], 0xc
	s_waitcnt lgkmcnt(0)
	s_and_b32 s9, s9, 0xffff
	v_mul_lo_u32 v7, v7, s9
	v_lshl_add_u32 v7, v7, 3, v11
	s_waitcnt vmcnt(0)
	ds_write_b64 v7, v[8:9]
	s_branch .LBB117_3
.LBB117_14:
	s_mov_b32 s28, s22
	s_mov_b32 s29, s23
	s_branch .LBB117_16
.LBB117_15:
	s_load_dword s2, s[18:19], 0xc
	s_mov_b64 s[10:11], src_shared_base
	s_mov_b32 s21, s11
	s_mov_b32 s3, 0
	s_mov_b64 s[10:11], s[20:21]
	s_waitcnt lgkmcnt(0)
	s_and_b32 s2, s2, 0xffff
.LBB117_16:
	s_mul_i32 s7, s7, s6
	v_add_u32_e32 v0, s7, v10
	v_mov_b32_e32 v1, 0
	v_cmp_gt_i64_e32 vcc, s[14:15], v[0:1]
	s_and_saveexec_b64 s[6:7], vcc
	s_cbranch_execz .LBB117_29
; %bb.17:
	v_mov_b32_e32 v3, v1
	v_cmp_gt_i64_e32 vcc, s[12:13], v[2:3]
	s_and_b64 exec, exec, vcc
	s_cbranch_execz .LBB117_29
; %bb.18:
	s_load_dwordx2 s[6:7], s[4:5], 0x58
	s_load_dwordx4 s[20:23], s[4:5], 0x48
	s_waitcnt lgkmcnt(0)
	s_mul_i32 s5, s8, s7
	s_mul_hi_u32 s7, s8, s6
	s_mul_i32 s4, s8, s6
	s_add_i32 s5, s7, s5
	s_lshl_b64 s[4:5], s[4:5], 3
	s_add_u32 s6, s26, s4
	s_addc_u32 s7, s27, s5
	s_lshl_b64 s[4:5], s[20:21], 3
	s_add_u32 s6, s6, s4
	s_addc_u32 s7, s7, s5
	v_mad_u64_u32 v[4:5], s[4:5], v0, s22, 0
	v_mov_b32_e32 v6, v5
	v_mad_u64_u32 v[0:1], s[4:5], v0, s23, v[6:7]
	v_mov_b32_e32 v5, v0
	v_lshlrev_b64 v[0:1], 3, v[4:5]
	v_mov_b32_e32 v4, s7
	v_add_co_u32_e32 v0, vcc, s6, v0
	v_addc_co_u32_e32 v1, vcc, v4, v1, vcc
	v_lshlrev_b32_e32 v4, 3, v2
	v_add_co_u32_e32 v0, vcc, v0, v4
	v_addc_co_u32_e32 v1, vcc, 0, v1, vcc
	global_load_dwordx2 v[4:5], v[0:1], off
	v_cmp_lt_u64_e64 s[4:5], s[12:13], 2
	s_and_b64 vcc, exec, s[4:5]
	s_waitcnt vmcnt(0)
	v_mul_f64 v[4:5], v[4:5], s[16:17]
	s_cbranch_vccnz .LBB117_26
; %bb.19:
	s_add_u32 s4, s2, s28
	v_mad_u64_u32 v[6:7], s[4:5], s4, v2, 0
	s_addc_u32 s6, s3, s29
	v_mov_b32_e32 v8, v7
	v_mad_u64_u32 v[8:9], s[4:5], s6, v2, v[8:9]
	v_mov_b32_e32 v7, v8
	v_lshlrev_b64 v[6:7], 3, v[6:7]
	v_mov_b32_e32 v8, s11
	v_add_co_u32_e32 v6, vcc, s10, v6
	v_addc_co_u32_e32 v7, vcc, v8, v7, vcc
	v_mad_u64_u32 v[8:9], s[4:5], s28, v2, 0
	v_mov_b32_e32 v12, v9
	v_mad_u64_u32 v[12:13], s[4:5], s29, v2, v[12:13]
	s_add_u32 s4, s12, -1
	s_addc_u32 s5, s13, -1
	s_mul_i32 s6, s2, s5
	s_mul_hi_u32 s7, s2, s4
	s_add_i32 s7, s7, s6
	s_mul_i32 s6, s2, s4
	v_mov_b32_e32 v9, v12
	s_lshl_b64 s[6:7], s[6:7], 3
	v_lshlrev_b64 v[8:9], 3, v[8:9]
	s_add_u32 s6, s10, s6
	s_addc_u32 s7, s11, s7
	v_add_co_u32_e32 v8, vcc, s6, v8
	s_lshl_b32 s6, s2, 3
	v_mov_b32_e32 v11, s7
	s_sub_u32 s8, 0, s6
	v_lshl_add_u32 v10, v10, 3, 0
	v_addc_co_u32_e32 v9, vcc, v11, v9, vcc
	s_subb_u32 s9, 0, 0
.LBB117_20:                             ; =>This Inner Loop Header: Depth=1
	v_cmp_eq_u64_e32 vcc, s[4:5], v[2:3]
	s_barrier
	s_and_saveexec_b64 s[6:7], vcc
	s_cbranch_execz .LBB117_22
; %bb.21:                               ;   in Loop: Header=BB117_20 Depth=1
	flat_load_dwordx2 v[12:13], v[6:7]
	s_waitcnt vmcnt(0) lgkmcnt(0)
	v_div_scale_f64 v[14:15], s[12:13], v[12:13], v[12:13], 1.0
	v_rcp_f64_e32 v[16:17], v[14:15]
	v_div_scale_f64 v[18:19], vcc, 1.0, v[12:13], 1.0
	v_fma_f64 v[20:21], -v[14:15], v[16:17], 1.0
	v_fmac_f64_e32 v[16:17], v[16:17], v[20:21]
	v_fma_f64 v[20:21], -v[14:15], v[16:17], 1.0
	v_fmac_f64_e32 v[16:17], v[16:17], v[20:21]
	v_mul_f64 v[20:21], v[18:19], v[16:17]
	v_fma_f64 v[14:15], -v[14:15], v[20:21], v[18:19]
	v_div_fmas_f64 v[14:15], v[14:15], v[16:17], v[20:21]
	v_div_fixup_f64 v[14:15], v[14:15], v[12:13], 1.0
	v_cndmask_b32_e64 v13, v15, v13, s[0:1]
	v_cndmask_b32_e64 v12, v14, v12, s[0:1]
	v_mul_f64 v[4:5], v[4:5], v[12:13]
	ds_write_b64 v10, v[4:5]
.LBB117_22:                             ;   in Loop: Header=BB117_20 Depth=1
	s_or_b64 exec, exec, s[6:7]
	v_cmp_gt_i64_e32 vcc, s[4:5], v[2:3]
	s_waitcnt lgkmcnt(0)
	s_barrier
	s_and_saveexec_b64 s[6:7], vcc
	s_cbranch_execz .LBB117_24
; %bb.23:                               ;   in Loop: Header=BB117_20 Depth=1
	flat_load_dwordx2 v[12:13], v[8:9]
	ds_read_b64 v[14:15], v10
	s_waitcnt vmcnt(0) lgkmcnt(0)
	v_fma_f64 v[4:5], -v[12:13], v[14:15], v[4:5]
.LBB117_24:                             ;   in Loop: Header=BB117_20 Depth=1
	s_or_b64 exec, exec, s[6:7]
	s_add_u32 s6, s4, -1
	s_addc_u32 s7, s5, -1
	s_add_u32 s4, s4, 1
	s_addc_u32 s5, s5, 0
	v_mov_b32_e32 v11, s9
	v_add_co_u32_e32 v8, vcc, s8, v8
	v_addc_co_u32_e32 v9, vcc, v9, v11, vcc
	v_cmp_lt_u64_e64 s[4:5], s[4:5], 3
	s_and_b64 vcc, exec, s[4:5]
	s_cbranch_vccnz .LBB117_26
; %bb.25:                               ;   in Loop: Header=BB117_20 Depth=1
	s_mov_b64 s[4:5], s[6:7]
	s_branch .LBB117_20
.LBB117_26:
	v_cmp_eq_u32_e32 vcc, 0, v2
	s_and_saveexec_b64 s[4:5], vcc
	s_cbranch_execz .LBB117_28
; %bb.27:
	s_add_u32 s2, s2, s28
	s_addc_u32 s6, s3, s29
	v_mad_u64_u32 v[6:7], s[2:3], s2, v2, 0
	v_mov_b32_e32 v8, v7
	v_mad_u64_u32 v[2:3], s[2:3], s6, v2, v[8:9]
	v_mov_b32_e32 v7, v2
	v_lshlrev_b64 v[2:3], 3, v[6:7]
	v_mov_b32_e32 v6, s11
	v_add_co_u32_e32 v2, vcc, s10, v2
	v_addc_co_u32_e32 v3, vcc, v6, v3, vcc
	flat_load_dwordx2 v[2:3], v[2:3]
	s_waitcnt vmcnt(0) lgkmcnt(0)
	v_div_scale_f64 v[6:7], s[2:3], v[2:3], v[2:3], 1.0
	v_rcp_f64_e32 v[8:9], v[6:7]
	v_div_scale_f64 v[10:11], vcc, 1.0, v[2:3], 1.0
	v_fma_f64 v[12:13], -v[6:7], v[8:9], 1.0
	v_fmac_f64_e32 v[8:9], v[8:9], v[12:13]
	v_fma_f64 v[12:13], -v[6:7], v[8:9], 1.0
	v_fmac_f64_e32 v[8:9], v[8:9], v[12:13]
	v_mul_f64 v[12:13], v[10:11], v[8:9]
	v_fma_f64 v[6:7], -v[6:7], v[12:13], v[10:11]
	v_div_fmas_f64 v[6:7], v[6:7], v[8:9], v[12:13]
	v_div_fixup_f64 v[6:7], v[6:7], v[2:3], 1.0
	v_cndmask_b32_e64 v3, v7, v3, s[0:1]
	v_cndmask_b32_e64 v2, v6, v2, s[0:1]
	v_mul_f64 v[4:5], v[4:5], v[2:3]
.LBB117_28:
	s_or_b64 exec, exec, s[4:5]
	global_store_dwordx2 v[0:1], v[4:5], off
.LBB117_29:
	s_endpgm
	.section	.rodata,"a",@progbits
	.p2align	6, 0x0
	.amdhsa_kernel _ZL40rocblas_trsm_block_backward_substitutionIddPKdPdLb0ELb1ELb0EEv18rocblas_operation_llT0_T1_lllT2_lllib
		.amdhsa_group_segment_fixed_size 0
		.amdhsa_private_segment_fixed_size 0
		.amdhsa_kernarg_size 360
		.amdhsa_user_sgpr_count 6
		.amdhsa_user_sgpr_private_segment_buffer 1
		.amdhsa_user_sgpr_dispatch_ptr 0
		.amdhsa_user_sgpr_queue_ptr 0
		.amdhsa_user_sgpr_kernarg_segment_ptr 1
		.amdhsa_user_sgpr_dispatch_id 0
		.amdhsa_user_sgpr_flat_scratch_init 0
		.amdhsa_user_sgpr_kernarg_preload_length 0
		.amdhsa_user_sgpr_kernarg_preload_offset 0
		.amdhsa_user_sgpr_private_segment_size 0
		.amdhsa_uses_dynamic_stack 0
		.amdhsa_system_sgpr_private_segment_wavefront_offset 0
		.amdhsa_system_sgpr_workgroup_id_x 1
		.amdhsa_system_sgpr_workgroup_id_y 1
		.amdhsa_system_sgpr_workgroup_id_z 1
		.amdhsa_system_sgpr_workgroup_info 0
		.amdhsa_system_vgpr_workitem_id 1
		.amdhsa_next_free_vgpr 22
		.amdhsa_next_free_sgpr 42
		.amdhsa_accum_offset 24
		.amdhsa_reserve_vcc 1
		.amdhsa_reserve_flat_scratch 0
		.amdhsa_float_round_mode_32 0
		.amdhsa_float_round_mode_16_64 0
		.amdhsa_float_denorm_mode_32 3
		.amdhsa_float_denorm_mode_16_64 3
		.amdhsa_dx10_clamp 1
		.amdhsa_ieee_mode 1
		.amdhsa_fp16_overflow 0
		.amdhsa_tg_split 0
		.amdhsa_exception_fp_ieee_invalid_op 0
		.amdhsa_exception_fp_denorm_src 0
		.amdhsa_exception_fp_ieee_div_zero 0
		.amdhsa_exception_fp_ieee_overflow 0
		.amdhsa_exception_fp_ieee_underflow 0
		.amdhsa_exception_fp_ieee_inexact 0
		.amdhsa_exception_int_div_zero 0
	.end_amdhsa_kernel
	.section	.text._ZL40rocblas_trsm_block_backward_substitutionIddPKdPdLb0ELb1ELb0EEv18rocblas_operation_llT0_T1_lllT2_lllib,"axG",@progbits,_ZL40rocblas_trsm_block_backward_substitutionIddPKdPdLb0ELb1ELb0EEv18rocblas_operation_llT0_T1_lllT2_lllib,comdat
.Lfunc_end117:
	.size	_ZL40rocblas_trsm_block_backward_substitutionIddPKdPdLb0ELb1ELb0EEv18rocblas_operation_llT0_T1_lllT2_lllib, .Lfunc_end117-_ZL40rocblas_trsm_block_backward_substitutionIddPKdPdLb0ELb1ELb0EEv18rocblas_operation_llT0_T1_lllT2_lllib
                                        ; -- End function
	.section	.AMDGPU.csdata,"",@progbits
; Kernel info:
; codeLenInByte = 1452
; NumSgprs: 46
; NumVgprs: 22
; NumAgprs: 0
; TotalNumVgprs: 22
; ScratchSize: 0
; MemoryBound: 1
; FloatMode: 240
; IeeeMode: 1
; LDSByteSize: 0 bytes/workgroup (compile time only)
; SGPRBlocks: 5
; VGPRBlocks: 2
; NumSGPRsForWavesPerEU: 46
; NumVGPRsForWavesPerEU: 22
; AccumOffset: 24
; Occupancy: 8
; WaveLimiterHint : 1
; COMPUTE_PGM_RSRC2:SCRATCH_EN: 0
; COMPUTE_PGM_RSRC2:USER_SGPR: 6
; COMPUTE_PGM_RSRC2:TRAP_HANDLER: 0
; COMPUTE_PGM_RSRC2:TGID_X_EN: 1
; COMPUTE_PGM_RSRC2:TGID_Y_EN: 1
; COMPUTE_PGM_RSRC2:TGID_Z_EN: 1
; COMPUTE_PGM_RSRC2:TIDIG_COMP_CNT: 1
; COMPUTE_PGM_RSRC3_GFX90A:ACCUM_OFFSET: 5
; COMPUTE_PGM_RSRC3_GFX90A:TG_SPLIT: 0
	.section	.text._ZL39rocblas_trsm_block_forward_substitutionIddPKdPdLb0ELb1ELb1EEv18rocblas_operation_llT0_T1_lllT2_lllib,"axG",@progbits,_ZL39rocblas_trsm_block_forward_substitutionIddPKdPdLb0ELb1ELb1EEv18rocblas_operation_llT0_T1_lllT2_lllib,comdat
	.globl	_ZL39rocblas_trsm_block_forward_substitutionIddPKdPdLb0ELb1ELb1EEv18rocblas_operation_llT0_T1_lllT2_lllib ; -- Begin function _ZL39rocblas_trsm_block_forward_substitutionIddPKdPdLb0ELb1ELb1EEv18rocblas_operation_llT0_T1_lllT2_lllib
	.p2align	8
	.type	_ZL39rocblas_trsm_block_forward_substitutionIddPKdPdLb0ELb1ELb1EEv18rocblas_operation_llT0_T1_lllT2_lllib,@function
_ZL39rocblas_trsm_block_forward_substitutionIddPKdPdLb0ELb1ELb1EEv18rocblas_operation_llT0_T1_lllT2_lllib: ; @_ZL39rocblas_trsm_block_forward_substitutionIddPKdPdLb0ELb1ELb1EEv18rocblas_operation_llT0_T1_lllT2_lllib
; %bb.0:
	s_load_dwordx16 s[12:27], s[4:5], 0x8
	v_and_b32_e32 v2, 0x3ff, v0
	v_bfe_u32 v6, v0, 10, 10
	s_waitcnt lgkmcnt(0)
	s_mul_i32 s0, s8, s25
	s_mul_hi_u32 s1, s8, s24
	s_add_i32 s1, s1, s0
	s_mul_i32 s0, s8, s24
	s_lshl_b64 s[0:1], s[0:1], 3
	s_add_u32 s2, s18, s0
	s_addc_u32 s3, s19, s1
	s_lshl_b64 s[0:1], s[20:21], 3
	s_add_u32 s2, s2, s0
	s_load_dword s0, s[4:5], 0x64
	s_load_dword s6, s[4:5], 0x74
	s_addc_u32 s3, s3, s1
	s_add_u32 s10, s4, 0x68
	s_addc_u32 s11, s5, 0
	s_waitcnt lgkmcnt(0)
	s_lshr_b32 s6, s6, 16
	s_bitcmp0_b32 s0, 0
	s_cbranch_scc1 .LBB118_7
; %bb.1:
	s_lshl_b32 s0, s6, 3
	s_add_i32 s18, s0, 0
	v_cmp_lt_i64_e64 s[0:1], s[12:13], 1
	s_and_b64 vcc, exec, s[0:1]
	s_cbranch_vccnz .LBB118_6
; %bb.2:
	v_lshlrev_b32_e32 v0, 3, v2
	v_mov_b32_e32 v3, 0
	v_cmp_gt_u64_e64 s[0:1], s[12:13], v[2:3]
	v_mov_b32_e32 v1, s3
	v_add_co_u32_e32 v3, vcc, s2, v0
	v_add_u32_e32 v4, s18, v0
	s_mov_b32 s20, 0
	v_addc_co_u32_e32 v5, vcc, 0, v1, vcc
	v_pk_mov_b32 v[0:1], s[12:13], s[12:13] op_sel:[0,1]
	s_branch .LBB118_4
.LBB118_3:                              ;   in Loop: Header=BB118_4 Depth=1
	s_or_b64 exec, exec, s[2:3]
	s_add_i32 s20, s20, s6
	s_ashr_i32 s21, s20, 31
	v_cmp_ge_i64_e32 vcc, s[20:21], v[0:1]
	s_cbranch_vccnz .LBB118_6
.LBB118_4:                              ; =>This Inner Loop Header: Depth=1
	v_add_u32_e32 v7, s20, v6
	v_cmp_gt_i32_e32 vcc, v2, v7
	s_and_b64 s[24:25], s[0:1], vcc
	s_and_saveexec_b64 s[2:3], s[24:25]
	s_cbranch_execz .LBB118_3
; %bb.5:                                ;   in Loop: Header=BB118_4 Depth=1
	v_ashrrev_i32_e32 v8, 31, v7
	v_mul_lo_u32 v10, v7, s23
	v_mul_lo_u32 v11, v8, s22
	v_mad_u64_u32 v[8:9], s[24:25], v7, s22, 0
	v_add3_u32 v9, v9, v10, v11
	v_lshlrev_b64 v[8:9], 3, v[8:9]
	v_add_co_u32_e32 v8, vcc, v3, v8
	v_addc_co_u32_e32 v9, vcc, v5, v9, vcc
	global_load_dwordx2 v[8:9], v[8:9], off
	s_load_dword s9, s[10:11], 0xc
	s_waitcnt lgkmcnt(0)
	s_and_b32 s9, s9, 0xffff
	v_mul_lo_u32 v7, v7, s9
	v_lshl_add_u32 v7, v7, 3, v4
	s_waitcnt vmcnt(0)
	ds_write_b64 v7, v[8:9]
	s_branch .LBB118_3
.LBB118_6:
	s_load_dword s2, s[10:11], 0xc
	s_mov_b64 s[0:1], src_shared_base
	s_mov_b32 s19, s1
	s_mov_b32 s23, 0
	s_waitcnt lgkmcnt(0)
	s_and_b32 s22, s2, 0xffff
	s_mov_b64 s[2:3], s[18:19]
.LBB118_7:
	s_mul_i32 s7, s7, s6
	v_add_u32_e32 v0, s7, v6
	v_mov_b32_e32 v1, 0
	v_cmp_gt_i64_e32 vcc, s[14:15], v[0:1]
	s_and_saveexec_b64 s[0:1], vcc
	s_cbranch_execz .LBB118_17
; %bb.8:
	v_mov_b32_e32 v3, v1
	v_cmp_gt_i64_e32 vcc, s[12:13], v[2:3]
	s_and_b64 exec, exec, vcc
	s_cbranch_execz .LBB118_17
; %bb.9:
	s_load_dwordx2 s[0:1], s[4:5], 0x58
	s_load_dwordx4 s[28:31], s[4:5], 0x48
	v_lshlrev_b64 v[0:1], 3, v[0:1]
	s_waitcnt lgkmcnt(0)
	s_mul_i32 s1, s8, s1
	s_mul_hi_u32 s4, s8, s0
	s_mul_i32 s0, s8, s0
	s_add_i32 s1, s4, s1
	s_lshl_b64 s[0:1], s[0:1], 3
	s_add_u32 s4, s26, s0
	s_addc_u32 s5, s27, s1
	s_lshl_b64 s[0:1], s[28:29], 3
	s_add_u32 s4, s4, s0
	s_addc_u32 s5, s5, s1
	v_mad_u64_u32 v[4:5], s[0:1], v2, s30, 0
	v_mov_b32_e32 v8, v5
	v_mad_u64_u32 v[8:9], s[0:1], v2, s31, v[8:9]
	v_mov_b32_e32 v5, v8
	v_lshlrev_b64 v[4:5], 3, v[4:5]
	v_mov_b32_e32 v7, s5
	v_add_co_u32_e32 v4, vcc, s4, v4
	v_addc_co_u32_e32 v5, vcc, v7, v5, vcc
	v_add_co_u32_e32 v0, vcc, v4, v0
	v_addc_co_u32_e32 v1, vcc, v5, v1, vcc
	global_load_dwordx2 v[4:5], v[0:1], off
	v_cmp_lt_u64_e64 s[0:1], s[12:13], 2
	s_and_b64 vcc, exec, s[0:1]
	s_waitcnt vmcnt(0)
	v_mul_f64 v[4:5], v[4:5], s[16:17]
	s_cbranch_vccnz .LBB118_16
; %bb.10:
	v_lshl_add_u32 v8, v6, 3, 0
	s_add_u32 s0, s12, -1
	v_lshlrev_b32_e32 v6, 3, v2
	s_addc_u32 s1, s13, -1
	v_mov_b32_e32 v7, s3
	v_add_co_u32_e32 v6, vcc, s2, v6
	s_lshl_b64 s[2:3], s[22:23], 3
	v_addc_co_u32_e32 v7, vcc, 0, v7, vcc
	s_mov_b64 s[4:5], 0
	v_mov_b32_e32 v9, s3
	s_branch .LBB118_12
.LBB118_11:                             ;   in Loop: Header=BB118_12 Depth=1
	s_or_b64 exec, exec, s[6:7]
	s_add_u32 s4, s4, 1
	s_addc_u32 s5, s5, 0
	v_add_co_u32_e32 v6, vcc, s2, v6
	s_cmp_eq_u64 s[0:1], s[4:5]
	v_addc_co_u32_e32 v7, vcc, v7, v9, vcc
	s_cbranch_scc1 .LBB118_16
.LBB118_12:                             ; =>This Inner Loop Header: Depth=1
	v_cmp_eq_u64_e32 vcc, s[4:5], v[2:3]
	s_barrier
	s_and_saveexec_b64 s[6:7], vcc
	s_cbranch_execz .LBB118_14
; %bb.13:                               ;   in Loop: Header=BB118_12 Depth=1
	ds_write_b64 v8, v[4:5]
.LBB118_14:                             ;   in Loop: Header=BB118_12 Depth=1
	s_or_b64 exec, exec, s[6:7]
	v_cmp_lt_u64_e32 vcc, s[4:5], v[2:3]
	s_waitcnt lgkmcnt(0)
	s_barrier
	s_and_saveexec_b64 s[6:7], vcc
	s_cbranch_execz .LBB118_11
; %bb.15:                               ;   in Loop: Header=BB118_12 Depth=1
	flat_load_dwordx2 v[10:11], v[6:7]
	ds_read_b64 v[12:13], v8
	s_waitcnt vmcnt(0) lgkmcnt(0)
	v_fma_f64 v[4:5], -v[10:11], v[12:13], v[4:5]
	s_branch .LBB118_11
.LBB118_16:
	global_store_dwordx2 v[0:1], v[4:5], off
.LBB118_17:
	s_endpgm
	.section	.rodata,"a",@progbits
	.p2align	6, 0x0
	.amdhsa_kernel _ZL39rocblas_trsm_block_forward_substitutionIddPKdPdLb0ELb1ELb1EEv18rocblas_operation_llT0_T1_lllT2_lllib
		.amdhsa_group_segment_fixed_size 0
		.amdhsa_private_segment_fixed_size 0
		.amdhsa_kernarg_size 360
		.amdhsa_user_sgpr_count 6
		.amdhsa_user_sgpr_private_segment_buffer 1
		.amdhsa_user_sgpr_dispatch_ptr 0
		.amdhsa_user_sgpr_queue_ptr 0
		.amdhsa_user_sgpr_kernarg_segment_ptr 1
		.amdhsa_user_sgpr_dispatch_id 0
		.amdhsa_user_sgpr_flat_scratch_init 0
		.amdhsa_user_sgpr_kernarg_preload_length 0
		.amdhsa_user_sgpr_kernarg_preload_offset 0
		.amdhsa_user_sgpr_private_segment_size 0
		.amdhsa_uses_dynamic_stack 0
		.amdhsa_system_sgpr_private_segment_wavefront_offset 0
		.amdhsa_system_sgpr_workgroup_id_x 1
		.amdhsa_system_sgpr_workgroup_id_y 1
		.amdhsa_system_sgpr_workgroup_id_z 1
		.amdhsa_system_sgpr_workgroup_info 0
		.amdhsa_system_vgpr_workitem_id 1
		.amdhsa_next_free_vgpr 14
		.amdhsa_next_free_sgpr 32
		.amdhsa_accum_offset 16
		.amdhsa_reserve_vcc 1
		.amdhsa_reserve_flat_scratch 0
		.amdhsa_float_round_mode_32 0
		.amdhsa_float_round_mode_16_64 0
		.amdhsa_float_denorm_mode_32 3
		.amdhsa_float_denorm_mode_16_64 3
		.amdhsa_dx10_clamp 1
		.amdhsa_ieee_mode 1
		.amdhsa_fp16_overflow 0
		.amdhsa_tg_split 0
		.amdhsa_exception_fp_ieee_invalid_op 0
		.amdhsa_exception_fp_denorm_src 0
		.amdhsa_exception_fp_ieee_div_zero 0
		.amdhsa_exception_fp_ieee_overflow 0
		.amdhsa_exception_fp_ieee_underflow 0
		.amdhsa_exception_fp_ieee_inexact 0
		.amdhsa_exception_int_div_zero 0
	.end_amdhsa_kernel
	.section	.text._ZL39rocblas_trsm_block_forward_substitutionIddPKdPdLb0ELb1ELb1EEv18rocblas_operation_llT0_T1_lllT2_lllib,"axG",@progbits,_ZL39rocblas_trsm_block_forward_substitutionIddPKdPdLb0ELb1ELb1EEv18rocblas_operation_llT0_T1_lllT2_lllib,comdat
.Lfunc_end118:
	.size	_ZL39rocblas_trsm_block_forward_substitutionIddPKdPdLb0ELb1ELb1EEv18rocblas_operation_llT0_T1_lllT2_lllib, .Lfunc_end118-_ZL39rocblas_trsm_block_forward_substitutionIddPKdPdLb0ELb1ELb1EEv18rocblas_operation_llT0_T1_lllT2_lllib
                                        ; -- End function
	.section	.AMDGPU.csdata,"",@progbits
; Kernel info:
; codeLenInByte = 736
; NumSgprs: 36
; NumVgprs: 14
; NumAgprs: 0
; TotalNumVgprs: 14
; ScratchSize: 0
; MemoryBound: 0
; FloatMode: 240
; IeeeMode: 1
; LDSByteSize: 0 bytes/workgroup (compile time only)
; SGPRBlocks: 4
; VGPRBlocks: 1
; NumSGPRsForWavesPerEU: 36
; NumVGPRsForWavesPerEU: 14
; AccumOffset: 16
; Occupancy: 8
; WaveLimiterHint : 1
; COMPUTE_PGM_RSRC2:SCRATCH_EN: 0
; COMPUTE_PGM_RSRC2:USER_SGPR: 6
; COMPUTE_PGM_RSRC2:TRAP_HANDLER: 0
; COMPUTE_PGM_RSRC2:TGID_X_EN: 1
; COMPUTE_PGM_RSRC2:TGID_Y_EN: 1
; COMPUTE_PGM_RSRC2:TGID_Z_EN: 1
; COMPUTE_PGM_RSRC2:TIDIG_COMP_CNT: 1
; COMPUTE_PGM_RSRC3_GFX90A:ACCUM_OFFSET: 3
; COMPUTE_PGM_RSRC3_GFX90A:TG_SPLIT: 0
	.section	.text._ZL40rocblas_trsm_block_backward_substitutionIddPKdPdLb0ELb1ELb1EEv18rocblas_operation_llT0_T1_lllT2_lllib,"axG",@progbits,_ZL40rocblas_trsm_block_backward_substitutionIddPKdPdLb0ELb1ELb1EEv18rocblas_operation_llT0_T1_lllT2_lllib,comdat
	.globl	_ZL40rocblas_trsm_block_backward_substitutionIddPKdPdLb0ELb1ELb1EEv18rocblas_operation_llT0_T1_lllT2_lllib ; -- Begin function _ZL40rocblas_trsm_block_backward_substitutionIddPKdPdLb0ELb1ELb1EEv18rocblas_operation_llT0_T1_lllT2_lllib
	.p2align	8
	.type	_ZL40rocblas_trsm_block_backward_substitutionIddPKdPdLb0ELb1ELb1EEv18rocblas_operation_llT0_T1_lllT2_lllib,@function
_ZL40rocblas_trsm_block_backward_substitutionIddPKdPdLb0ELb1ELb1EEv18rocblas_operation_llT0_T1_lllT2_lllib: ; @_ZL40rocblas_trsm_block_backward_substitutionIddPKdPdLb0ELb1ELb1EEv18rocblas_operation_llT0_T1_lllT2_lllib
; %bb.0:
	s_load_dwordx16 s[12:27], s[4:5], 0x8
	v_and_b32_e32 v2, 0x3ff, v0
	v_bfe_u32 v6, v0, 10, 10
	s_waitcnt lgkmcnt(0)
	s_mul_i32 s0, s8, s25
	s_mul_hi_u32 s1, s8, s24
	s_add_i32 s1, s1, s0
	s_mul_i32 s0, s8, s24
	s_lshl_b64 s[0:1], s[0:1], 3
	s_add_u32 s2, s18, s0
	s_addc_u32 s3, s19, s1
	s_lshl_b64 s[0:1], s[20:21], 3
	s_add_u32 s2, s2, s0
	s_addc_u32 s3, s3, s1
	s_load_dword s0, s[4:5], 0x64
	s_load_dword s1, s[4:5], 0x74
	s_add_u32 s18, s4, 0x68
	s_addc_u32 s19, s5, 0
	s_waitcnt lgkmcnt(0)
	s_lshr_b32 s6, s1, 16
	s_bitcmp0_b32 s0, 0
	s_mov_b64 s[0:1], 1
	s_cbranch_scc1 .LBB119_6
; %bb.1:
	s_lshl_b32 s0, s6, 3
	s_add_i32 s20, s0, 0
	v_cmp_lt_i64_e64 s[0:1], s[12:13], 1
	s_mov_b64 s[10:11], 1
	s_and_b64 vcc, exec, s[0:1]
	s_cbranch_vccnz .LBB119_7
; %bb.2:
	v_mad_u64_u32 v[0:1], s[24:25], v2, s22, 0
	v_mov_b32_e32 v4, v1
	v_mad_u64_u32 v[4:5], s[22:23], v2, s23, v[4:5]
	v_mov_b32_e32 v1, v4
	v_mov_b32_e32 v3, 0
	v_lshlrev_b64 v[0:1], 3, v[0:1]
	v_cmp_gt_u64_e64 s[0:1], s[12:13], v[2:3]
	v_mov_b32_e32 v4, s3
	v_add_co_u32_e32 v3, vcc, s2, v0
	v_lshl_add_u32 v7, v2, 3, s20
	v_addc_co_u32_e32 v8, vcc, v4, v1, vcc
	s_mov_b32 s22, 0
	v_pk_mov_b32 v[0:1], s[12:13], s[12:13] op_sel:[0,1]
	s_branch .LBB119_4
.LBB119_3:                              ;   in Loop: Header=BB119_4 Depth=1
	s_or_b64 exec, exec, s[2:3]
	s_add_i32 s22, s22, s6
	s_ashr_i32 s23, s22, 31
	v_cmp_ge_i64_e32 vcc, s[22:23], v[0:1]
	s_cbranch_vccnz .LBB119_7
.LBB119_4:                              ; =>This Inner Loop Header: Depth=1
	v_add_u32_e32 v4, s22, v6
	v_ashrrev_i32_e32 v5, 31, v4
	v_cmp_gt_i64_e32 vcc, s[12:13], v[4:5]
	v_cmp_lt_i32_e64 s[2:3], v2, v4
	s_and_b64 s[2:3], s[2:3], vcc
	s_and_b64 s[24:25], s[0:1], s[2:3]
	s_and_saveexec_b64 s[2:3], s[24:25]
	s_cbranch_execz .LBB119_3
; %bb.5:                                ;   in Loop: Header=BB119_4 Depth=1
	v_lshlrev_b64 v[10:11], 3, v[4:5]
	v_add_co_u32_e32 v10, vcc, v3, v10
	v_addc_co_u32_e32 v11, vcc, v8, v11, vcc
	global_load_dwordx2 v[10:11], v[10:11], off
	s_load_dword s9, s[18:19], 0xc
	s_waitcnt lgkmcnt(0)
	s_and_b32 s9, s9, 0xffff
	v_mul_lo_u32 v4, v4, s9
	v_lshl_add_u32 v4, v4, 3, v7
	s_waitcnt vmcnt(0)
	ds_write_b64 v4, v[10:11]
	s_branch .LBB119_3
.LBB119_6:
	s_mov_b32 s10, s22
	s_mov_b32 s11, s23
	s_branch .LBB119_8
.LBB119_7:
	s_load_dword s2, s[18:19], 0xc
	s_mov_b64 s[0:1], src_shared_base
	s_mov_b32 s21, s1
	s_waitcnt lgkmcnt(0)
	s_and_b32 s0, s2, 0xffff
	s_mov_b64 s[2:3], s[20:21]
.LBB119_8:
	s_mul_i32 s7, s7, s6
	v_add_u32_e32 v0, s7, v6
	v_mov_b32_e32 v1, 0
	v_cmp_gt_i64_e32 vcc, s[14:15], v[0:1]
	s_and_saveexec_b64 s[6:7], vcc
	s_cbranch_execz .LBB119_19
; %bb.9:
	v_mov_b32_e32 v3, v1
	v_cmp_gt_i64_e32 vcc, s[12:13], v[2:3]
	s_and_b64 exec, exec, vcc
	s_cbranch_execz .LBB119_19
; %bb.10:
	s_load_dwordx2 s[6:7], s[4:5], 0x58
	s_load_dwordx4 s[20:23], s[4:5], 0x48
	s_waitcnt lgkmcnt(0)
	s_mul_i32 s1, s8, s7
	s_mul_hi_u32 s5, s8, s6
	s_mul_i32 s4, s8, s6
	s_add_i32 s5, s5, s1
	s_lshl_b64 s[4:5], s[4:5], 3
	s_add_u32 s1, s26, s4
	s_addc_u32 s6, s27, s5
	s_lshl_b64 s[4:5], s[20:21], 3
	s_add_u32 s1, s1, s4
	s_addc_u32 s6, s6, s5
	v_mad_u64_u32 v[4:5], s[4:5], v0, s22, 0
	v_mov_b32_e32 v8, v5
	v_mad_u64_u32 v[0:1], s[4:5], v0, s23, v[8:9]
	v_mov_b32_e32 v5, v0
	v_lshlrev_b64 v[0:1], 3, v[4:5]
	v_mov_b32_e32 v4, s6
	v_add_co_u32_e32 v0, vcc, s1, v0
	v_addc_co_u32_e32 v1, vcc, v4, v1, vcc
	v_lshlrev_b32_e32 v4, 3, v2
	v_add_co_u32_e32 v0, vcc, v0, v4
	v_addc_co_u32_e32 v1, vcc, 0, v1, vcc
	global_load_dwordx2 v[4:5], v[0:1], off
	v_cmp_lt_u64_e64 s[4:5], s[12:13], 2
	s_and_b64 vcc, exec, s[4:5]
	s_waitcnt vmcnt(0)
	v_mul_f64 v[4:5], v[4:5], s[16:17]
	s_cbranch_vccnz .LBB119_18
; %bb.11:
	v_lshl_add_u32 v8, v6, 3, 0
	v_mad_u64_u32 v[6:7], s[4:5], s10, v2, 0
	v_mov_b32_e32 v10, v7
	v_mad_u64_u32 v[10:11], s[4:5], s11, v2, v[10:11]
	s_add_u32 s4, s12, -1
	s_addc_u32 s5, s13, -1
	s_mul_i32 s1, s0, s5
	s_mul_hi_u32 s6, s0, s4
	s_add_i32 s7, s6, s1
	s_mul_i32 s6, s0, s4
	s_lshl_b64 s[6:7], s[6:7], 3
	s_add_u32 s1, s2, s6
	v_mov_b32_e32 v7, v10
	s_addc_u32 s2, s3, s7
	s_lshl_b32 s0, s0, 3
	v_lshlrev_b64 v[6:7], 3, v[6:7]
	v_mov_b32_e32 v9, s2
	s_sub_u32 s2, 0, s0
	v_add_co_u32_e32 v6, vcc, s1, v6
	s_subb_u32 s0, 0, 0
	v_addc_co_u32_e32 v7, vcc, v9, v7, vcc
	v_mov_b32_e32 v9, s0
.LBB119_12:                             ; =>This Inner Loop Header: Depth=1
	v_cmp_eq_u64_e32 vcc, s[4:5], v[2:3]
	s_barrier
	s_and_saveexec_b64 s[0:1], vcc
	s_cbranch_execz .LBB119_14
; %bb.13:                               ;   in Loop: Header=BB119_12 Depth=1
	ds_write_b64 v8, v[4:5]
.LBB119_14:                             ;   in Loop: Header=BB119_12 Depth=1
	s_or_b64 exec, exec, s[0:1]
	v_cmp_gt_i64_e32 vcc, s[4:5], v[2:3]
	s_waitcnt lgkmcnt(0)
	s_barrier
	s_and_saveexec_b64 s[0:1], vcc
	s_cbranch_execz .LBB119_16
; %bb.15:                               ;   in Loop: Header=BB119_12 Depth=1
	flat_load_dwordx2 v[10:11], v[6:7]
	ds_read_b64 v[12:13], v8
	s_waitcnt vmcnt(0) lgkmcnt(0)
	v_fma_f64 v[4:5], -v[10:11], v[12:13], v[4:5]
.LBB119_16:                             ;   in Loop: Header=BB119_12 Depth=1
	s_or_b64 exec, exec, s[0:1]
	s_add_u32 s0, s4, -1
	s_addc_u32 s1, s5, -1
	s_add_u32 s4, s4, 1
	s_addc_u32 s5, s5, 0
	v_add_co_u32_e32 v6, vcc, s2, v6
	v_addc_co_u32_e32 v7, vcc, v7, v9, vcc
	v_cmp_lt_u64_e64 s[4:5], s[4:5], 3
	s_and_b64 vcc, exec, s[4:5]
	s_cbranch_vccnz .LBB119_18
; %bb.17:                               ;   in Loop: Header=BB119_12 Depth=1
	s_mov_b64 s[4:5], s[0:1]
	s_branch .LBB119_12
.LBB119_18:
	global_store_dwordx2 v[0:1], v[4:5], off
.LBB119_19:
	s_endpgm
	.section	.rodata,"a",@progbits
	.p2align	6, 0x0
	.amdhsa_kernel _ZL40rocblas_trsm_block_backward_substitutionIddPKdPdLb0ELb1ELb1EEv18rocblas_operation_llT0_T1_lllT2_lllib
		.amdhsa_group_segment_fixed_size 0
		.amdhsa_private_segment_fixed_size 0
		.amdhsa_kernarg_size 360
		.amdhsa_user_sgpr_count 6
		.amdhsa_user_sgpr_private_segment_buffer 1
		.amdhsa_user_sgpr_dispatch_ptr 0
		.amdhsa_user_sgpr_queue_ptr 0
		.amdhsa_user_sgpr_kernarg_segment_ptr 1
		.amdhsa_user_sgpr_dispatch_id 0
		.amdhsa_user_sgpr_flat_scratch_init 0
		.amdhsa_user_sgpr_kernarg_preload_length 0
		.amdhsa_user_sgpr_kernarg_preload_offset 0
		.amdhsa_user_sgpr_private_segment_size 0
		.amdhsa_uses_dynamic_stack 0
		.amdhsa_system_sgpr_private_segment_wavefront_offset 0
		.amdhsa_system_sgpr_workgroup_id_x 1
		.amdhsa_system_sgpr_workgroup_id_y 1
		.amdhsa_system_sgpr_workgroup_id_z 1
		.amdhsa_system_sgpr_workgroup_info 0
		.amdhsa_system_vgpr_workitem_id 1
		.amdhsa_next_free_vgpr 14
		.amdhsa_next_free_sgpr 28
		.amdhsa_accum_offset 16
		.amdhsa_reserve_vcc 1
		.amdhsa_reserve_flat_scratch 0
		.amdhsa_float_round_mode_32 0
		.amdhsa_float_round_mode_16_64 0
		.amdhsa_float_denorm_mode_32 3
		.amdhsa_float_denorm_mode_16_64 3
		.amdhsa_dx10_clamp 1
		.amdhsa_ieee_mode 1
		.amdhsa_fp16_overflow 0
		.amdhsa_tg_split 0
		.amdhsa_exception_fp_ieee_invalid_op 0
		.amdhsa_exception_fp_denorm_src 0
		.amdhsa_exception_fp_ieee_div_zero 0
		.amdhsa_exception_fp_ieee_overflow 0
		.amdhsa_exception_fp_ieee_underflow 0
		.amdhsa_exception_fp_ieee_inexact 0
		.amdhsa_exception_int_div_zero 0
	.end_amdhsa_kernel
	.section	.text._ZL40rocblas_trsm_block_backward_substitutionIddPKdPdLb0ELb1ELb1EEv18rocblas_operation_llT0_T1_lllT2_lllib,"axG",@progbits,_ZL40rocblas_trsm_block_backward_substitutionIddPKdPdLb0ELb1ELb1EEv18rocblas_operation_llT0_T1_lllT2_lllib,comdat
.Lfunc_end119:
	.size	_ZL40rocblas_trsm_block_backward_substitutionIddPKdPdLb0ELb1ELb1EEv18rocblas_operation_llT0_T1_lllT2_lllib, .Lfunc_end119-_ZL40rocblas_trsm_block_backward_substitutionIddPKdPdLb0ELb1ELb1EEv18rocblas_operation_llT0_T1_lllT2_lllib
                                        ; -- End function
	.section	.AMDGPU.csdata,"",@progbits
; Kernel info:
; codeLenInByte = 836
; NumSgprs: 32
; NumVgprs: 14
; NumAgprs: 0
; TotalNumVgprs: 14
; ScratchSize: 0
; MemoryBound: 0
; FloatMode: 240
; IeeeMode: 1
; LDSByteSize: 0 bytes/workgroup (compile time only)
; SGPRBlocks: 3
; VGPRBlocks: 1
; NumSGPRsForWavesPerEU: 32
; NumVGPRsForWavesPerEU: 14
; AccumOffset: 16
; Occupancy: 8
; WaveLimiterHint : 1
; COMPUTE_PGM_RSRC2:SCRATCH_EN: 0
; COMPUTE_PGM_RSRC2:USER_SGPR: 6
; COMPUTE_PGM_RSRC2:TRAP_HANDLER: 0
; COMPUTE_PGM_RSRC2:TGID_X_EN: 1
; COMPUTE_PGM_RSRC2:TGID_Y_EN: 1
; COMPUTE_PGM_RSRC2:TGID_Z_EN: 1
; COMPUTE_PGM_RSRC2:TIDIG_COMP_CNT: 1
; COMPUTE_PGM_RSRC3_GFX90A:ACCUM_OFFSET: 3
; COMPUTE_PGM_RSRC3_GFX90A:TG_SPLIT: 0
	.section	.text._ZL39rocblas_trsm_block_forward_substitutionIddPKdPdLb1ELb1ELb0EEv18rocblas_operation_llT0_T1_lllT2_lllib,"axG",@progbits,_ZL39rocblas_trsm_block_forward_substitutionIddPKdPdLb1ELb1ELb0EEv18rocblas_operation_llT0_T1_lllT2_lllib,comdat
	.globl	_ZL39rocblas_trsm_block_forward_substitutionIddPKdPdLb1ELb1ELb0EEv18rocblas_operation_llT0_T1_lllT2_lllib ; -- Begin function _ZL39rocblas_trsm_block_forward_substitutionIddPKdPdLb1ELb1ELb0EEv18rocblas_operation_llT0_T1_lllT2_lllib
	.p2align	8
	.type	_ZL39rocblas_trsm_block_forward_substitutionIddPKdPdLb1ELb1ELb0EEv18rocblas_operation_llT0_T1_lllT2_lllib,@function
_ZL39rocblas_trsm_block_forward_substitutionIddPKdPdLb1ELb1ELb0EEv18rocblas_operation_llT0_T1_lllT2_lllib: ; @_ZL39rocblas_trsm_block_forward_substitutionIddPKdPdLb1ELb1ELb0EEv18rocblas_operation_llT0_T1_lllT2_lllib
; %bb.0:
	s_load_dwordx16 s[12:27], s[4:5], 0x8
	s_load_dword s9, s[4:5], 0x64
	s_load_dword s6, s[4:5], 0x74
	v_and_b32_e32 v2, 0x3ff, v0
	v_bfe_u32 v10, v0, 10, 10
	s_waitcnt lgkmcnt(0)
	s_mul_i32 s2, s8, s25
	s_bitcmp1_b32 s9, 0
	s_mul_hi_u32 s3, s8, s24
	s_cselect_b64 s[0:1], -1, 0
	s_add_i32 s3, s3, s2
	s_mul_i32 s2, s8, s24
	s_lshl_b64 s[2:3], s[2:3], 3
	s_add_u32 s18, s18, s2
	s_addc_u32 s19, s19, s3
	s_lshl_b64 s[2:3], s[20:21], 3
	s_add_u32 s2, s18, s2
	s_addc_u32 s3, s19, s3
	s_add_u32 s20, s4, 0x68
	s_addc_u32 s21, s5, 0
	s_lshr_b32 s6, s6, 16
	s_bitcmp0_b32 s9, 0
	s_mov_b64 s[18:19], 1
	s_cbranch_scc1 .LBB120_12
; %bb.1:
	s_lshl_b32 s9, s6, 3
	v_cmp_lt_i64_e64 s[18:19], s[12:13], 1
	s_add_i32 s24, s9, 0
	s_mov_b64 s[10:11], 1
	s_and_b64 vcc, exec, s[18:19]
	s_cbranch_vccnz .LBB120_13
; %bb.2:
	v_mad_u64_u32 v[0:1], s[18:19], v2, s22, 0
	v_mov_b32_e32 v4, v1
	v_mad_u64_u32 v[4:5], s[18:19], v2, s23, v[4:5]
	v_mov_b32_e32 v1, v4
	v_mov_b32_e32 v3, 0
	v_lshlrev_b64 v[0:1], 3, v[0:1]
	v_cmp_le_u64_e32 vcc, s[12:13], v[2:3]
	v_mov_b32_e32 v4, s3
	v_add_co_u32_e64 v3, s[2:3], s2, v0
	v_lshlrev_b32_e32 v6, 3, v2
	v_addc_co_u32_e64 v12, s[2:3], v4, v1, s[2:3]
	v_add_co_u32_e64 v0, s[2:3], v3, v6
	v_addc_co_u32_e64 v1, s[2:3], 0, v12, s[2:3]
	v_add_u32_e32 v11, s24, v6
	s_xor_b64 s[2:3], vcc, -1
	v_pk_mov_b32 v[4:5], s[12:13], s[12:13] op_sel:[0,1]
	s_mov_b32 s18, s6
	v_mov_b32_e32 v6, v10
	s_branch .LBB120_4
.LBB120_3:                              ;   in Loop: Header=BB120_4 Depth=1
	s_or_b64 exec, exec, s[28:29]
	s_ashr_i32 s19, s18, 31
	v_cmp_ge_i64_e32 vcc, s[18:19], v[4:5]
	v_add_u32_e32 v6, s6, v6
	s_add_i32 s18, s18, s6
	s_cbranch_vccnz .LBB120_13
.LBB120_4:                              ; =>This Inner Loop Header: Depth=1
	v_cmp_gt_i32_e32 vcc, v2, v6
	s_and_b64 s[28:29], s[2:3], vcc
	s_mov_b64 s[22:23], 0
                                        ; implicit-def: $vgpr8_vgpr9
	s_and_saveexec_b64 s[30:31], s[28:29]
	s_xor_b64 s[28:29], exec, s[30:31]
	s_cbranch_execnz .LBB120_7
; %bb.5:                                ;   in Loop: Header=BB120_4 Depth=1
	s_or_saveexec_b64 s[28:29], s[28:29]
	v_mov_b32_e32 v7, v6
	s_xor_b64 exec, exec, s[28:29]
	s_cbranch_execnz .LBB120_8
.LBB120_6:                              ;   in Loop: Header=BB120_4 Depth=1
	s_or_b64 exec, exec, s[28:29]
	s_and_saveexec_b64 s[28:29], s[22:23]
	s_cbranch_execz .LBB120_3
	s_branch .LBB120_11
.LBB120_7:                              ;   in Loop: Header=BB120_4 Depth=1
	v_ashrrev_i32_e32 v7, 31, v6
	s_waitcnt vmcnt(0)
	v_lshlrev_b64 v[8:9], 3, v[6:7]
	v_add_co_u32_e32 v8, vcc, v3, v8
	v_addc_co_u32_e32 v9, vcc, v12, v9, vcc
	global_load_dwordx2 v[8:9], v[8:9], off
	s_mov_b64 s[22:23], exec
	s_or_saveexec_b64 s[28:29], s[28:29]
	v_mov_b32_e32 v7, v6
	s_xor_b64 exec, exec, s[28:29]
	s_cbranch_execz .LBB120_6
.LBB120_8:                              ;   in Loop: Header=BB120_4 Depth=1
	v_cmp_eq_u32_e32 vcc, v2, v6
	s_and_b64 s[36:37], s[2:3], vcc
	s_mov_b64 s[34:35], s[22:23]
                                        ; implicit-def: $vgpr8_vgpr9
	s_and_saveexec_b64 s[30:31], s[36:37]
	s_cbranch_execz .LBB120_10
; %bb.9:                                ;   in Loop: Header=BB120_4 Depth=1
	global_load_dwordx2 v[8:9], v[0:1], off
	s_waitcnt vmcnt(0)
	v_div_scale_f64 v[14:15], s[34:35], v[8:9], v[8:9], 1.0
	v_rcp_f64_e32 v[16:17], v[14:15]
	v_div_scale_f64 v[18:19], vcc, 1.0, v[8:9], 1.0
	s_or_b64 s[34:35], s[22:23], exec
	v_fma_f64 v[20:21], -v[14:15], v[16:17], 1.0
	v_fmac_f64_e32 v[16:17], v[16:17], v[20:21]
	v_fma_f64 v[20:21], -v[14:15], v[16:17], 1.0
	v_fmac_f64_e32 v[16:17], v[16:17], v[20:21]
	v_mul_f64 v[20:21], v[18:19], v[16:17]
	v_fma_f64 v[14:15], -v[14:15], v[20:21], v[18:19]
	v_div_fmas_f64 v[14:15], v[14:15], v[16:17], v[20:21]
	v_div_fixup_f64 v[8:9], v[14:15], v[8:9], 1.0
.LBB120_10:                             ;   in Loop: Header=BB120_4 Depth=1
	s_or_b64 exec, exec, s[30:31]
	s_andn2_b64 s[22:23], s[22:23], exec
	s_and_b64 s[30:31], s[34:35], exec
	s_or_b64 s[22:23], s[22:23], s[30:31]
	v_mov_b32_e32 v7, v2
	s_or_b64 exec, exec, s[28:29]
	s_and_saveexec_b64 s[28:29], s[22:23]
	s_cbranch_execz .LBB120_3
.LBB120_11:                             ;   in Loop: Header=BB120_4 Depth=1
	s_load_dword s9, s[20:21], 0xc
	s_waitcnt lgkmcnt(0)
	s_and_b32 s9, s9, 0xffff
	v_mul_lo_u32 v7, v7, s9
	v_lshl_add_u32 v7, v7, 3, v11
	s_waitcnt vmcnt(0)
	ds_write_b64 v7, v[8:9]
	s_branch .LBB120_3
.LBB120_12:
	s_mov_b32 s10, s22
	s_mov_b32 s11, s23
	s_branch .LBB120_14
.LBB120_13:
	s_load_dword s9, s[20:21], 0xc
	s_mov_b64 s[2:3], src_shared_base
	s_mov_b32 s25, s3
	s_mov_b32 s19, 0
	s_mov_b64 s[2:3], s[24:25]
	s_waitcnt lgkmcnt(0)
	s_and_b32 s18, s9, 0xffff
.LBB120_14:
	s_mul_i32 s7, s7, s6
	v_add_u32_e32 v0, s7, v10
	v_mov_b32_e32 v1, 0
	v_cmp_gt_i64_e32 vcc, s[14:15], v[0:1]
	s_and_saveexec_b64 s[6:7], vcc
	s_cbranch_execz .LBB120_26
; %bb.15:
	v_mov_b32_e32 v3, v1
	v_cmp_gt_i64_e32 vcc, s[12:13], v[2:3]
	s_and_b64 exec, exec, vcc
	s_cbranch_execz .LBB120_26
; %bb.16:
	s_load_dwordx2 s[6:7], s[4:5], 0x58
	s_load_dwordx4 s[20:23], s[4:5], 0x48
	v_lshlrev_b64 v[0:1], 3, v[0:1]
	s_waitcnt lgkmcnt(0)
	s_mul_i32 s5, s8, s7
	s_mul_hi_u32 s7, s8, s6
	s_mul_i32 s4, s8, s6
	s_add_i32 s5, s7, s5
	s_lshl_b64 s[4:5], s[4:5], 3
	s_add_u32 s6, s26, s4
	s_addc_u32 s7, s27, s5
	s_lshl_b64 s[4:5], s[20:21], 3
	s_add_u32 s6, s6, s4
	s_addc_u32 s7, s7, s5
	v_mad_u64_u32 v[4:5], s[4:5], v2, s22, 0
	v_mov_b32_e32 v6, v5
	v_mad_u64_u32 v[6:7], s[4:5], v2, s23, v[6:7]
	v_mov_b32_e32 v5, v6
	v_lshlrev_b64 v[4:5], 3, v[4:5]
	v_mov_b32_e32 v6, s7
	v_add_co_u32_e32 v4, vcc, s6, v4
	v_addc_co_u32_e32 v5, vcc, v6, v5, vcc
	v_add_co_u32_e32 v0, vcc, v4, v0
	v_addc_co_u32_e32 v1, vcc, v5, v1, vcc
	global_load_dwordx2 v[4:5], v[0:1], off
	v_cmp_lt_u64_e64 s[6:7], s[12:13], 2
	s_add_u32 s4, s12, -1
	s_addc_u32 s5, s13, -1
	s_and_b64 vcc, exec, s[6:7]
	s_waitcnt vmcnt(0)
	v_mul_f64 v[4:5], v[4:5], s[16:17]
	s_cbranch_vccnz .LBB120_23
; %bb.17:
	s_add_u32 s6, s18, s10
	v_mad_u64_u32 v[6:7], s[6:7], s6, v2, 0
	s_addc_u32 s8, s19, s11
	v_mov_b32_e32 v8, v7
	v_mad_u64_u32 v[8:9], s[6:7], s8, v2, v[8:9]
	v_mov_b32_e32 v7, v8
	v_mad_u64_u32 v[8:9], s[6:7], s10, v2, 0
	v_mov_b32_e32 v12, v9
	v_lshlrev_b64 v[6:7], 3, v[6:7]
	v_mad_u64_u32 v[12:13], s[6:7], s11, v2, v[12:13]
	v_mov_b32_e32 v11, s3
	v_add_co_u32_e32 v6, vcc, s2, v6
	v_mov_b32_e32 v9, v12
	v_addc_co_u32_e32 v7, vcc, v11, v7, vcc
	v_lshlrev_b64 v[8:9], 3, v[8:9]
	v_add_co_u32_e32 v8, vcc, s2, v8
	s_mov_b32 s12, 0
	v_lshl_add_u32 v10, v10, 3, 0
	v_addc_co_u32_e32 v9, vcc, v11, v9, vcc
	s_lshl_b32 s13, s18, 3
	s_mov_b64 s[6:7], 0
	s_branch .LBB120_19
.LBB120_18:                             ;   in Loop: Header=BB120_19 Depth=1
	s_or_b64 exec, exec, s[8:9]
	s_add_u32 s6, s6, 1
	s_addc_u32 s7, s7, 0
	v_mov_b32_e32 v11, s12
	v_add_co_u32_e32 v8, vcc, s13, v8
	s_cmp_eq_u64 s[4:5], s[6:7]
	v_addc_co_u32_e32 v9, vcc, v9, v11, vcc
	s_cbranch_scc1 .LBB120_23
.LBB120_19:                             ; =>This Inner Loop Header: Depth=1
	v_cmp_eq_u64_e32 vcc, s[6:7], v[2:3]
	s_barrier
	s_and_saveexec_b64 s[8:9], vcc
	s_cbranch_execz .LBB120_21
; %bb.20:                               ;   in Loop: Header=BB120_19 Depth=1
	flat_load_dwordx2 v[12:13], v[6:7]
	s_waitcnt vmcnt(0) lgkmcnt(0)
	v_div_scale_f64 v[14:15], s[14:15], v[12:13], v[12:13], 1.0
	v_rcp_f64_e32 v[16:17], v[14:15]
	v_div_scale_f64 v[18:19], vcc, 1.0, v[12:13], 1.0
	v_fma_f64 v[20:21], -v[14:15], v[16:17], 1.0
	v_fmac_f64_e32 v[16:17], v[16:17], v[20:21]
	v_fma_f64 v[20:21], -v[14:15], v[16:17], 1.0
	v_fmac_f64_e32 v[16:17], v[16:17], v[20:21]
	v_mul_f64 v[20:21], v[18:19], v[16:17]
	v_fma_f64 v[14:15], -v[14:15], v[20:21], v[18:19]
	v_div_fmas_f64 v[14:15], v[14:15], v[16:17], v[20:21]
	v_div_fixup_f64 v[14:15], v[14:15], v[12:13], 1.0
	v_cndmask_b32_e64 v13, v15, v13, s[0:1]
	v_cndmask_b32_e64 v12, v14, v12, s[0:1]
	v_mul_f64 v[4:5], v[4:5], v[12:13]
	ds_write_b64 v10, v[4:5]
.LBB120_21:                             ;   in Loop: Header=BB120_19 Depth=1
	s_or_b64 exec, exec, s[8:9]
	v_cmp_lt_u64_e32 vcc, s[6:7], v[2:3]
	s_waitcnt lgkmcnt(0)
	s_barrier
	s_and_saveexec_b64 s[8:9], vcc
	s_cbranch_execz .LBB120_18
; %bb.22:                               ;   in Loop: Header=BB120_19 Depth=1
	flat_load_dwordx2 v[12:13], v[8:9]
	ds_read_b64 v[14:15], v10
	s_waitcnt vmcnt(0) lgkmcnt(0)
	v_fma_f64 v[4:5], -v[12:13], v[14:15], v[4:5]
	s_branch .LBB120_18
.LBB120_23:
	v_cmp_eq_u64_e32 vcc, s[4:5], v[2:3]
	s_and_saveexec_b64 s[4:5], vcc
	s_cbranch_execz .LBB120_25
; %bb.24:
	s_add_u32 s6, s18, s10
	v_mad_u64_u32 v[6:7], s[6:7], s6, v2, 0
	s_addc_u32 s8, s19, s11
	v_mov_b32_e32 v8, v7
	v_mad_u64_u32 v[2:3], s[6:7], s8, v2, v[8:9]
	v_mov_b32_e32 v7, v2
	v_lshlrev_b64 v[2:3], 3, v[6:7]
	v_mov_b32_e32 v6, s3
	v_add_co_u32_e32 v2, vcc, s2, v2
	v_addc_co_u32_e32 v3, vcc, v6, v3, vcc
	flat_load_dwordx2 v[2:3], v[2:3]
	s_waitcnt vmcnt(0) lgkmcnt(0)
	v_div_scale_f64 v[6:7], s[2:3], v[2:3], v[2:3], 1.0
	v_rcp_f64_e32 v[8:9], v[6:7]
	v_div_scale_f64 v[10:11], vcc, 1.0, v[2:3], 1.0
	v_fma_f64 v[12:13], -v[6:7], v[8:9], 1.0
	v_fmac_f64_e32 v[8:9], v[8:9], v[12:13]
	v_fma_f64 v[12:13], -v[6:7], v[8:9], 1.0
	v_fmac_f64_e32 v[8:9], v[8:9], v[12:13]
	v_mul_f64 v[12:13], v[10:11], v[8:9]
	v_fma_f64 v[6:7], -v[6:7], v[12:13], v[10:11]
	v_div_fmas_f64 v[6:7], v[6:7], v[8:9], v[12:13]
	v_div_fixup_f64 v[6:7], v[6:7], v[2:3], 1.0
	v_cndmask_b32_e64 v3, v7, v3, s[0:1]
	v_cndmask_b32_e64 v2, v6, v2, s[0:1]
	v_mul_f64 v[4:5], v[4:5], v[2:3]
.LBB120_25:
	s_or_b64 exec, exec, s[4:5]
	global_store_dwordx2 v[0:1], v[4:5], off
.LBB120_26:
	s_endpgm
	.section	.rodata,"a",@progbits
	.p2align	6, 0x0
	.amdhsa_kernel _ZL39rocblas_trsm_block_forward_substitutionIddPKdPdLb1ELb1ELb0EEv18rocblas_operation_llT0_T1_lllT2_lllib
		.amdhsa_group_segment_fixed_size 0
		.amdhsa_private_segment_fixed_size 0
		.amdhsa_kernarg_size 360
		.amdhsa_user_sgpr_count 6
		.amdhsa_user_sgpr_private_segment_buffer 1
		.amdhsa_user_sgpr_dispatch_ptr 0
		.amdhsa_user_sgpr_queue_ptr 0
		.amdhsa_user_sgpr_kernarg_segment_ptr 1
		.amdhsa_user_sgpr_dispatch_id 0
		.amdhsa_user_sgpr_flat_scratch_init 0
		.amdhsa_user_sgpr_kernarg_preload_length 0
		.amdhsa_user_sgpr_kernarg_preload_offset 0
		.amdhsa_user_sgpr_private_segment_size 0
		.amdhsa_uses_dynamic_stack 0
		.amdhsa_system_sgpr_private_segment_wavefront_offset 0
		.amdhsa_system_sgpr_workgroup_id_x 1
		.amdhsa_system_sgpr_workgroup_id_y 1
		.amdhsa_system_sgpr_workgroup_id_z 1
		.amdhsa_system_sgpr_workgroup_info 0
		.amdhsa_system_vgpr_workitem_id 1
		.amdhsa_next_free_vgpr 22
		.amdhsa_next_free_sgpr 38
		.amdhsa_accum_offset 24
		.amdhsa_reserve_vcc 1
		.amdhsa_reserve_flat_scratch 0
		.amdhsa_float_round_mode_32 0
		.amdhsa_float_round_mode_16_64 0
		.amdhsa_float_denorm_mode_32 3
		.amdhsa_float_denorm_mode_16_64 3
		.amdhsa_dx10_clamp 1
		.amdhsa_ieee_mode 1
		.amdhsa_fp16_overflow 0
		.amdhsa_tg_split 0
		.amdhsa_exception_fp_ieee_invalid_op 0
		.amdhsa_exception_fp_denorm_src 0
		.amdhsa_exception_fp_ieee_div_zero 0
		.amdhsa_exception_fp_ieee_overflow 0
		.amdhsa_exception_fp_ieee_underflow 0
		.amdhsa_exception_fp_ieee_inexact 0
		.amdhsa_exception_int_div_zero 0
	.end_amdhsa_kernel
	.section	.text._ZL39rocblas_trsm_block_forward_substitutionIddPKdPdLb1ELb1ELb0EEv18rocblas_operation_llT0_T1_lllT2_lllib,"axG",@progbits,_ZL39rocblas_trsm_block_forward_substitutionIddPKdPdLb1ELb1ELb0EEv18rocblas_operation_llT0_T1_lllT2_lllib,comdat
.Lfunc_end120:
	.size	_ZL39rocblas_trsm_block_forward_substitutionIddPKdPdLb1ELb1ELb0EEv18rocblas_operation_llT0_T1_lllT2_lllib, .Lfunc_end120-_ZL39rocblas_trsm_block_forward_substitutionIddPKdPdLb1ELb1ELb0EEv18rocblas_operation_llT0_T1_lllT2_lllib
                                        ; -- End function
	.section	.AMDGPU.csdata,"",@progbits
; Kernel info:
; codeLenInByte = 1368
; NumSgprs: 42
; NumVgprs: 22
; NumAgprs: 0
; TotalNumVgprs: 22
; ScratchSize: 0
; MemoryBound: 1
; FloatMode: 240
; IeeeMode: 1
; LDSByteSize: 0 bytes/workgroup (compile time only)
; SGPRBlocks: 5
; VGPRBlocks: 2
; NumSGPRsForWavesPerEU: 42
; NumVGPRsForWavesPerEU: 22
; AccumOffset: 24
; Occupancy: 8
; WaveLimiterHint : 1
; COMPUTE_PGM_RSRC2:SCRATCH_EN: 0
; COMPUTE_PGM_RSRC2:USER_SGPR: 6
; COMPUTE_PGM_RSRC2:TRAP_HANDLER: 0
; COMPUTE_PGM_RSRC2:TGID_X_EN: 1
; COMPUTE_PGM_RSRC2:TGID_Y_EN: 1
; COMPUTE_PGM_RSRC2:TGID_Z_EN: 1
; COMPUTE_PGM_RSRC2:TIDIG_COMP_CNT: 1
; COMPUTE_PGM_RSRC3_GFX90A:ACCUM_OFFSET: 5
; COMPUTE_PGM_RSRC3_GFX90A:TG_SPLIT: 0
	.section	.text._ZL40rocblas_trsm_block_backward_substitutionIddPKdPdLb1ELb1ELb0EEv18rocblas_operation_llT0_T1_lllT2_lllib,"axG",@progbits,_ZL40rocblas_trsm_block_backward_substitutionIddPKdPdLb1ELb1ELb0EEv18rocblas_operation_llT0_T1_lllT2_lllib,comdat
	.globl	_ZL40rocblas_trsm_block_backward_substitutionIddPKdPdLb1ELb1ELb0EEv18rocblas_operation_llT0_T1_lllT2_lllib ; -- Begin function _ZL40rocblas_trsm_block_backward_substitutionIddPKdPdLb1ELb1ELb0EEv18rocblas_operation_llT0_T1_lllT2_lllib
	.p2align	8
	.type	_ZL40rocblas_trsm_block_backward_substitutionIddPKdPdLb1ELb1ELb0EEv18rocblas_operation_llT0_T1_lllT2_lllib,@function
_ZL40rocblas_trsm_block_backward_substitutionIddPKdPdLb1ELb1ELb0EEv18rocblas_operation_llT0_T1_lllT2_lllib: ; @_ZL40rocblas_trsm_block_backward_substitutionIddPKdPdLb1ELb1ELb0EEv18rocblas_operation_llT0_T1_lllT2_lllib
; %bb.0:
	s_load_dword s9, s[4:5], 0x64
	s_load_dwordx16 s[12:27], s[4:5], 0x8
	s_load_dword s6, s[4:5], 0x74
	v_and_b32_e32 v2, 0x3ff, v0
	v_bfe_u32 v8, v0, 10, 10
	s_waitcnt lgkmcnt(0)
	s_bitcmp1_b32 s9, 0
	s_mul_i32 s2, s8, s25
	s_mul_hi_u32 s3, s8, s24
	s_cselect_b64 s[0:1], -1, 0
	s_add_i32 s3, s3, s2
	s_mul_i32 s2, s8, s24
	s_lshl_b64 s[2:3], s[2:3], 3
	s_add_u32 s10, s18, s2
	s_addc_u32 s11, s19, s3
	s_lshl_b64 s[2:3], s[20:21], 3
	s_add_u32 s10, s10, s2
	s_addc_u32 s11, s11, s3
	s_add_u32 s18, s4, 0x68
	s_addc_u32 s19, s5, 0
	s_lshr_b32 s6, s6, 16
	s_bitcmp0_b32 s9, 0
	s_cbranch_scc1 .LBB121_15
; %bb.1:
	s_lshl_b32 s2, s6, 3
	s_add_i32 s20, s2, 0
	v_cmp_lt_i64_e64 s[2:3], s[12:13], 1
	s_and_b64 vcc, exec, s[2:3]
	s_cbranch_vccnz .LBB121_14
; %bb.2:
	v_lshlrev_b32_e32 v0, 3, v2
	v_mov_b32_e32 v3, 0
	v_cmp_le_u64_e64 s[24:25], s[12:13], v[2:3]
	v_cmp_gt_u64_e64 s[2:3], s[12:13], v[2:3]
	v_mov_b32_e32 v1, s11
	v_add_co_u32_e32 v3, vcc, s10, v0
	v_add_u32_e32 v9, s20, v0
	v_addc_co_u32_e32 v10, vcc, 0, v1, vcc
	v_mad_u64_u32 v[0:1], s[10:11], v2, s22, 0
	v_mov_b32_e32 v4, v1
	v_mad_u64_u32 v[4:5], s[10:11], v2, s23, v[4:5]
	v_mov_b32_e32 v1, v4
	v_lshlrev_b64 v[0:1], 3, v[0:1]
	v_add_co_u32_e32 v0, vcc, v3, v0
	v_addc_co_u32_e32 v1, vcc, v10, v1, vcc
	s_xor_b64 s[28:29], s[24:25], -1
	s_mov_b32 s30, s6
	v_mov_b32_e32 v4, v8
	s_branch .LBB121_4
.LBB121_3:                              ;   in Loop: Header=BB121_4 Depth=1
	s_or_b64 exec, exec, s[34:35]
	s_ashr_i32 s31, s30, 31
	s_waitcnt vmcnt(0)
	v_pk_mov_b32 v[6:7], s[12:13], s[12:13] op_sel:[0,1]
	v_cmp_ge_i64_e32 vcc, s[30:31], v[6:7]
	v_add_u32_e32 v4, s6, v4
	s_add_i32 s30, s30, s6
	s_cbranch_vccnz .LBB121_14
.LBB121_4:                              ; =>This Inner Loop Header: Depth=1
	s_mov_b64 s[10:11], 0
	s_mov_b64 s[36:37], s[24:25]
                                        ; implicit-def: $vgpr6_vgpr7
                                        ; implicit-def: $vgpr5
	s_and_saveexec_b64 s[34:35], s[2:3]
	s_cbranch_execnz .LBB121_7
; %bb.5:                                ;   in Loop: Header=BB121_4 Depth=1
	s_or_b64 exec, exec, s[34:35]
	s_and_saveexec_b64 s[34:35], s[36:37]
	s_cbranch_execnz .LBB121_10
.LBB121_6:                              ;   in Loop: Header=BB121_4 Depth=1
	s_or_b64 exec, exec, s[34:35]
	s_and_saveexec_b64 s[34:35], s[10:11]
	s_cbranch_execz .LBB121_3
	s_branch .LBB121_13
.LBB121_7:                              ;   in Loop: Header=BB121_4 Depth=1
	v_ashrrev_i32_e32 v5, 31, v4
	v_cmp_gt_i64_e32 vcc, s[12:13], v[4:5]
	v_cmp_lt_i32_e64 s[10:11], v2, v4
	s_and_b64 s[40:41], s[10:11], vcc
	s_mov_b64 s[38:39], -1
	s_mov_b64 s[10:11], 0
                                        ; implicit-def: $vgpr6_vgpr7
	s_and_saveexec_b64 s[36:37], s[40:41]
	s_cbranch_execz .LBB121_9
; %bb.8:                                ;   in Loop: Header=BB121_4 Depth=1
	v_mul_lo_u32 v5, v5, s22
	v_mul_lo_u32 v11, v4, s23
	v_mad_u64_u32 v[6:7], s[38:39], v4, s22, 0
	v_add3_u32 v7, v7, v11, v5
	v_lshlrev_b64 v[6:7], 3, v[6:7]
	v_add_co_u32_e32 v6, vcc, v3, v6
	v_addc_co_u32_e32 v7, vcc, v10, v7, vcc
	global_load_dwordx2 v[6:7], v[6:7], off
	s_mov_b64 s[10:11], exec
	s_xor_b64 s[38:39], exec, -1
.LBB121_9:                              ;   in Loop: Header=BB121_4 Depth=1
	s_or_b64 exec, exec, s[36:37]
	s_andn2_b64 s[36:37], s[24:25], exec
	s_and_b64 s[38:39], s[38:39], exec
	s_and_b64 s[10:11], s[10:11], exec
	s_or_b64 s[36:37], s[36:37], s[38:39]
	v_mov_b32_e32 v5, v4
	s_or_b64 exec, exec, s[34:35]
	s_and_saveexec_b64 s[34:35], s[36:37]
	s_cbranch_execz .LBB121_6
.LBB121_10:                             ;   in Loop: Header=BB121_4 Depth=1
	v_cmp_eq_u32_e32 vcc, v2, v4
	s_and_b64 s[40:41], s[28:29], vcc
	s_mov_b64 s[38:39], s[10:11]
                                        ; implicit-def: $vgpr6_vgpr7
	s_and_saveexec_b64 s[36:37], s[40:41]
	s_cbranch_execz .LBB121_12
; %bb.11:                               ;   in Loop: Header=BB121_4 Depth=1
	global_load_dwordx2 v[6:7], v[0:1], off
	s_waitcnt vmcnt(0)
	v_div_scale_f64 v[12:13], s[38:39], v[6:7], v[6:7], 1.0
	v_rcp_f64_e32 v[14:15], v[12:13]
	v_div_scale_f64 v[16:17], vcc, 1.0, v[6:7], 1.0
	s_or_b64 s[38:39], s[10:11], exec
	v_fma_f64 v[18:19], -v[12:13], v[14:15], 1.0
	v_fmac_f64_e32 v[14:15], v[14:15], v[18:19]
	v_fma_f64 v[18:19], -v[12:13], v[14:15], 1.0
	v_fmac_f64_e32 v[14:15], v[14:15], v[18:19]
	v_mul_f64 v[18:19], v[16:17], v[14:15]
	v_fma_f64 v[12:13], -v[12:13], v[18:19], v[16:17]
	v_div_fmas_f64 v[12:13], v[12:13], v[14:15], v[18:19]
	v_div_fixup_f64 v[6:7], v[12:13], v[6:7], 1.0
.LBB121_12:                             ;   in Loop: Header=BB121_4 Depth=1
	s_or_b64 exec, exec, s[36:37]
	s_andn2_b64 s[10:11], s[10:11], exec
	s_and_b64 s[36:37], s[38:39], exec
	s_or_b64 s[10:11], s[10:11], s[36:37]
	v_mov_b32_e32 v5, v2
	s_or_b64 exec, exec, s[34:35]
	s_and_saveexec_b64 s[34:35], s[10:11]
	s_cbranch_execz .LBB121_3
.LBB121_13:                             ;   in Loop: Header=BB121_4 Depth=1
	s_load_dword s9, s[18:19], 0xc
	s_waitcnt lgkmcnt(0)
	s_and_b32 s9, s9, 0xffff
	v_mul_lo_u32 v5, v5, s9
	v_lshl_add_u32 v5, v5, 3, v9
	s_waitcnt vmcnt(0)
	ds_write_b64 v5, v[6:7]
	s_branch .LBB121_3
.LBB121_14:
	s_load_dword s9, s[18:19], 0xc
	s_mov_b64 s[2:3], src_shared_base
	s_mov_b32 s21, s3
	s_mov_b32 s23, 0
	s_mov_b64 s[10:11], s[20:21]
	s_waitcnt lgkmcnt(0)
	s_and_b32 s22, s9, 0xffff
.LBB121_15:
	s_mul_i32 s7, s7, s6
	v_add_u32_e32 v0, s7, v8
	v_mov_b32_e32 v1, 0
	v_cmp_gt_i64_e32 vcc, s[14:15], v[0:1]
	s_and_saveexec_b64 s[2:3], vcc
	s_cbranch_execz .LBB121_28
; %bb.16:
	v_mov_b32_e32 v3, v1
	v_cmp_gt_i64_e32 vcc, s[12:13], v[2:3]
	s_and_b64 exec, exec, vcc
	s_cbranch_execz .LBB121_28
; %bb.17:
	s_load_dwordx2 s[2:3], s[4:5], 0x58
	s_load_dwordx4 s[28:31], s[4:5], 0x48
	v_lshlrev_b32_e32 v9, 3, v2
	s_waitcnt lgkmcnt(0)
	s_mul_i32 s3, s8, s3
	s_mul_hi_u32 s4, s8, s2
	s_mul_i32 s2, s8, s2
	s_add_i32 s3, s4, s3
	s_lshl_b64 s[2:3], s[2:3], 3
	s_add_u32 s4, s26, s2
	s_addc_u32 s5, s27, s3
	s_lshl_b64 s[2:3], s[28:29], 3
	s_add_u32 s4, s4, s2
	s_addc_u32 s5, s5, s3
	v_mad_u64_u32 v[4:5], s[2:3], v0, s30, 0
	v_mov_b32_e32 v6, v5
	v_mad_u64_u32 v[0:1], s[2:3], v0, s31, v[6:7]
	v_mov_b32_e32 v5, v0
	v_lshlrev_b64 v[0:1], 3, v[4:5]
	v_mov_b32_e32 v4, s5
	v_add_co_u32_e32 v0, vcc, s4, v0
	v_addc_co_u32_e32 v1, vcc, v4, v1, vcc
	v_add_co_u32_e32 v0, vcc, v0, v9
	v_addc_co_u32_e32 v1, vcc, 0, v1, vcc
	global_load_dwordx2 v[4:5], v[0:1], off
	v_cmp_lt_u64_e64 s[2:3], s[12:13], 2
	s_and_b64 vcc, exec, s[2:3]
	s_waitcnt vmcnt(0)
	v_mul_f64 v[4:5], v[4:5], s[16:17]
	s_cbranch_vccnz .LBB121_25
; %bb.18:
	v_mad_u64_u32 v[6:7], s[2:3], v2, s22, v[2:3]
	v_mov_b32_e32 v10, v7
	v_mad_u64_u32 v[10:11], s[2:3], v2, s23, v[10:11]
	s_add_u32 s2, s12, -1
	s_addc_u32 s3, s13, -1
	s_mul_i32 s4, s22, s3
	s_mul_hi_u32 s5, s22, s2
	s_add_i32 s4, s5, s4
	s_mul_i32 s5, s23, s2
	v_mov_b32_e32 v7, v10
	s_add_i32 s5, s4, s5
	s_mul_i32 s4, s22, s2
	v_lshlrev_b64 v[6:7], 3, v[6:7]
	s_lshl_b64 s[4:5], s[4:5], 3
	v_mov_b32_e32 v10, s11
	v_add_co_u32_e32 v6, vcc, s10, v6
	s_add_u32 s4, s10, s4
	v_addc_co_u32_e32 v7, vcc, v10, v7, vcc
	s_addc_u32 s5, s11, s5
	v_lshl_add_u32 v10, v8, 3, 0
	v_mov_b32_e32 v11, s5
	v_add_co_u32_e32 v8, vcc, s4, v9
	s_lshl_b64 s[4:5], s[22:23], 3
	s_sub_u32 s6, 0, s4
	s_subb_u32 s4, 0, s5
	v_addc_co_u32_e32 v9, vcc, 0, v11, vcc
	v_mov_b32_e32 v11, s4
.LBB121_19:                             ; =>This Inner Loop Header: Depth=1
	v_cmp_eq_u64_e32 vcc, s[2:3], v[2:3]
	s_barrier
	s_and_saveexec_b64 s[4:5], vcc
	s_cbranch_execz .LBB121_21
; %bb.20:                               ;   in Loop: Header=BB121_19 Depth=1
	flat_load_dwordx2 v[12:13], v[6:7]
	s_waitcnt vmcnt(0) lgkmcnt(0)
	v_div_scale_f64 v[14:15], s[8:9], v[12:13], v[12:13], 1.0
	v_rcp_f64_e32 v[16:17], v[14:15]
	v_div_scale_f64 v[18:19], vcc, 1.0, v[12:13], 1.0
	v_fma_f64 v[20:21], -v[14:15], v[16:17], 1.0
	v_fmac_f64_e32 v[16:17], v[16:17], v[20:21]
	v_fma_f64 v[20:21], -v[14:15], v[16:17], 1.0
	v_fmac_f64_e32 v[16:17], v[16:17], v[20:21]
	v_mul_f64 v[20:21], v[18:19], v[16:17]
	v_fma_f64 v[14:15], -v[14:15], v[20:21], v[18:19]
	v_div_fmas_f64 v[14:15], v[14:15], v[16:17], v[20:21]
	v_div_fixup_f64 v[14:15], v[14:15], v[12:13], 1.0
	v_cndmask_b32_e64 v13, v15, v13, s[0:1]
	v_cndmask_b32_e64 v12, v14, v12, s[0:1]
	v_mul_f64 v[4:5], v[4:5], v[12:13]
	ds_write_b64 v10, v[4:5]
.LBB121_21:                             ;   in Loop: Header=BB121_19 Depth=1
	s_or_b64 exec, exec, s[4:5]
	v_cmp_gt_i64_e32 vcc, s[2:3], v[2:3]
	s_waitcnt lgkmcnt(0)
	s_barrier
	s_and_saveexec_b64 s[4:5], vcc
	s_cbranch_execz .LBB121_23
; %bb.22:                               ;   in Loop: Header=BB121_19 Depth=1
	flat_load_dwordx2 v[12:13], v[8:9]
	ds_read_b64 v[14:15], v10
	s_waitcnt vmcnt(0) lgkmcnt(0)
	v_fma_f64 v[4:5], -v[12:13], v[14:15], v[4:5]
.LBB121_23:                             ;   in Loop: Header=BB121_19 Depth=1
	s_or_b64 exec, exec, s[4:5]
	s_add_u32 s4, s2, -1
	s_addc_u32 s5, s3, -1
	s_add_u32 s2, s2, 1
	s_addc_u32 s3, s3, 0
	v_add_co_u32_e32 v8, vcc, s6, v8
	v_addc_co_u32_e32 v9, vcc, v9, v11, vcc
	v_cmp_lt_u64_e64 s[2:3], s[2:3], 3
	s_and_b64 vcc, exec, s[2:3]
	s_cbranch_vccnz .LBB121_25
; %bb.24:                               ;   in Loop: Header=BB121_19 Depth=1
	s_mov_b64 s[2:3], s[4:5]
	s_branch .LBB121_19
.LBB121_25:
	v_cmp_eq_u32_e32 vcc, 0, v2
	s_and_saveexec_b64 s[2:3], vcc
	s_cbranch_execz .LBB121_27
; %bb.26:
	v_mad_u64_u32 v[6:7], s[4:5], v2, s22, v[2:3]
	v_mov_b32_e32 v8, v7
	v_mad_u64_u32 v[2:3], s[4:5], v2, s23, v[8:9]
	v_mov_b32_e32 v7, v2
	v_lshlrev_b64 v[2:3], 3, v[6:7]
	v_mov_b32_e32 v6, s11
	v_add_co_u32_e32 v2, vcc, s10, v2
	v_addc_co_u32_e32 v3, vcc, v6, v3, vcc
	flat_load_dwordx2 v[2:3], v[2:3]
	s_waitcnt vmcnt(0) lgkmcnt(0)
	v_div_scale_f64 v[6:7], s[4:5], v[2:3], v[2:3], 1.0
	v_rcp_f64_e32 v[8:9], v[6:7]
	v_div_scale_f64 v[10:11], vcc, 1.0, v[2:3], 1.0
	v_fma_f64 v[12:13], -v[6:7], v[8:9], 1.0
	v_fmac_f64_e32 v[8:9], v[8:9], v[12:13]
	v_fma_f64 v[12:13], -v[6:7], v[8:9], 1.0
	v_fmac_f64_e32 v[8:9], v[8:9], v[12:13]
	v_mul_f64 v[12:13], v[10:11], v[8:9]
	v_fma_f64 v[6:7], -v[6:7], v[12:13], v[10:11]
	v_div_fmas_f64 v[6:7], v[6:7], v[8:9], v[12:13]
	v_div_fixup_f64 v[6:7], v[6:7], v[2:3], 1.0
	v_cndmask_b32_e64 v3, v7, v3, s[0:1]
	v_cndmask_b32_e64 v2, v6, v2, s[0:1]
	v_mul_f64 v[4:5], v[4:5], v[2:3]
.LBB121_27:
	s_or_b64 exec, exec, s[2:3]
	global_store_dwordx2 v[0:1], v[4:5], off
.LBB121_28:
	s_endpgm
	.section	.rodata,"a",@progbits
	.p2align	6, 0x0
	.amdhsa_kernel _ZL40rocblas_trsm_block_backward_substitutionIddPKdPdLb1ELb1ELb0EEv18rocblas_operation_llT0_T1_lllT2_lllib
		.amdhsa_group_segment_fixed_size 0
		.amdhsa_private_segment_fixed_size 0
		.amdhsa_kernarg_size 360
		.amdhsa_user_sgpr_count 6
		.amdhsa_user_sgpr_private_segment_buffer 1
		.amdhsa_user_sgpr_dispatch_ptr 0
		.amdhsa_user_sgpr_queue_ptr 0
		.amdhsa_user_sgpr_kernarg_segment_ptr 1
		.amdhsa_user_sgpr_dispatch_id 0
		.amdhsa_user_sgpr_flat_scratch_init 0
		.amdhsa_user_sgpr_kernarg_preload_length 0
		.amdhsa_user_sgpr_kernarg_preload_offset 0
		.amdhsa_user_sgpr_private_segment_size 0
		.amdhsa_uses_dynamic_stack 0
		.amdhsa_system_sgpr_private_segment_wavefront_offset 0
		.amdhsa_system_sgpr_workgroup_id_x 1
		.amdhsa_system_sgpr_workgroup_id_y 1
		.amdhsa_system_sgpr_workgroup_id_z 1
		.amdhsa_system_sgpr_workgroup_info 0
		.amdhsa_system_vgpr_workitem_id 1
		.amdhsa_next_free_vgpr 22
		.amdhsa_next_free_sgpr 42
		.amdhsa_accum_offset 24
		.amdhsa_reserve_vcc 1
		.amdhsa_reserve_flat_scratch 0
		.amdhsa_float_round_mode_32 0
		.amdhsa_float_round_mode_16_64 0
		.amdhsa_float_denorm_mode_32 3
		.amdhsa_float_denorm_mode_16_64 3
		.amdhsa_dx10_clamp 1
		.amdhsa_ieee_mode 1
		.amdhsa_fp16_overflow 0
		.amdhsa_tg_split 0
		.amdhsa_exception_fp_ieee_invalid_op 0
		.amdhsa_exception_fp_denorm_src 0
		.amdhsa_exception_fp_ieee_div_zero 0
		.amdhsa_exception_fp_ieee_overflow 0
		.amdhsa_exception_fp_ieee_underflow 0
		.amdhsa_exception_fp_ieee_inexact 0
		.amdhsa_exception_int_div_zero 0
	.end_amdhsa_kernel
	.section	.text._ZL40rocblas_trsm_block_backward_substitutionIddPKdPdLb1ELb1ELb0EEv18rocblas_operation_llT0_T1_lllT2_lllib,"axG",@progbits,_ZL40rocblas_trsm_block_backward_substitutionIddPKdPdLb1ELb1ELb0EEv18rocblas_operation_llT0_T1_lllT2_lllib,comdat
.Lfunc_end121:
	.size	_ZL40rocblas_trsm_block_backward_substitutionIddPKdPdLb1ELb1ELb0EEv18rocblas_operation_llT0_T1_lllT2_lllib, .Lfunc_end121-_ZL40rocblas_trsm_block_backward_substitutionIddPKdPdLb1ELb1ELb0EEv18rocblas_operation_llT0_T1_lllT2_lllib
                                        ; -- End function
	.section	.AMDGPU.csdata,"",@progbits
; Kernel info:
; codeLenInByte = 1424
; NumSgprs: 46
; NumVgprs: 22
; NumAgprs: 0
; TotalNumVgprs: 22
; ScratchSize: 0
; MemoryBound: 1
; FloatMode: 240
; IeeeMode: 1
; LDSByteSize: 0 bytes/workgroup (compile time only)
; SGPRBlocks: 5
; VGPRBlocks: 2
; NumSGPRsForWavesPerEU: 46
; NumVGPRsForWavesPerEU: 22
; AccumOffset: 24
; Occupancy: 8
; WaveLimiterHint : 1
; COMPUTE_PGM_RSRC2:SCRATCH_EN: 0
; COMPUTE_PGM_RSRC2:USER_SGPR: 6
; COMPUTE_PGM_RSRC2:TRAP_HANDLER: 0
; COMPUTE_PGM_RSRC2:TGID_X_EN: 1
; COMPUTE_PGM_RSRC2:TGID_Y_EN: 1
; COMPUTE_PGM_RSRC2:TGID_Z_EN: 1
; COMPUTE_PGM_RSRC2:TIDIG_COMP_CNT: 1
; COMPUTE_PGM_RSRC3_GFX90A:ACCUM_OFFSET: 5
; COMPUTE_PGM_RSRC3_GFX90A:TG_SPLIT: 0
	.section	.text._ZL39rocblas_trsm_block_forward_substitutionIddPKdPdLb1ELb1ELb1EEv18rocblas_operation_llT0_T1_lllT2_lllib,"axG",@progbits,_ZL39rocblas_trsm_block_forward_substitutionIddPKdPdLb1ELb1ELb1EEv18rocblas_operation_llT0_T1_lllT2_lllib,comdat
	.globl	_ZL39rocblas_trsm_block_forward_substitutionIddPKdPdLb1ELb1ELb1EEv18rocblas_operation_llT0_T1_lllT2_lllib ; -- Begin function _ZL39rocblas_trsm_block_forward_substitutionIddPKdPdLb1ELb1ELb1EEv18rocblas_operation_llT0_T1_lllT2_lllib
	.p2align	8
	.type	_ZL39rocblas_trsm_block_forward_substitutionIddPKdPdLb1ELb1ELb1EEv18rocblas_operation_llT0_T1_lllT2_lllib,@function
_ZL39rocblas_trsm_block_forward_substitutionIddPKdPdLb1ELb1ELb1EEv18rocblas_operation_llT0_T1_lllT2_lllib: ; @_ZL39rocblas_trsm_block_forward_substitutionIddPKdPdLb1ELb1ELb1EEv18rocblas_operation_llT0_T1_lllT2_lllib
; %bb.0:
	s_load_dwordx16 s[12:27], s[4:5], 0x8
	v_and_b32_e32 v2, 0x3ff, v0
	v_bfe_u32 v6, v0, 10, 10
	s_waitcnt lgkmcnt(0)
	s_mul_i32 s0, s8, s25
	s_mul_hi_u32 s1, s8, s24
	s_add_i32 s1, s1, s0
	s_mul_i32 s0, s8, s24
	s_lshl_b64 s[0:1], s[0:1], 3
	s_add_u32 s6, s18, s0
	s_addc_u32 s9, s19, s1
	s_lshl_b64 s[0:1], s[20:21], 3
	s_add_u32 s10, s6, s0
	s_addc_u32 s11, s9, s1
	s_load_dword s0, s[4:5], 0x64
	s_load_dword s1, s[4:5], 0x74
	s_add_u32 s18, s4, 0x68
	s_addc_u32 s19, s5, 0
	s_waitcnt lgkmcnt(0)
	s_lshr_b32 s6, s1, 16
	s_bitcmp0_b32 s0, 0
	s_mov_b64 s[0:1], 1
	s_cbranch_scc1 .LBB122_6
; %bb.1:
	s_lshl_b32 s0, s6, 3
	s_add_i32 s20, s0, 0
	v_cmp_lt_i64_e64 s[0:1], s[12:13], 1
	s_mov_b64 s[2:3], 1
	s_and_b64 vcc, exec, s[0:1]
	s_cbranch_vccnz .LBB122_7
; %bb.2:
	v_mad_u64_u32 v[0:1], s[24:25], v2, s22, 0
	v_mov_b32_e32 v4, v1
	v_mad_u64_u32 v[4:5], s[22:23], v2, s23, v[4:5]
	v_mov_b32_e32 v1, v4
	v_mov_b32_e32 v3, 0
	v_lshlrev_b64 v[0:1], 3, v[0:1]
	v_cmp_gt_u64_e64 s[0:1], s[12:13], v[2:3]
	v_mov_b32_e32 v4, s11
	v_add_co_u32_e32 v3, vcc, s10, v0
	v_lshl_add_u32 v7, v2, 3, s20
	v_addc_co_u32_e32 v8, vcc, v4, v1, vcc
	s_mov_b32 s10, 0
	v_pk_mov_b32 v[0:1], s[12:13], s[12:13] op_sel:[0,1]
	s_branch .LBB122_4
.LBB122_3:                              ;   in Loop: Header=BB122_4 Depth=1
	s_or_b64 exec, exec, s[22:23]
	s_add_i32 s10, s10, s6
	s_ashr_i32 s11, s10, 31
	v_cmp_ge_i64_e32 vcc, s[10:11], v[0:1]
	s_cbranch_vccnz .LBB122_7
.LBB122_4:                              ; =>This Inner Loop Header: Depth=1
	v_add_u32_e32 v4, s10, v6
	v_cmp_gt_i32_e32 vcc, v2, v4
	s_and_b64 s[24:25], s[0:1], vcc
	s_and_saveexec_b64 s[22:23], s[24:25]
	s_cbranch_execz .LBB122_3
; %bb.5:                                ;   in Loop: Header=BB122_4 Depth=1
	v_ashrrev_i32_e32 v5, 31, v4
	v_lshlrev_b64 v[10:11], 3, v[4:5]
	v_add_co_u32_e32 v10, vcc, v3, v10
	v_addc_co_u32_e32 v11, vcc, v8, v11, vcc
	global_load_dwordx2 v[10:11], v[10:11], off
	s_load_dword s9, s[18:19], 0xc
	s_waitcnt lgkmcnt(0)
	s_and_b32 s9, s9, 0xffff
	v_mul_lo_u32 v4, v4, s9
	v_lshl_add_u32 v4, v4, 3, v7
	s_waitcnt vmcnt(0)
	ds_write_b64 v4, v[10:11]
	s_branch .LBB122_3
.LBB122_6:
	s_mov_b32 s2, s22
	s_mov_b32 s3, s23
	s_branch .LBB122_8
.LBB122_7:
	s_load_dword s9, s[18:19], 0xc
	s_mov_b64 s[0:1], src_shared_base
	s_mov_b32 s21, s1
	s_mov_b64 s[10:11], s[20:21]
	s_waitcnt lgkmcnt(0)
	s_and_b32 s0, s9, 0xffff
.LBB122_8:
	s_mul_i32 s7, s7, s6
	v_add_u32_e32 v0, s7, v6
	v_mov_b32_e32 v1, 0
	v_cmp_gt_i64_e32 vcc, s[14:15], v[0:1]
	s_and_saveexec_b64 s[6:7], vcc
	s_cbranch_execz .LBB122_18
; %bb.9:
	v_mov_b32_e32 v3, v1
	v_cmp_gt_i64_e32 vcc, s[12:13], v[2:3]
	s_and_b64 exec, exec, vcc
	s_cbranch_execz .LBB122_18
; %bb.10:
	s_load_dwordx2 s[6:7], s[4:5], 0x58
	s_load_dwordx4 s[20:23], s[4:5], 0x48
	v_lshlrev_b64 v[0:1], 3, v[0:1]
	s_waitcnt lgkmcnt(0)
	s_mul_i32 s1, s8, s7
	s_mul_hi_u32 s5, s8, s6
	s_mul_i32 s4, s8, s6
	s_add_i32 s5, s5, s1
	s_lshl_b64 s[4:5], s[4:5], 3
	s_add_u32 s1, s26, s4
	s_addc_u32 s6, s27, s5
	s_lshl_b64 s[4:5], s[20:21], 3
	s_add_u32 s1, s1, s4
	s_addc_u32 s6, s6, s5
	v_mad_u64_u32 v[4:5], s[4:5], v2, s22, 0
	v_mov_b32_e32 v8, v5
	v_mad_u64_u32 v[8:9], s[4:5], v2, s23, v[8:9]
	v_mov_b32_e32 v5, v8
	v_lshlrev_b64 v[4:5], 3, v[4:5]
	v_mov_b32_e32 v7, s6
	v_add_co_u32_e32 v4, vcc, s1, v4
	v_addc_co_u32_e32 v5, vcc, v7, v5, vcc
	v_add_co_u32_e32 v0, vcc, v4, v0
	v_addc_co_u32_e32 v1, vcc, v5, v1, vcc
	global_load_dwordx2 v[4:5], v[0:1], off
	v_cmp_lt_u64_e64 s[4:5], s[12:13], 2
	s_and_b64 vcc, exec, s[4:5]
	s_waitcnt vmcnt(0)
	v_mul_f64 v[4:5], v[4:5], s[16:17]
	s_cbranch_vccnz .LBB122_17
; %bb.11:
	v_lshl_add_u32 v8, v6, 3, 0
	v_mad_u64_u32 v[6:7], s[6:7], s2, v2, 0
	v_mov_b32_e32 v10, v7
	v_mad_u64_u32 v[10:11], s[2:3], s3, v2, v[10:11]
	v_mov_b32_e32 v7, v10
	v_lshlrev_b64 v[6:7], 3, v[6:7]
	s_mov_b32 s8, 0
	s_add_u32 s4, s12, -1
	v_mov_b32_e32 v9, s11
	v_add_co_u32_e32 v6, vcc, s10, v6
	s_addc_u32 s5, s13, -1
	v_addc_co_u32_e32 v7, vcc, v9, v7, vcc
	s_lshl_b32 s6, s0, 3
	s_mov_b64 s[0:1], 0
	v_mov_b32_e32 v9, s8
	s_branch .LBB122_13
.LBB122_12:                             ;   in Loop: Header=BB122_13 Depth=1
	s_or_b64 exec, exec, s[2:3]
	s_add_u32 s0, s0, 1
	s_addc_u32 s1, s1, 0
	v_add_co_u32_e32 v6, vcc, s6, v6
	s_cmp_eq_u64 s[4:5], s[0:1]
	v_addc_co_u32_e32 v7, vcc, v7, v9, vcc
	s_cbranch_scc1 .LBB122_17
.LBB122_13:                             ; =>This Inner Loop Header: Depth=1
	v_cmp_eq_u64_e32 vcc, s[0:1], v[2:3]
	s_barrier
	s_and_saveexec_b64 s[2:3], vcc
	s_cbranch_execz .LBB122_15
; %bb.14:                               ;   in Loop: Header=BB122_13 Depth=1
	ds_write_b64 v8, v[4:5]
.LBB122_15:                             ;   in Loop: Header=BB122_13 Depth=1
	s_or_b64 exec, exec, s[2:3]
	v_cmp_lt_u64_e32 vcc, s[0:1], v[2:3]
	s_waitcnt lgkmcnt(0)
	s_barrier
	s_and_saveexec_b64 s[2:3], vcc
	s_cbranch_execz .LBB122_12
; %bb.16:                               ;   in Loop: Header=BB122_13 Depth=1
	flat_load_dwordx2 v[10:11], v[6:7]
	ds_read_b64 v[12:13], v8
	s_waitcnt vmcnt(0) lgkmcnt(0)
	v_fma_f64 v[4:5], -v[10:11], v[12:13], v[4:5]
	s_branch .LBB122_12
.LBB122_17:
	global_store_dwordx2 v[0:1], v[4:5], off
.LBB122_18:
	s_endpgm
	.section	.rodata,"a",@progbits
	.p2align	6, 0x0
	.amdhsa_kernel _ZL39rocblas_trsm_block_forward_substitutionIddPKdPdLb1ELb1ELb1EEv18rocblas_operation_llT0_T1_lllT2_lllib
		.amdhsa_group_segment_fixed_size 0
		.amdhsa_private_segment_fixed_size 0
		.amdhsa_kernarg_size 360
		.amdhsa_user_sgpr_count 6
		.amdhsa_user_sgpr_private_segment_buffer 1
		.amdhsa_user_sgpr_dispatch_ptr 0
		.amdhsa_user_sgpr_queue_ptr 0
		.amdhsa_user_sgpr_kernarg_segment_ptr 1
		.amdhsa_user_sgpr_dispatch_id 0
		.amdhsa_user_sgpr_flat_scratch_init 0
		.amdhsa_user_sgpr_kernarg_preload_length 0
		.amdhsa_user_sgpr_kernarg_preload_offset 0
		.amdhsa_user_sgpr_private_segment_size 0
		.amdhsa_uses_dynamic_stack 0
		.amdhsa_system_sgpr_private_segment_wavefront_offset 0
		.amdhsa_system_sgpr_workgroup_id_x 1
		.amdhsa_system_sgpr_workgroup_id_y 1
		.amdhsa_system_sgpr_workgroup_id_z 1
		.amdhsa_system_sgpr_workgroup_info 0
		.amdhsa_system_vgpr_workitem_id 1
		.amdhsa_next_free_vgpr 14
		.amdhsa_next_free_sgpr 28
		.amdhsa_accum_offset 16
		.amdhsa_reserve_vcc 1
		.amdhsa_reserve_flat_scratch 0
		.amdhsa_float_round_mode_32 0
		.amdhsa_float_round_mode_16_64 0
		.amdhsa_float_denorm_mode_32 3
		.amdhsa_float_denorm_mode_16_64 3
		.amdhsa_dx10_clamp 1
		.amdhsa_ieee_mode 1
		.amdhsa_fp16_overflow 0
		.amdhsa_tg_split 0
		.amdhsa_exception_fp_ieee_invalid_op 0
		.amdhsa_exception_fp_denorm_src 0
		.amdhsa_exception_fp_ieee_div_zero 0
		.amdhsa_exception_fp_ieee_overflow 0
		.amdhsa_exception_fp_ieee_underflow 0
		.amdhsa_exception_fp_ieee_inexact 0
		.amdhsa_exception_int_div_zero 0
	.end_amdhsa_kernel
	.section	.text._ZL39rocblas_trsm_block_forward_substitutionIddPKdPdLb1ELb1ELb1EEv18rocblas_operation_llT0_T1_lllT2_lllib,"axG",@progbits,_ZL39rocblas_trsm_block_forward_substitutionIddPKdPdLb1ELb1ELb1EEv18rocblas_operation_llT0_T1_lllT2_lllib,comdat
.Lfunc_end122:
	.size	_ZL39rocblas_trsm_block_forward_substitutionIddPKdPdLb1ELb1ELb1EEv18rocblas_operation_llT0_T1_lllT2_lllib, .Lfunc_end122-_ZL39rocblas_trsm_block_forward_substitutionIddPKdPdLb1ELb1ELb1EEv18rocblas_operation_llT0_T1_lllT2_lllib
                                        ; -- End function
	.section	.AMDGPU.csdata,"",@progbits
; Kernel info:
; codeLenInByte = 784
; NumSgprs: 32
; NumVgprs: 14
; NumAgprs: 0
; TotalNumVgprs: 14
; ScratchSize: 0
; MemoryBound: 0
; FloatMode: 240
; IeeeMode: 1
; LDSByteSize: 0 bytes/workgroup (compile time only)
; SGPRBlocks: 3
; VGPRBlocks: 1
; NumSGPRsForWavesPerEU: 32
; NumVGPRsForWavesPerEU: 14
; AccumOffset: 16
; Occupancy: 8
; WaveLimiterHint : 1
; COMPUTE_PGM_RSRC2:SCRATCH_EN: 0
; COMPUTE_PGM_RSRC2:USER_SGPR: 6
; COMPUTE_PGM_RSRC2:TRAP_HANDLER: 0
; COMPUTE_PGM_RSRC2:TGID_X_EN: 1
; COMPUTE_PGM_RSRC2:TGID_Y_EN: 1
; COMPUTE_PGM_RSRC2:TGID_Z_EN: 1
; COMPUTE_PGM_RSRC2:TIDIG_COMP_CNT: 1
; COMPUTE_PGM_RSRC3_GFX90A:ACCUM_OFFSET: 3
; COMPUTE_PGM_RSRC3_GFX90A:TG_SPLIT: 0
	.section	.text._ZL40rocblas_trsm_block_backward_substitutionIddPKdPdLb1ELb1ELb1EEv18rocblas_operation_llT0_T1_lllT2_lllib,"axG",@progbits,_ZL40rocblas_trsm_block_backward_substitutionIddPKdPdLb1ELb1ELb1EEv18rocblas_operation_llT0_T1_lllT2_lllib,comdat
	.globl	_ZL40rocblas_trsm_block_backward_substitutionIddPKdPdLb1ELb1ELb1EEv18rocblas_operation_llT0_T1_lllT2_lllib ; -- Begin function _ZL40rocblas_trsm_block_backward_substitutionIddPKdPdLb1ELb1ELb1EEv18rocblas_operation_llT0_T1_lllT2_lllib
	.p2align	8
	.type	_ZL40rocblas_trsm_block_backward_substitutionIddPKdPdLb1ELb1ELb1EEv18rocblas_operation_llT0_T1_lllT2_lllib,@function
_ZL40rocblas_trsm_block_backward_substitutionIddPKdPdLb1ELb1ELb1EEv18rocblas_operation_llT0_T1_lllT2_lllib: ; @_ZL40rocblas_trsm_block_backward_substitutionIddPKdPdLb1ELb1ELb1EEv18rocblas_operation_llT0_T1_lllT2_lllib
; %bb.0:
	s_load_dwordx16 s[12:27], s[4:5], 0x8
	v_and_b32_e32 v2, 0x3ff, v0
	v_bfe_u32 v6, v0, 10, 10
	s_waitcnt lgkmcnt(0)
	s_mul_i32 s0, s8, s25
	s_mul_hi_u32 s1, s8, s24
	s_add_i32 s1, s1, s0
	s_mul_i32 s0, s8, s24
	s_lshl_b64 s[0:1], s[0:1], 3
	s_add_u32 s2, s18, s0
	s_addc_u32 s3, s19, s1
	s_lshl_b64 s[0:1], s[20:21], 3
	s_add_u32 s2, s2, s0
	s_load_dword s0, s[4:5], 0x64
	s_load_dword s6, s[4:5], 0x74
	s_addc_u32 s3, s3, s1
	s_add_u32 s10, s4, 0x68
	s_addc_u32 s11, s5, 0
	s_waitcnt lgkmcnt(0)
	s_lshr_b32 s6, s6, 16
	s_bitcmp0_b32 s0, 0
	s_cbranch_scc1 .LBB123_7
; %bb.1:
	s_lshl_b32 s0, s6, 3
	s_add_i32 s18, s0, 0
	v_cmp_lt_i64_e64 s[0:1], s[12:13], 1
	s_and_b64 vcc, exec, s[0:1]
	s_cbranch_vccnz .LBB123_6
; %bb.2:
	v_lshlrev_b32_e32 v0, 3, v2
	v_mov_b32_e32 v3, 0
	v_cmp_gt_u64_e64 s[0:1], s[12:13], v[2:3]
	v_mov_b32_e32 v1, s3
	v_add_co_u32_e32 v3, vcc, s2, v0
	v_add_u32_e32 v7, s18, v0
	s_mov_b32 s20, 0
	v_addc_co_u32_e32 v8, vcc, 0, v1, vcc
	v_pk_mov_b32 v[0:1], s[12:13], s[12:13] op_sel:[0,1]
	s_branch .LBB123_4
.LBB123_3:                              ;   in Loop: Header=BB123_4 Depth=1
	s_or_b64 exec, exec, s[2:3]
	s_add_i32 s20, s20, s6
	s_ashr_i32 s21, s20, 31
	v_cmp_ge_i64_e32 vcc, s[20:21], v[0:1]
	s_cbranch_vccnz .LBB123_6
.LBB123_4:                              ; =>This Inner Loop Header: Depth=1
	v_add_u32_e32 v4, s20, v6
	v_ashrrev_i32_e32 v5, 31, v4
	v_cmp_gt_i64_e32 vcc, s[12:13], v[4:5]
	v_cmp_lt_i32_e64 s[2:3], v2, v4
	s_and_b64 s[2:3], s[2:3], vcc
	s_and_b64 s[24:25], s[0:1], s[2:3]
	s_and_saveexec_b64 s[2:3], s[24:25]
	s_cbranch_execz .LBB123_3
; %bb.5:                                ;   in Loop: Header=BB123_4 Depth=1
	v_mul_lo_u32 v5, v5, s22
	v_mul_lo_u32 v9, v4, s23
	v_mad_u64_u32 v[10:11], s[24:25], v4, s22, 0
	v_add3_u32 v11, v11, v9, v5
	v_lshlrev_b64 v[10:11], 3, v[10:11]
	v_add_co_u32_e32 v10, vcc, v3, v10
	v_addc_co_u32_e32 v11, vcc, v8, v11, vcc
	global_load_dwordx2 v[10:11], v[10:11], off
	s_load_dword s9, s[10:11], 0xc
	s_waitcnt lgkmcnt(0)
	s_and_b32 s9, s9, 0xffff
	v_mul_lo_u32 v4, v4, s9
	v_lshl_add_u32 v4, v4, 3, v7
	s_waitcnt vmcnt(0)
	ds_write_b64 v4, v[10:11]
	s_branch .LBB123_3
.LBB123_6:
	s_load_dword s2, s[10:11], 0xc
	s_mov_b64 s[0:1], src_shared_base
	s_mov_b32 s19, s1
	s_mov_b32 s23, 0
	s_waitcnt lgkmcnt(0)
	s_and_b32 s22, s2, 0xffff
	s_mov_b64 s[2:3], s[18:19]
.LBB123_7:
	s_mul_i32 s7, s7, s6
	v_add_u32_e32 v0, s7, v6
	v_mov_b32_e32 v1, 0
	v_cmp_gt_i64_e32 vcc, s[14:15], v[0:1]
	s_and_saveexec_b64 s[0:1], vcc
	s_cbranch_execz .LBB123_18
; %bb.8:
	v_mov_b32_e32 v3, v1
	v_cmp_gt_i64_e32 vcc, s[12:13], v[2:3]
	s_and_b64 exec, exec, vcc
	s_cbranch_execz .LBB123_18
; %bb.9:
	s_load_dwordx2 s[0:1], s[4:5], 0x58
	s_load_dwordx4 s[28:31], s[4:5], 0x48
	v_lshlrev_b32_e32 v7, 3, v2
	s_waitcnt lgkmcnt(0)
	s_mul_i32 s1, s8, s1
	s_mul_hi_u32 s4, s8, s0
	s_mul_i32 s0, s8, s0
	s_add_i32 s1, s4, s1
	s_lshl_b64 s[0:1], s[0:1], 3
	s_add_u32 s4, s26, s0
	s_addc_u32 s5, s27, s1
	s_lshl_b64 s[0:1], s[28:29], 3
	s_add_u32 s4, s4, s0
	s_addc_u32 s5, s5, s1
	v_mad_u64_u32 v[4:5], s[0:1], v0, s30, 0
	v_mov_b32_e32 v8, v5
	v_mad_u64_u32 v[0:1], s[0:1], v0, s31, v[8:9]
	v_mov_b32_e32 v5, v0
	v_lshlrev_b64 v[0:1], 3, v[4:5]
	v_mov_b32_e32 v4, s5
	v_add_co_u32_e32 v0, vcc, s4, v0
	v_addc_co_u32_e32 v1, vcc, v4, v1, vcc
	v_add_co_u32_e32 v0, vcc, v0, v7
	v_addc_co_u32_e32 v1, vcc, 0, v1, vcc
	global_load_dwordx2 v[4:5], v[0:1], off
	v_cmp_lt_u64_e64 s[0:1], s[12:13], 2
	s_and_b64 vcc, exec, s[0:1]
	s_waitcnt vmcnt(0)
	v_mul_f64 v[4:5], v[4:5], s[16:17]
	s_cbranch_vccnz .LBB123_17
; %bb.10:
	s_add_u32 s0, s12, -1
	s_addc_u32 s1, s13, -1
	s_mul_i32 s4, s22, s1
	s_mul_hi_u32 s5, s22, s0
	s_add_i32 s4, s5, s4
	s_mul_i32 s5, s23, s0
	s_add_i32 s5, s4, s5
	s_mul_i32 s4, s22, s0
	s_lshl_b64 s[4:5], s[4:5], 3
	s_add_u32 s2, s2, s4
	s_addc_u32 s3, s3, s5
	v_lshl_add_u32 v8, v6, 3, 0
	v_mov_b32_e32 v9, s3
	v_add_co_u32_e32 v6, vcc, s2, v7
	s_lshl_b64 s[2:3], s[22:23], 3
	s_sub_u32 s4, 0, s2
	s_subb_u32 s2, 0, s3
	v_addc_co_u32_e32 v7, vcc, 0, v9, vcc
	v_mov_b32_e32 v9, s2
.LBB123_11:                             ; =>This Inner Loop Header: Depth=1
	v_cmp_eq_u64_e32 vcc, s[0:1], v[2:3]
	s_barrier
	s_and_saveexec_b64 s[2:3], vcc
	s_cbranch_execz .LBB123_13
; %bb.12:                               ;   in Loop: Header=BB123_11 Depth=1
	ds_write_b64 v8, v[4:5]
.LBB123_13:                             ;   in Loop: Header=BB123_11 Depth=1
	s_or_b64 exec, exec, s[2:3]
	v_cmp_gt_i64_e32 vcc, s[0:1], v[2:3]
	s_waitcnt lgkmcnt(0)
	s_barrier
	s_and_saveexec_b64 s[2:3], vcc
	s_cbranch_execz .LBB123_15
; %bb.14:                               ;   in Loop: Header=BB123_11 Depth=1
	flat_load_dwordx2 v[10:11], v[6:7]
	ds_read_b64 v[12:13], v8
	s_waitcnt vmcnt(0) lgkmcnt(0)
	v_fma_f64 v[4:5], -v[10:11], v[12:13], v[4:5]
.LBB123_15:                             ;   in Loop: Header=BB123_11 Depth=1
	s_or_b64 exec, exec, s[2:3]
	s_add_u32 s2, s0, -1
	s_addc_u32 s3, s1, -1
	s_add_u32 s0, s0, 1
	s_addc_u32 s1, s1, 0
	v_add_co_u32_e32 v6, vcc, s4, v6
	v_addc_co_u32_e32 v7, vcc, v7, v9, vcc
	v_cmp_lt_u64_e64 s[0:1], s[0:1], 3
	s_and_b64 vcc, exec, s[0:1]
	s_cbranch_vccnz .LBB123_17
; %bb.16:                               ;   in Loop: Header=BB123_11 Depth=1
	s_mov_b64 s[0:1], s[2:3]
	s_branch .LBB123_11
.LBB123_17:
	global_store_dwordx2 v[0:1], v[4:5], off
.LBB123_18:
	s_endpgm
	.section	.rodata,"a",@progbits
	.p2align	6, 0x0
	.amdhsa_kernel _ZL40rocblas_trsm_block_backward_substitutionIddPKdPdLb1ELb1ELb1EEv18rocblas_operation_llT0_T1_lllT2_lllib
		.amdhsa_group_segment_fixed_size 0
		.amdhsa_private_segment_fixed_size 0
		.amdhsa_kernarg_size 360
		.amdhsa_user_sgpr_count 6
		.amdhsa_user_sgpr_private_segment_buffer 1
		.amdhsa_user_sgpr_dispatch_ptr 0
		.amdhsa_user_sgpr_queue_ptr 0
		.amdhsa_user_sgpr_kernarg_segment_ptr 1
		.amdhsa_user_sgpr_dispatch_id 0
		.amdhsa_user_sgpr_flat_scratch_init 0
		.amdhsa_user_sgpr_kernarg_preload_length 0
		.amdhsa_user_sgpr_kernarg_preload_offset 0
		.amdhsa_user_sgpr_private_segment_size 0
		.amdhsa_uses_dynamic_stack 0
		.amdhsa_system_sgpr_private_segment_wavefront_offset 0
		.amdhsa_system_sgpr_workgroup_id_x 1
		.amdhsa_system_sgpr_workgroup_id_y 1
		.amdhsa_system_sgpr_workgroup_id_z 1
		.amdhsa_system_sgpr_workgroup_info 0
		.amdhsa_system_vgpr_workitem_id 1
		.amdhsa_next_free_vgpr 14
		.amdhsa_next_free_sgpr 32
		.amdhsa_accum_offset 16
		.amdhsa_reserve_vcc 1
		.amdhsa_reserve_flat_scratch 0
		.amdhsa_float_round_mode_32 0
		.amdhsa_float_round_mode_16_64 0
		.amdhsa_float_denorm_mode_32 3
		.amdhsa_float_denorm_mode_16_64 3
		.amdhsa_dx10_clamp 1
		.amdhsa_ieee_mode 1
		.amdhsa_fp16_overflow 0
		.amdhsa_tg_split 0
		.amdhsa_exception_fp_ieee_invalid_op 0
		.amdhsa_exception_fp_denorm_src 0
		.amdhsa_exception_fp_ieee_div_zero 0
		.amdhsa_exception_fp_ieee_overflow 0
		.amdhsa_exception_fp_ieee_underflow 0
		.amdhsa_exception_fp_ieee_inexact 0
		.amdhsa_exception_int_div_zero 0
	.end_amdhsa_kernel
	.section	.text._ZL40rocblas_trsm_block_backward_substitutionIddPKdPdLb1ELb1ELb1EEv18rocblas_operation_llT0_T1_lllT2_lllib,"axG",@progbits,_ZL40rocblas_trsm_block_backward_substitutionIddPKdPdLb1ELb1ELb1EEv18rocblas_operation_llT0_T1_lllT2_lllib,comdat
.Lfunc_end123:
	.size	_ZL40rocblas_trsm_block_backward_substitutionIddPKdPdLb1ELb1ELb1EEv18rocblas_operation_llT0_T1_lllT2_lllib, .Lfunc_end123-_ZL40rocblas_trsm_block_backward_substitutionIddPKdPdLb1ELb1ELb1EEv18rocblas_operation_llT0_T1_lllT2_lllib
                                        ; -- End function
	.section	.AMDGPU.csdata,"",@progbits
; Kernel info:
; codeLenInByte = 796
; NumSgprs: 36
; NumVgprs: 14
; NumAgprs: 0
; TotalNumVgprs: 14
; ScratchSize: 0
; MemoryBound: 0
; FloatMode: 240
; IeeeMode: 1
; LDSByteSize: 0 bytes/workgroup (compile time only)
; SGPRBlocks: 4
; VGPRBlocks: 1
; NumSGPRsForWavesPerEU: 36
; NumVGPRsForWavesPerEU: 14
; AccumOffset: 16
; Occupancy: 8
; WaveLimiterHint : 1
; COMPUTE_PGM_RSRC2:SCRATCH_EN: 0
; COMPUTE_PGM_RSRC2:USER_SGPR: 6
; COMPUTE_PGM_RSRC2:TRAP_HANDLER: 0
; COMPUTE_PGM_RSRC2:TGID_X_EN: 1
; COMPUTE_PGM_RSRC2:TGID_Y_EN: 1
; COMPUTE_PGM_RSRC2:TGID_Z_EN: 1
; COMPUTE_PGM_RSRC2:TIDIG_COMP_CNT: 1
; COMPUTE_PGM_RSRC3_GFX90A:ACCUM_OFFSET: 3
; COMPUTE_PGM_RSRC3_GFX90A:TG_SPLIT: 0
	.section	.text._ZL39rocblas_trsm_block_forward_substitutionIddPKdPdLb1ELb0ELb0EEv18rocblas_operation_llT0_T1_lllT2_lllib,"axG",@progbits,_ZL39rocblas_trsm_block_forward_substitutionIddPKdPdLb1ELb0ELb0EEv18rocblas_operation_llT0_T1_lllT2_lllib,comdat
	.globl	_ZL39rocblas_trsm_block_forward_substitutionIddPKdPdLb1ELb0ELb0EEv18rocblas_operation_llT0_T1_lllT2_lllib ; -- Begin function _ZL39rocblas_trsm_block_forward_substitutionIddPKdPdLb1ELb0ELb0EEv18rocblas_operation_llT0_T1_lllT2_lllib
	.p2align	8
	.type	_ZL39rocblas_trsm_block_forward_substitutionIddPKdPdLb1ELb0ELb0EEv18rocblas_operation_llT0_T1_lllT2_lllib,@function
_ZL39rocblas_trsm_block_forward_substitutionIddPKdPdLb1ELb0ELb0EEv18rocblas_operation_llT0_T1_lllT2_lllib: ; @_ZL39rocblas_trsm_block_forward_substitutionIddPKdPdLb1ELb0ELb0EEv18rocblas_operation_llT0_T1_lllT2_lllib
; %bb.0:
	s_load_dwordx16 s[12:27], s[4:5], 0x8
	s_load_dword s9, s[4:5], 0x64
	s_load_dword s6, s[4:5], 0x74
	v_and_b32_e32 v2, 0x3ff, v0
	v_bfe_u32 v10, v0, 10, 10
	s_waitcnt lgkmcnt(0)
	s_mul_i32 s2, s8, s25
	s_bitcmp1_b32 s9, 0
	s_mul_hi_u32 s3, s8, s24
	s_cselect_b64 s[0:1], -1, 0
	s_add_i32 s3, s3, s2
	s_mul_i32 s2, s8, s24
	s_lshl_b64 s[2:3], s[2:3], 3
	s_add_u32 s18, s18, s2
	s_addc_u32 s19, s19, s3
	s_lshl_b64 s[2:3], s[20:21], 3
	s_add_u32 s2, s18, s2
	s_addc_u32 s3, s19, s3
	s_add_u32 s20, s4, 0x68
	s_addc_u32 s21, s5, 0
	s_lshr_b32 s6, s6, 16
	s_bitcmp0_b32 s9, 0
	s_mov_b64 s[18:19], 1
	s_cbranch_scc1 .LBB124_12
; %bb.1:
	s_lshl_b32 s9, s6, 3
	v_cmp_lt_i64_e64 s[18:19], s[12:13], 1
	s_add_i32 s24, s9, 0
	s_mov_b64 s[10:11], 1
	s_and_b64 vcc, exec, s[18:19]
	s_cbranch_vccnz .LBB124_13
; %bb.2:
	v_mad_u64_u32 v[0:1], s[18:19], v2, s22, 0
	v_mov_b32_e32 v4, v1
	v_mad_u64_u32 v[4:5], s[18:19], v2, s23, v[4:5]
	v_mov_b32_e32 v1, v4
	v_mov_b32_e32 v3, 0
	v_lshlrev_b64 v[0:1], 3, v[0:1]
	v_cmp_le_u64_e32 vcc, s[12:13], v[2:3]
	v_mov_b32_e32 v4, s3
	v_add_co_u32_e64 v3, s[2:3], s2, v0
	v_lshlrev_b32_e32 v6, 3, v2
	v_addc_co_u32_e64 v12, s[2:3], v4, v1, s[2:3]
	v_add_co_u32_e64 v0, s[2:3], v3, v6
	v_addc_co_u32_e64 v1, s[2:3], 0, v12, s[2:3]
	v_add_u32_e32 v11, s24, v6
	s_xor_b64 s[2:3], vcc, -1
	v_pk_mov_b32 v[4:5], s[12:13], s[12:13] op_sel:[0,1]
	s_mov_b32 s18, s6
	v_mov_b32_e32 v6, v10
	s_branch .LBB124_4
.LBB124_3:                              ;   in Loop: Header=BB124_4 Depth=1
	s_or_b64 exec, exec, s[28:29]
	s_ashr_i32 s19, s18, 31
	v_cmp_ge_i64_e32 vcc, s[18:19], v[4:5]
	v_add_u32_e32 v6, s6, v6
	s_add_i32 s18, s18, s6
	s_cbranch_vccnz .LBB124_13
.LBB124_4:                              ; =>This Inner Loop Header: Depth=1
	v_cmp_gt_i32_e32 vcc, v2, v6
	s_and_b64 s[28:29], s[2:3], vcc
	s_mov_b64 s[22:23], 0
                                        ; implicit-def: $vgpr8_vgpr9
	s_and_saveexec_b64 s[30:31], s[28:29]
	s_xor_b64 s[28:29], exec, s[30:31]
	s_cbranch_execnz .LBB124_7
; %bb.5:                                ;   in Loop: Header=BB124_4 Depth=1
	s_or_saveexec_b64 s[28:29], s[28:29]
	v_mov_b32_e32 v7, v6
	s_xor_b64 exec, exec, s[28:29]
	s_cbranch_execnz .LBB124_8
.LBB124_6:                              ;   in Loop: Header=BB124_4 Depth=1
	s_or_b64 exec, exec, s[28:29]
	s_and_saveexec_b64 s[28:29], s[22:23]
	s_cbranch_execz .LBB124_3
	s_branch .LBB124_11
.LBB124_7:                              ;   in Loop: Header=BB124_4 Depth=1
	v_ashrrev_i32_e32 v7, 31, v6
	s_waitcnt vmcnt(0)
	v_lshlrev_b64 v[8:9], 3, v[6:7]
	v_add_co_u32_e32 v8, vcc, v3, v8
	v_addc_co_u32_e32 v9, vcc, v12, v9, vcc
	global_load_dwordx2 v[8:9], v[8:9], off
	s_mov_b64 s[22:23], exec
	s_or_saveexec_b64 s[28:29], s[28:29]
	v_mov_b32_e32 v7, v6
	s_xor_b64 exec, exec, s[28:29]
	s_cbranch_execz .LBB124_6
.LBB124_8:                              ;   in Loop: Header=BB124_4 Depth=1
	v_cmp_eq_u32_e32 vcc, v2, v6
	s_and_b64 s[36:37], s[2:3], vcc
	s_mov_b64 s[34:35], s[22:23]
                                        ; implicit-def: $vgpr8_vgpr9
	s_and_saveexec_b64 s[30:31], s[36:37]
	s_cbranch_execz .LBB124_10
; %bb.9:                                ;   in Loop: Header=BB124_4 Depth=1
	global_load_dwordx2 v[8:9], v[0:1], off
	s_waitcnt vmcnt(0)
	v_div_scale_f64 v[14:15], s[34:35], v[8:9], v[8:9], 1.0
	v_rcp_f64_e32 v[16:17], v[14:15]
	v_div_scale_f64 v[18:19], vcc, 1.0, v[8:9], 1.0
	s_or_b64 s[34:35], s[22:23], exec
	v_fma_f64 v[20:21], -v[14:15], v[16:17], 1.0
	v_fmac_f64_e32 v[16:17], v[16:17], v[20:21]
	v_fma_f64 v[20:21], -v[14:15], v[16:17], 1.0
	v_fmac_f64_e32 v[16:17], v[16:17], v[20:21]
	v_mul_f64 v[20:21], v[18:19], v[16:17]
	v_fma_f64 v[14:15], -v[14:15], v[20:21], v[18:19]
	v_div_fmas_f64 v[14:15], v[14:15], v[16:17], v[20:21]
	v_div_fixup_f64 v[8:9], v[14:15], v[8:9], 1.0
.LBB124_10:                             ;   in Loop: Header=BB124_4 Depth=1
	s_or_b64 exec, exec, s[30:31]
	s_andn2_b64 s[22:23], s[22:23], exec
	s_and_b64 s[30:31], s[34:35], exec
	s_or_b64 s[22:23], s[22:23], s[30:31]
	v_mov_b32_e32 v7, v2
	s_or_b64 exec, exec, s[28:29]
	s_and_saveexec_b64 s[28:29], s[22:23]
	s_cbranch_execz .LBB124_3
.LBB124_11:                             ;   in Loop: Header=BB124_4 Depth=1
	s_load_dword s9, s[20:21], 0xc
	s_waitcnt lgkmcnt(0)
	s_and_b32 s9, s9, 0xffff
	v_mul_lo_u32 v7, v7, s9
	v_lshl_add_u32 v7, v7, 3, v11
	s_waitcnt vmcnt(0)
	ds_write_b64 v7, v[8:9]
	s_branch .LBB124_3
.LBB124_12:
	s_mov_b32 s10, s22
	s_mov_b32 s11, s23
	s_branch .LBB124_14
.LBB124_13:
	s_load_dword s9, s[20:21], 0xc
	s_mov_b64 s[2:3], src_shared_base
	s_mov_b32 s25, s3
	s_mov_b32 s19, 0
	s_mov_b64 s[2:3], s[24:25]
	s_waitcnt lgkmcnt(0)
	s_and_b32 s18, s9, 0xffff
.LBB124_14:
	s_mul_i32 s7, s7, s6
	v_add_u32_e32 v0, s7, v10
	v_mov_b32_e32 v1, 0
	v_cmp_gt_i64_e32 vcc, s[14:15], v[0:1]
	s_and_saveexec_b64 s[6:7], vcc
	s_cbranch_execz .LBB124_26
; %bb.15:
	v_mov_b32_e32 v3, v1
	v_cmp_gt_i64_e32 vcc, s[12:13], v[2:3]
	s_and_b64 exec, exec, vcc
	s_cbranch_execz .LBB124_26
; %bb.16:
	s_load_dwordx2 s[6:7], s[4:5], 0x58
	s_load_dwordx4 s[20:23], s[4:5], 0x48
	s_waitcnt lgkmcnt(0)
	s_mul_i32 s5, s8, s7
	s_mul_hi_u32 s7, s8, s6
	s_mul_i32 s4, s8, s6
	s_add_i32 s5, s7, s5
	s_lshl_b64 s[4:5], s[4:5], 3
	s_add_u32 s6, s26, s4
	s_addc_u32 s7, s27, s5
	s_lshl_b64 s[4:5], s[20:21], 3
	s_add_u32 s6, s6, s4
	s_addc_u32 s7, s7, s5
	v_mad_u64_u32 v[4:5], s[4:5], v0, s22, 0
	v_mov_b32_e32 v6, v5
	v_mad_u64_u32 v[0:1], s[4:5], v0, s23, v[6:7]
	v_mov_b32_e32 v5, v0
	v_lshlrev_b64 v[0:1], 3, v[4:5]
	v_mov_b32_e32 v4, s7
	v_add_co_u32_e32 v0, vcc, s6, v0
	v_addc_co_u32_e32 v1, vcc, v4, v1, vcc
	v_lshlrev_b32_e32 v4, 3, v2
	v_add_co_u32_e32 v0, vcc, v0, v4
	v_addc_co_u32_e32 v1, vcc, 0, v1, vcc
	global_load_dwordx2 v[4:5], v[0:1], off
	v_cmp_lt_u64_e64 s[6:7], s[12:13], 2
	s_add_u32 s4, s12, -1
	s_addc_u32 s5, s13, -1
	s_and_b64 vcc, exec, s[6:7]
	s_waitcnt vmcnt(0)
	v_mul_f64 v[4:5], v[4:5], s[16:17]
	s_cbranch_vccnz .LBB124_23
; %bb.17:
	s_add_u32 s6, s18, s10
	v_mad_u64_u32 v[6:7], s[6:7], s6, v2, 0
	s_addc_u32 s8, s19, s11
	v_mov_b32_e32 v8, v7
	v_mad_u64_u32 v[8:9], s[6:7], s8, v2, v[8:9]
	v_mov_b32_e32 v7, v8
	v_mad_u64_u32 v[8:9], s[6:7], s10, v2, 0
	v_mov_b32_e32 v12, v9
	v_lshlrev_b64 v[6:7], 3, v[6:7]
	v_mad_u64_u32 v[12:13], s[6:7], s11, v2, v[12:13]
	v_mov_b32_e32 v11, s3
	v_add_co_u32_e32 v6, vcc, s2, v6
	v_mov_b32_e32 v9, v12
	v_addc_co_u32_e32 v7, vcc, v11, v7, vcc
	v_lshlrev_b64 v[8:9], 3, v[8:9]
	v_add_co_u32_e32 v8, vcc, s2, v8
	s_mov_b32 s12, 0
	v_lshl_add_u32 v10, v10, 3, 0
	v_addc_co_u32_e32 v9, vcc, v11, v9, vcc
	s_lshl_b32 s13, s18, 3
	s_mov_b64 s[6:7], 0
	s_branch .LBB124_19
.LBB124_18:                             ;   in Loop: Header=BB124_19 Depth=1
	s_or_b64 exec, exec, s[8:9]
	s_add_u32 s6, s6, 1
	s_addc_u32 s7, s7, 0
	v_mov_b32_e32 v11, s12
	v_add_co_u32_e32 v8, vcc, s13, v8
	s_cmp_eq_u64 s[4:5], s[6:7]
	v_addc_co_u32_e32 v9, vcc, v9, v11, vcc
	s_cbranch_scc1 .LBB124_23
.LBB124_19:                             ; =>This Inner Loop Header: Depth=1
	v_cmp_eq_u64_e32 vcc, s[6:7], v[2:3]
	s_barrier
	s_and_saveexec_b64 s[8:9], vcc
	s_cbranch_execz .LBB124_21
; %bb.20:                               ;   in Loop: Header=BB124_19 Depth=1
	flat_load_dwordx2 v[12:13], v[6:7]
	s_waitcnt vmcnt(0) lgkmcnt(0)
	v_div_scale_f64 v[14:15], s[14:15], v[12:13], v[12:13], 1.0
	v_rcp_f64_e32 v[16:17], v[14:15]
	v_div_scale_f64 v[18:19], vcc, 1.0, v[12:13], 1.0
	v_fma_f64 v[20:21], -v[14:15], v[16:17], 1.0
	v_fmac_f64_e32 v[16:17], v[16:17], v[20:21]
	v_fma_f64 v[20:21], -v[14:15], v[16:17], 1.0
	v_fmac_f64_e32 v[16:17], v[16:17], v[20:21]
	v_mul_f64 v[20:21], v[18:19], v[16:17]
	v_fma_f64 v[14:15], -v[14:15], v[20:21], v[18:19]
	v_div_fmas_f64 v[14:15], v[14:15], v[16:17], v[20:21]
	v_div_fixup_f64 v[14:15], v[14:15], v[12:13], 1.0
	v_cndmask_b32_e64 v13, v15, v13, s[0:1]
	v_cndmask_b32_e64 v12, v14, v12, s[0:1]
	v_mul_f64 v[4:5], v[4:5], v[12:13]
	ds_write_b64 v10, v[4:5]
.LBB124_21:                             ;   in Loop: Header=BB124_19 Depth=1
	s_or_b64 exec, exec, s[8:9]
	v_cmp_lt_u64_e32 vcc, s[6:7], v[2:3]
	s_waitcnt lgkmcnt(0)
	s_barrier
	s_and_saveexec_b64 s[8:9], vcc
	s_cbranch_execz .LBB124_18
; %bb.22:                               ;   in Loop: Header=BB124_19 Depth=1
	flat_load_dwordx2 v[12:13], v[8:9]
	ds_read_b64 v[14:15], v10
	s_waitcnt vmcnt(0) lgkmcnt(0)
	v_fma_f64 v[4:5], -v[12:13], v[14:15], v[4:5]
	s_branch .LBB124_18
.LBB124_23:
	v_cmp_eq_u64_e32 vcc, s[4:5], v[2:3]
	s_and_saveexec_b64 s[4:5], vcc
	s_cbranch_execz .LBB124_25
; %bb.24:
	s_add_u32 s6, s18, s10
	v_mad_u64_u32 v[6:7], s[6:7], s6, v2, 0
	s_addc_u32 s8, s19, s11
	v_mov_b32_e32 v8, v7
	v_mad_u64_u32 v[2:3], s[6:7], s8, v2, v[8:9]
	v_mov_b32_e32 v7, v2
	v_lshlrev_b64 v[2:3], 3, v[6:7]
	v_mov_b32_e32 v6, s3
	v_add_co_u32_e32 v2, vcc, s2, v2
	v_addc_co_u32_e32 v3, vcc, v6, v3, vcc
	flat_load_dwordx2 v[2:3], v[2:3]
	s_waitcnt vmcnt(0) lgkmcnt(0)
	v_div_scale_f64 v[6:7], s[2:3], v[2:3], v[2:3], 1.0
	v_rcp_f64_e32 v[8:9], v[6:7]
	v_div_scale_f64 v[10:11], vcc, 1.0, v[2:3], 1.0
	v_fma_f64 v[12:13], -v[6:7], v[8:9], 1.0
	v_fmac_f64_e32 v[8:9], v[8:9], v[12:13]
	v_fma_f64 v[12:13], -v[6:7], v[8:9], 1.0
	v_fmac_f64_e32 v[8:9], v[8:9], v[12:13]
	v_mul_f64 v[12:13], v[10:11], v[8:9]
	v_fma_f64 v[6:7], -v[6:7], v[12:13], v[10:11]
	v_div_fmas_f64 v[6:7], v[6:7], v[8:9], v[12:13]
	v_div_fixup_f64 v[6:7], v[6:7], v[2:3], 1.0
	v_cndmask_b32_e64 v3, v7, v3, s[0:1]
	v_cndmask_b32_e64 v2, v6, v2, s[0:1]
	v_mul_f64 v[4:5], v[4:5], v[2:3]
.LBB124_25:
	s_or_b64 exec, exec, s[4:5]
	global_store_dwordx2 v[0:1], v[4:5], off
.LBB124_26:
	s_endpgm
	.section	.rodata,"a",@progbits
	.p2align	6, 0x0
	.amdhsa_kernel _ZL39rocblas_trsm_block_forward_substitutionIddPKdPdLb1ELb0ELb0EEv18rocblas_operation_llT0_T1_lllT2_lllib
		.amdhsa_group_segment_fixed_size 0
		.amdhsa_private_segment_fixed_size 0
		.amdhsa_kernarg_size 360
		.amdhsa_user_sgpr_count 6
		.amdhsa_user_sgpr_private_segment_buffer 1
		.amdhsa_user_sgpr_dispatch_ptr 0
		.amdhsa_user_sgpr_queue_ptr 0
		.amdhsa_user_sgpr_kernarg_segment_ptr 1
		.amdhsa_user_sgpr_dispatch_id 0
		.amdhsa_user_sgpr_flat_scratch_init 0
		.amdhsa_user_sgpr_kernarg_preload_length 0
		.amdhsa_user_sgpr_kernarg_preload_offset 0
		.amdhsa_user_sgpr_private_segment_size 0
		.amdhsa_uses_dynamic_stack 0
		.amdhsa_system_sgpr_private_segment_wavefront_offset 0
		.amdhsa_system_sgpr_workgroup_id_x 1
		.amdhsa_system_sgpr_workgroup_id_y 1
		.amdhsa_system_sgpr_workgroup_id_z 1
		.amdhsa_system_sgpr_workgroup_info 0
		.amdhsa_system_vgpr_workitem_id 1
		.amdhsa_next_free_vgpr 22
		.amdhsa_next_free_sgpr 38
		.amdhsa_accum_offset 24
		.amdhsa_reserve_vcc 1
		.amdhsa_reserve_flat_scratch 0
		.amdhsa_float_round_mode_32 0
		.amdhsa_float_round_mode_16_64 0
		.amdhsa_float_denorm_mode_32 3
		.amdhsa_float_denorm_mode_16_64 3
		.amdhsa_dx10_clamp 1
		.amdhsa_ieee_mode 1
		.amdhsa_fp16_overflow 0
		.amdhsa_tg_split 0
		.amdhsa_exception_fp_ieee_invalid_op 0
		.amdhsa_exception_fp_denorm_src 0
		.amdhsa_exception_fp_ieee_div_zero 0
		.amdhsa_exception_fp_ieee_overflow 0
		.amdhsa_exception_fp_ieee_underflow 0
		.amdhsa_exception_fp_ieee_inexact 0
		.amdhsa_exception_int_div_zero 0
	.end_amdhsa_kernel
	.section	.text._ZL39rocblas_trsm_block_forward_substitutionIddPKdPdLb1ELb0ELb0EEv18rocblas_operation_llT0_T1_lllT2_lllib,"axG",@progbits,_ZL39rocblas_trsm_block_forward_substitutionIddPKdPdLb1ELb0ELb0EEv18rocblas_operation_llT0_T1_lllT2_lllib,comdat
.Lfunc_end124:
	.size	_ZL39rocblas_trsm_block_forward_substitutionIddPKdPdLb1ELb0ELb0EEv18rocblas_operation_llT0_T1_lllT2_lllib, .Lfunc_end124-_ZL39rocblas_trsm_block_forward_substitutionIddPKdPdLb1ELb0ELb0EEv18rocblas_operation_llT0_T1_lllT2_lllib
                                        ; -- End function
	.section	.AMDGPU.csdata,"",@progbits
; Kernel info:
; codeLenInByte = 1364
; NumSgprs: 42
; NumVgprs: 22
; NumAgprs: 0
; TotalNumVgprs: 22
; ScratchSize: 0
; MemoryBound: 1
; FloatMode: 240
; IeeeMode: 1
; LDSByteSize: 0 bytes/workgroup (compile time only)
; SGPRBlocks: 5
; VGPRBlocks: 2
; NumSGPRsForWavesPerEU: 42
; NumVGPRsForWavesPerEU: 22
; AccumOffset: 24
; Occupancy: 8
; WaveLimiterHint : 1
; COMPUTE_PGM_RSRC2:SCRATCH_EN: 0
; COMPUTE_PGM_RSRC2:USER_SGPR: 6
; COMPUTE_PGM_RSRC2:TRAP_HANDLER: 0
; COMPUTE_PGM_RSRC2:TGID_X_EN: 1
; COMPUTE_PGM_RSRC2:TGID_Y_EN: 1
; COMPUTE_PGM_RSRC2:TGID_Z_EN: 1
; COMPUTE_PGM_RSRC2:TIDIG_COMP_CNT: 1
; COMPUTE_PGM_RSRC3_GFX90A:ACCUM_OFFSET: 5
; COMPUTE_PGM_RSRC3_GFX90A:TG_SPLIT: 0
	.section	.text._ZL40rocblas_trsm_block_backward_substitutionIddPKdPdLb1ELb0ELb0EEv18rocblas_operation_llT0_T1_lllT2_lllib,"axG",@progbits,_ZL40rocblas_trsm_block_backward_substitutionIddPKdPdLb1ELb0ELb0EEv18rocblas_operation_llT0_T1_lllT2_lllib,comdat
	.globl	_ZL40rocblas_trsm_block_backward_substitutionIddPKdPdLb1ELb0ELb0EEv18rocblas_operation_llT0_T1_lllT2_lllib ; -- Begin function _ZL40rocblas_trsm_block_backward_substitutionIddPKdPdLb1ELb0ELb0EEv18rocblas_operation_llT0_T1_lllT2_lllib
	.p2align	8
	.type	_ZL40rocblas_trsm_block_backward_substitutionIddPKdPdLb1ELb0ELb0EEv18rocblas_operation_llT0_T1_lllT2_lllib,@function
_ZL40rocblas_trsm_block_backward_substitutionIddPKdPdLb1ELb0ELb0EEv18rocblas_operation_llT0_T1_lllT2_lllib: ; @_ZL40rocblas_trsm_block_backward_substitutionIddPKdPdLb1ELb0ELb0EEv18rocblas_operation_llT0_T1_lllT2_lllib
; %bb.0:
	s_load_dword s9, s[4:5], 0x64
	s_load_dwordx16 s[12:27], s[4:5], 0x8
	s_load_dword s6, s[4:5], 0x74
	v_and_b32_e32 v2, 0x3ff, v0
	v_bfe_u32 v8, v0, 10, 10
	s_waitcnt lgkmcnt(0)
	s_bitcmp1_b32 s9, 0
	s_mul_i32 s2, s8, s25
	s_mul_hi_u32 s3, s8, s24
	s_cselect_b64 s[0:1], -1, 0
	s_add_i32 s3, s3, s2
	s_mul_i32 s2, s8, s24
	s_lshl_b64 s[2:3], s[2:3], 3
	s_add_u32 s10, s18, s2
	s_addc_u32 s11, s19, s3
	s_lshl_b64 s[2:3], s[20:21], 3
	s_add_u32 s10, s10, s2
	s_addc_u32 s11, s11, s3
	s_add_u32 s18, s4, 0x68
	s_addc_u32 s19, s5, 0
	s_lshr_b32 s6, s6, 16
	s_bitcmp0_b32 s9, 0
	s_cbranch_scc1 .LBB125_15
; %bb.1:
	s_lshl_b32 s2, s6, 3
	s_add_i32 s20, s2, 0
	v_cmp_lt_i64_e64 s[2:3], s[12:13], 1
	s_and_b64 vcc, exec, s[2:3]
	s_cbranch_vccnz .LBB125_14
; %bb.2:
	v_lshlrev_b32_e32 v0, 3, v2
	v_mov_b32_e32 v3, 0
	v_cmp_le_u64_e64 s[24:25], s[12:13], v[2:3]
	v_cmp_gt_u64_e64 s[2:3], s[12:13], v[2:3]
	v_mov_b32_e32 v1, s11
	v_add_co_u32_e32 v3, vcc, s10, v0
	v_add_u32_e32 v9, s20, v0
	v_addc_co_u32_e32 v10, vcc, 0, v1, vcc
	v_mad_u64_u32 v[0:1], s[10:11], v2, s22, 0
	v_mov_b32_e32 v4, v1
	v_mad_u64_u32 v[4:5], s[10:11], v2, s23, v[4:5]
	v_mov_b32_e32 v1, v4
	v_lshlrev_b64 v[0:1], 3, v[0:1]
	v_add_co_u32_e32 v0, vcc, v3, v0
	v_addc_co_u32_e32 v1, vcc, v10, v1, vcc
	s_xor_b64 s[28:29], s[24:25], -1
	s_mov_b32 s30, s6
	v_mov_b32_e32 v4, v8
	s_branch .LBB125_4
.LBB125_3:                              ;   in Loop: Header=BB125_4 Depth=1
	s_or_b64 exec, exec, s[34:35]
	s_ashr_i32 s31, s30, 31
	s_waitcnt vmcnt(0)
	v_pk_mov_b32 v[6:7], s[12:13], s[12:13] op_sel:[0,1]
	v_cmp_ge_i64_e32 vcc, s[30:31], v[6:7]
	v_add_u32_e32 v4, s6, v4
	s_add_i32 s30, s30, s6
	s_cbranch_vccnz .LBB125_14
.LBB125_4:                              ; =>This Inner Loop Header: Depth=1
	s_mov_b64 s[10:11], 0
	s_mov_b64 s[36:37], s[24:25]
                                        ; implicit-def: $vgpr6_vgpr7
                                        ; implicit-def: $vgpr5
	s_and_saveexec_b64 s[34:35], s[2:3]
	s_cbranch_execnz .LBB125_7
; %bb.5:                                ;   in Loop: Header=BB125_4 Depth=1
	s_or_b64 exec, exec, s[34:35]
	s_and_saveexec_b64 s[34:35], s[36:37]
	s_cbranch_execnz .LBB125_10
.LBB125_6:                              ;   in Loop: Header=BB125_4 Depth=1
	s_or_b64 exec, exec, s[34:35]
	s_and_saveexec_b64 s[34:35], s[10:11]
	s_cbranch_execz .LBB125_3
	s_branch .LBB125_13
.LBB125_7:                              ;   in Loop: Header=BB125_4 Depth=1
	v_ashrrev_i32_e32 v5, 31, v4
	v_cmp_gt_i64_e32 vcc, s[12:13], v[4:5]
	v_cmp_lt_i32_e64 s[10:11], v2, v4
	s_and_b64 s[40:41], s[10:11], vcc
	s_mov_b64 s[38:39], -1
	s_mov_b64 s[10:11], 0
                                        ; implicit-def: $vgpr6_vgpr7
	s_and_saveexec_b64 s[36:37], s[40:41]
	s_cbranch_execz .LBB125_9
; %bb.8:                                ;   in Loop: Header=BB125_4 Depth=1
	v_mul_lo_u32 v5, v5, s22
	v_mul_lo_u32 v11, v4, s23
	v_mad_u64_u32 v[6:7], s[38:39], v4, s22, 0
	v_add3_u32 v7, v7, v11, v5
	v_lshlrev_b64 v[6:7], 3, v[6:7]
	v_add_co_u32_e32 v6, vcc, v3, v6
	v_addc_co_u32_e32 v7, vcc, v10, v7, vcc
	global_load_dwordx2 v[6:7], v[6:7], off
	s_mov_b64 s[10:11], exec
	s_xor_b64 s[38:39], exec, -1
.LBB125_9:                              ;   in Loop: Header=BB125_4 Depth=1
	s_or_b64 exec, exec, s[36:37]
	s_andn2_b64 s[36:37], s[24:25], exec
	s_and_b64 s[38:39], s[38:39], exec
	s_and_b64 s[10:11], s[10:11], exec
	s_or_b64 s[36:37], s[36:37], s[38:39]
	v_mov_b32_e32 v5, v4
	s_or_b64 exec, exec, s[34:35]
	s_and_saveexec_b64 s[34:35], s[36:37]
	s_cbranch_execz .LBB125_6
.LBB125_10:                             ;   in Loop: Header=BB125_4 Depth=1
	v_cmp_eq_u32_e32 vcc, v2, v4
	s_and_b64 s[40:41], s[28:29], vcc
	s_mov_b64 s[38:39], s[10:11]
                                        ; implicit-def: $vgpr6_vgpr7
	s_and_saveexec_b64 s[36:37], s[40:41]
	s_cbranch_execz .LBB125_12
; %bb.11:                               ;   in Loop: Header=BB125_4 Depth=1
	global_load_dwordx2 v[6:7], v[0:1], off
	s_waitcnt vmcnt(0)
	v_div_scale_f64 v[12:13], s[38:39], v[6:7], v[6:7], 1.0
	v_rcp_f64_e32 v[14:15], v[12:13]
	v_div_scale_f64 v[16:17], vcc, 1.0, v[6:7], 1.0
	s_or_b64 s[38:39], s[10:11], exec
	v_fma_f64 v[18:19], -v[12:13], v[14:15], 1.0
	v_fmac_f64_e32 v[14:15], v[14:15], v[18:19]
	v_fma_f64 v[18:19], -v[12:13], v[14:15], 1.0
	v_fmac_f64_e32 v[14:15], v[14:15], v[18:19]
	v_mul_f64 v[18:19], v[16:17], v[14:15]
	v_fma_f64 v[12:13], -v[12:13], v[18:19], v[16:17]
	v_div_fmas_f64 v[12:13], v[12:13], v[14:15], v[18:19]
	v_div_fixup_f64 v[6:7], v[12:13], v[6:7], 1.0
.LBB125_12:                             ;   in Loop: Header=BB125_4 Depth=1
	s_or_b64 exec, exec, s[36:37]
	s_andn2_b64 s[10:11], s[10:11], exec
	s_and_b64 s[36:37], s[38:39], exec
	s_or_b64 s[10:11], s[10:11], s[36:37]
	v_mov_b32_e32 v5, v2
	s_or_b64 exec, exec, s[34:35]
	s_and_saveexec_b64 s[34:35], s[10:11]
	s_cbranch_execz .LBB125_3
.LBB125_13:                             ;   in Loop: Header=BB125_4 Depth=1
	s_load_dword s9, s[18:19], 0xc
	s_waitcnt lgkmcnt(0)
	s_and_b32 s9, s9, 0xffff
	v_mul_lo_u32 v5, v5, s9
	v_lshl_add_u32 v5, v5, 3, v9
	s_waitcnt vmcnt(0)
	ds_write_b64 v5, v[6:7]
	s_branch .LBB125_3
.LBB125_14:
	s_load_dword s9, s[18:19], 0xc
	s_mov_b64 s[2:3], src_shared_base
	s_mov_b32 s21, s3
	s_mov_b32 s23, 0
	s_mov_b64 s[10:11], s[20:21]
	s_waitcnt lgkmcnt(0)
	s_and_b32 s22, s9, 0xffff
.LBB125_15:
	s_mul_i32 s7, s7, s6
	v_add_u32_e32 v0, s7, v8
	v_mov_b32_e32 v1, 0
	v_cmp_gt_i64_e32 vcc, s[14:15], v[0:1]
	s_and_saveexec_b64 s[2:3], vcc
	s_cbranch_execz .LBB125_28
; %bb.16:
	v_mov_b32_e32 v3, v1
	v_cmp_gt_i64_e32 vcc, s[12:13], v[2:3]
	s_and_b64 exec, exec, vcc
	s_cbranch_execz .LBB125_28
; %bb.17:
	s_load_dwordx2 s[2:3], s[4:5], 0x58
	s_load_dwordx4 s[28:31], s[4:5], 0x48
	v_lshlrev_b64 v[0:1], 3, v[0:1]
	s_waitcnt lgkmcnt(0)
	s_mul_i32 s3, s8, s3
	s_mul_hi_u32 s4, s8, s2
	s_mul_i32 s2, s8, s2
	s_add_i32 s3, s4, s3
	s_lshl_b64 s[2:3], s[2:3], 3
	s_add_u32 s4, s26, s2
	s_addc_u32 s5, s27, s3
	s_lshl_b64 s[2:3], s[28:29], 3
	s_add_u32 s4, s4, s2
	s_addc_u32 s5, s5, s3
	v_mad_u64_u32 v[4:5], s[2:3], v2, s30, 0
	v_mov_b32_e32 v6, v5
	v_mad_u64_u32 v[6:7], s[2:3], v2, s31, v[6:7]
	v_mov_b32_e32 v5, v6
	v_lshlrev_b64 v[4:5], 3, v[4:5]
	v_mov_b32_e32 v6, s5
	v_add_co_u32_e32 v4, vcc, s4, v4
	v_addc_co_u32_e32 v5, vcc, v6, v5, vcc
	v_add_co_u32_e32 v0, vcc, v4, v0
	v_addc_co_u32_e32 v1, vcc, v5, v1, vcc
	global_load_dwordx2 v[4:5], v[0:1], off
	v_cmp_lt_u64_e64 s[2:3], s[12:13], 2
	s_and_b64 vcc, exec, s[2:3]
	s_waitcnt vmcnt(0)
	v_mul_f64 v[4:5], v[4:5], s[16:17]
	s_cbranch_vccnz .LBB125_25
; %bb.18:
	v_mad_u64_u32 v[6:7], s[2:3], v2, s22, v[2:3]
	v_mov_b32_e32 v10, v7
	v_mad_u64_u32 v[10:11], s[2:3], v2, s23, v[10:11]
	s_add_u32 s2, s12, -1
	s_addc_u32 s3, s13, -1
	s_mul_i32 s4, s22, s3
	s_mul_hi_u32 s5, s22, s2
	s_add_i32 s4, s5, s4
	s_mul_i32 s5, s23, s2
	v_mov_b32_e32 v7, v10
	s_add_i32 s5, s4, s5
	s_mul_i32 s4, s22, s2
	v_lshlrev_b64 v[6:7], 3, v[6:7]
	s_lshl_b64 s[4:5], s[4:5], 3
	v_mov_b32_e32 v9, s11
	v_add_co_u32_e32 v6, vcc, s10, v6
	s_add_u32 s4, s10, s4
	v_addc_co_u32_e32 v7, vcc, v9, v7, vcc
	v_lshl_add_u32 v10, v8, 3, 0
	v_lshlrev_b32_e32 v8, 3, v2
	s_addc_u32 s5, s11, s5
	v_mov_b32_e32 v9, s5
	v_add_co_u32_e32 v8, vcc, s4, v8
	s_lshl_b64 s[4:5], s[22:23], 3
	s_sub_u32 s6, 0, s4
	s_subb_u32 s4, 0, s5
	v_addc_co_u32_e32 v9, vcc, 0, v9, vcc
	v_mov_b32_e32 v11, s4
.LBB125_19:                             ; =>This Inner Loop Header: Depth=1
	v_cmp_eq_u64_e32 vcc, s[2:3], v[2:3]
	s_barrier
	s_and_saveexec_b64 s[4:5], vcc
	s_cbranch_execz .LBB125_21
; %bb.20:                               ;   in Loop: Header=BB125_19 Depth=1
	flat_load_dwordx2 v[12:13], v[6:7]
	s_waitcnt vmcnt(0) lgkmcnt(0)
	v_div_scale_f64 v[14:15], s[8:9], v[12:13], v[12:13], 1.0
	v_rcp_f64_e32 v[16:17], v[14:15]
	v_div_scale_f64 v[18:19], vcc, 1.0, v[12:13], 1.0
	v_fma_f64 v[20:21], -v[14:15], v[16:17], 1.0
	v_fmac_f64_e32 v[16:17], v[16:17], v[20:21]
	v_fma_f64 v[20:21], -v[14:15], v[16:17], 1.0
	v_fmac_f64_e32 v[16:17], v[16:17], v[20:21]
	v_mul_f64 v[20:21], v[18:19], v[16:17]
	v_fma_f64 v[14:15], -v[14:15], v[20:21], v[18:19]
	v_div_fmas_f64 v[14:15], v[14:15], v[16:17], v[20:21]
	v_div_fixup_f64 v[14:15], v[14:15], v[12:13], 1.0
	v_cndmask_b32_e64 v13, v15, v13, s[0:1]
	v_cndmask_b32_e64 v12, v14, v12, s[0:1]
	v_mul_f64 v[4:5], v[4:5], v[12:13]
	ds_write_b64 v10, v[4:5]
.LBB125_21:                             ;   in Loop: Header=BB125_19 Depth=1
	s_or_b64 exec, exec, s[4:5]
	v_cmp_gt_i64_e32 vcc, s[2:3], v[2:3]
	s_waitcnt lgkmcnt(0)
	s_barrier
	s_and_saveexec_b64 s[4:5], vcc
	s_cbranch_execz .LBB125_23
; %bb.22:                               ;   in Loop: Header=BB125_19 Depth=1
	flat_load_dwordx2 v[12:13], v[8:9]
	ds_read_b64 v[14:15], v10
	s_waitcnt vmcnt(0) lgkmcnt(0)
	v_fma_f64 v[4:5], -v[12:13], v[14:15], v[4:5]
.LBB125_23:                             ;   in Loop: Header=BB125_19 Depth=1
	s_or_b64 exec, exec, s[4:5]
	s_add_u32 s4, s2, -1
	s_addc_u32 s5, s3, -1
	s_add_u32 s2, s2, 1
	s_addc_u32 s3, s3, 0
	v_add_co_u32_e32 v8, vcc, s6, v8
	v_addc_co_u32_e32 v9, vcc, v9, v11, vcc
	v_cmp_lt_u64_e64 s[2:3], s[2:3], 3
	s_and_b64 vcc, exec, s[2:3]
	s_cbranch_vccnz .LBB125_25
; %bb.24:                               ;   in Loop: Header=BB125_19 Depth=1
	s_mov_b64 s[2:3], s[4:5]
	s_branch .LBB125_19
.LBB125_25:
	v_cmp_eq_u32_e32 vcc, 0, v2
	s_and_saveexec_b64 s[2:3], vcc
	s_cbranch_execz .LBB125_27
; %bb.26:
	v_mad_u64_u32 v[6:7], s[4:5], v2, s22, v[2:3]
	v_mov_b32_e32 v8, v7
	v_mad_u64_u32 v[2:3], s[4:5], v2, s23, v[8:9]
	v_mov_b32_e32 v7, v2
	v_lshlrev_b64 v[2:3], 3, v[6:7]
	v_mov_b32_e32 v6, s11
	v_add_co_u32_e32 v2, vcc, s10, v2
	v_addc_co_u32_e32 v3, vcc, v6, v3, vcc
	flat_load_dwordx2 v[2:3], v[2:3]
	s_waitcnt vmcnt(0) lgkmcnt(0)
	v_div_scale_f64 v[6:7], s[4:5], v[2:3], v[2:3], 1.0
	v_rcp_f64_e32 v[8:9], v[6:7]
	v_div_scale_f64 v[10:11], vcc, 1.0, v[2:3], 1.0
	v_fma_f64 v[12:13], -v[6:7], v[8:9], 1.0
	v_fmac_f64_e32 v[8:9], v[8:9], v[12:13]
	v_fma_f64 v[12:13], -v[6:7], v[8:9], 1.0
	v_fmac_f64_e32 v[8:9], v[8:9], v[12:13]
	v_mul_f64 v[12:13], v[10:11], v[8:9]
	v_fma_f64 v[6:7], -v[6:7], v[12:13], v[10:11]
	v_div_fmas_f64 v[6:7], v[6:7], v[8:9], v[12:13]
	v_div_fixup_f64 v[6:7], v[6:7], v[2:3], 1.0
	v_cndmask_b32_e64 v3, v7, v3, s[0:1]
	v_cndmask_b32_e64 v2, v6, v2, s[0:1]
	v_mul_f64 v[4:5], v[4:5], v[2:3]
.LBB125_27:
	s_or_b64 exec, exec, s[2:3]
	global_store_dwordx2 v[0:1], v[4:5], off
.LBB125_28:
	s_endpgm
	.section	.rodata,"a",@progbits
	.p2align	6, 0x0
	.amdhsa_kernel _ZL40rocblas_trsm_block_backward_substitutionIddPKdPdLb1ELb0ELb0EEv18rocblas_operation_llT0_T1_lllT2_lllib
		.amdhsa_group_segment_fixed_size 0
		.amdhsa_private_segment_fixed_size 0
		.amdhsa_kernarg_size 360
		.amdhsa_user_sgpr_count 6
		.amdhsa_user_sgpr_private_segment_buffer 1
		.amdhsa_user_sgpr_dispatch_ptr 0
		.amdhsa_user_sgpr_queue_ptr 0
		.amdhsa_user_sgpr_kernarg_segment_ptr 1
		.amdhsa_user_sgpr_dispatch_id 0
		.amdhsa_user_sgpr_flat_scratch_init 0
		.amdhsa_user_sgpr_kernarg_preload_length 0
		.amdhsa_user_sgpr_kernarg_preload_offset 0
		.amdhsa_user_sgpr_private_segment_size 0
		.amdhsa_uses_dynamic_stack 0
		.amdhsa_system_sgpr_private_segment_wavefront_offset 0
		.amdhsa_system_sgpr_workgroup_id_x 1
		.amdhsa_system_sgpr_workgroup_id_y 1
		.amdhsa_system_sgpr_workgroup_id_z 1
		.amdhsa_system_sgpr_workgroup_info 0
		.amdhsa_system_vgpr_workitem_id 1
		.amdhsa_next_free_vgpr 22
		.amdhsa_next_free_sgpr 42
		.amdhsa_accum_offset 24
		.amdhsa_reserve_vcc 1
		.amdhsa_reserve_flat_scratch 0
		.amdhsa_float_round_mode_32 0
		.amdhsa_float_round_mode_16_64 0
		.amdhsa_float_denorm_mode_32 3
		.amdhsa_float_denorm_mode_16_64 3
		.amdhsa_dx10_clamp 1
		.amdhsa_ieee_mode 1
		.amdhsa_fp16_overflow 0
		.amdhsa_tg_split 0
		.amdhsa_exception_fp_ieee_invalid_op 0
		.amdhsa_exception_fp_denorm_src 0
		.amdhsa_exception_fp_ieee_div_zero 0
		.amdhsa_exception_fp_ieee_overflow 0
		.amdhsa_exception_fp_ieee_underflow 0
		.amdhsa_exception_fp_ieee_inexact 0
		.amdhsa_exception_int_div_zero 0
	.end_amdhsa_kernel
	.section	.text._ZL40rocblas_trsm_block_backward_substitutionIddPKdPdLb1ELb0ELb0EEv18rocblas_operation_llT0_T1_lllT2_lllib,"axG",@progbits,_ZL40rocblas_trsm_block_backward_substitutionIddPKdPdLb1ELb0ELb0EEv18rocblas_operation_llT0_T1_lllT2_lllib,comdat
.Lfunc_end125:
	.size	_ZL40rocblas_trsm_block_backward_substitutionIddPKdPdLb1ELb0ELb0EEv18rocblas_operation_llT0_T1_lllT2_lllib, .Lfunc_end125-_ZL40rocblas_trsm_block_backward_substitutionIddPKdPdLb1ELb0ELb0EEv18rocblas_operation_llT0_T1_lllT2_lllib
                                        ; -- End function
	.section	.AMDGPU.csdata,"",@progbits
; Kernel info:
; codeLenInByte = 1432
; NumSgprs: 46
; NumVgprs: 22
; NumAgprs: 0
; TotalNumVgprs: 22
; ScratchSize: 0
; MemoryBound: 1
; FloatMode: 240
; IeeeMode: 1
; LDSByteSize: 0 bytes/workgroup (compile time only)
; SGPRBlocks: 5
; VGPRBlocks: 2
; NumSGPRsForWavesPerEU: 46
; NumVGPRsForWavesPerEU: 22
; AccumOffset: 24
; Occupancy: 8
; WaveLimiterHint : 1
; COMPUTE_PGM_RSRC2:SCRATCH_EN: 0
; COMPUTE_PGM_RSRC2:USER_SGPR: 6
; COMPUTE_PGM_RSRC2:TRAP_HANDLER: 0
; COMPUTE_PGM_RSRC2:TGID_X_EN: 1
; COMPUTE_PGM_RSRC2:TGID_Y_EN: 1
; COMPUTE_PGM_RSRC2:TGID_Z_EN: 1
; COMPUTE_PGM_RSRC2:TIDIG_COMP_CNT: 1
; COMPUTE_PGM_RSRC3_GFX90A:ACCUM_OFFSET: 5
; COMPUTE_PGM_RSRC3_GFX90A:TG_SPLIT: 0
	.section	.text._ZL39rocblas_trsm_block_forward_substitutionIddPKdPdLb1ELb0ELb1EEv18rocblas_operation_llT0_T1_lllT2_lllib,"axG",@progbits,_ZL39rocblas_trsm_block_forward_substitutionIddPKdPdLb1ELb0ELb1EEv18rocblas_operation_llT0_T1_lllT2_lllib,comdat
	.globl	_ZL39rocblas_trsm_block_forward_substitutionIddPKdPdLb1ELb0ELb1EEv18rocblas_operation_llT0_T1_lllT2_lllib ; -- Begin function _ZL39rocblas_trsm_block_forward_substitutionIddPKdPdLb1ELb0ELb1EEv18rocblas_operation_llT0_T1_lllT2_lllib
	.p2align	8
	.type	_ZL39rocblas_trsm_block_forward_substitutionIddPKdPdLb1ELb0ELb1EEv18rocblas_operation_llT0_T1_lllT2_lllib,@function
_ZL39rocblas_trsm_block_forward_substitutionIddPKdPdLb1ELb0ELb1EEv18rocblas_operation_llT0_T1_lllT2_lllib: ; @_ZL39rocblas_trsm_block_forward_substitutionIddPKdPdLb1ELb0ELb1EEv18rocblas_operation_llT0_T1_lllT2_lllib
; %bb.0:
	s_load_dwordx16 s[12:27], s[4:5], 0x8
	v_and_b32_e32 v2, 0x3ff, v0
	v_bfe_u32 v6, v0, 10, 10
	s_waitcnt lgkmcnt(0)
	s_mul_i32 s0, s8, s25
	s_mul_hi_u32 s1, s8, s24
	s_add_i32 s1, s1, s0
	s_mul_i32 s0, s8, s24
	s_lshl_b64 s[0:1], s[0:1], 3
	s_add_u32 s6, s18, s0
	s_addc_u32 s9, s19, s1
	s_lshl_b64 s[0:1], s[20:21], 3
	s_add_u32 s10, s6, s0
	s_addc_u32 s11, s9, s1
	s_load_dword s0, s[4:5], 0x64
	s_load_dword s1, s[4:5], 0x74
	s_add_u32 s18, s4, 0x68
	s_addc_u32 s19, s5, 0
	s_waitcnt lgkmcnt(0)
	s_lshr_b32 s6, s1, 16
	s_bitcmp0_b32 s0, 0
	s_mov_b64 s[0:1], 1
	s_cbranch_scc1 .LBB126_6
; %bb.1:
	s_lshl_b32 s0, s6, 3
	s_add_i32 s20, s0, 0
	v_cmp_lt_i64_e64 s[0:1], s[12:13], 1
	s_mov_b64 s[2:3], 1
	s_and_b64 vcc, exec, s[0:1]
	s_cbranch_vccnz .LBB126_7
; %bb.2:
	v_mad_u64_u32 v[0:1], s[24:25], v2, s22, 0
	v_mov_b32_e32 v4, v1
	v_mad_u64_u32 v[4:5], s[22:23], v2, s23, v[4:5]
	v_mov_b32_e32 v1, v4
	v_mov_b32_e32 v3, 0
	v_lshlrev_b64 v[0:1], 3, v[0:1]
	v_cmp_gt_u64_e64 s[0:1], s[12:13], v[2:3]
	v_mov_b32_e32 v4, s11
	v_add_co_u32_e32 v3, vcc, s10, v0
	v_lshl_add_u32 v7, v2, 3, s20
	v_addc_co_u32_e32 v8, vcc, v4, v1, vcc
	s_mov_b32 s10, 0
	v_pk_mov_b32 v[0:1], s[12:13], s[12:13] op_sel:[0,1]
	s_branch .LBB126_4
.LBB126_3:                              ;   in Loop: Header=BB126_4 Depth=1
	s_or_b64 exec, exec, s[22:23]
	s_add_i32 s10, s10, s6
	s_ashr_i32 s11, s10, 31
	v_cmp_ge_i64_e32 vcc, s[10:11], v[0:1]
	s_cbranch_vccnz .LBB126_7
.LBB126_4:                              ; =>This Inner Loop Header: Depth=1
	v_add_u32_e32 v4, s10, v6
	v_cmp_gt_i32_e32 vcc, v2, v4
	s_and_b64 s[24:25], s[0:1], vcc
	s_and_saveexec_b64 s[22:23], s[24:25]
	s_cbranch_execz .LBB126_3
; %bb.5:                                ;   in Loop: Header=BB126_4 Depth=1
	v_ashrrev_i32_e32 v5, 31, v4
	v_lshlrev_b64 v[10:11], 3, v[4:5]
	v_add_co_u32_e32 v10, vcc, v3, v10
	v_addc_co_u32_e32 v11, vcc, v8, v11, vcc
	global_load_dwordx2 v[10:11], v[10:11], off
	s_load_dword s9, s[18:19], 0xc
	s_waitcnt lgkmcnt(0)
	s_and_b32 s9, s9, 0xffff
	v_mul_lo_u32 v4, v4, s9
	v_lshl_add_u32 v4, v4, 3, v7
	s_waitcnt vmcnt(0)
	ds_write_b64 v4, v[10:11]
	s_branch .LBB126_3
.LBB126_6:
	s_mov_b32 s2, s22
	s_mov_b32 s3, s23
	s_branch .LBB126_8
.LBB126_7:
	s_load_dword s9, s[18:19], 0xc
	s_mov_b64 s[0:1], src_shared_base
	s_mov_b32 s21, s1
	s_mov_b64 s[10:11], s[20:21]
	s_waitcnt lgkmcnt(0)
	s_and_b32 s0, s9, 0xffff
.LBB126_8:
	s_mul_i32 s7, s7, s6
	v_add_u32_e32 v0, s7, v6
	v_mov_b32_e32 v1, 0
	v_cmp_gt_i64_e32 vcc, s[14:15], v[0:1]
	s_and_saveexec_b64 s[6:7], vcc
	s_cbranch_execz .LBB126_18
; %bb.9:
	v_mov_b32_e32 v3, v1
	v_cmp_gt_i64_e32 vcc, s[12:13], v[2:3]
	s_and_b64 exec, exec, vcc
	s_cbranch_execz .LBB126_18
; %bb.10:
	s_load_dwordx2 s[6:7], s[4:5], 0x58
	s_load_dwordx4 s[20:23], s[4:5], 0x48
	s_waitcnt lgkmcnt(0)
	s_mul_i32 s1, s8, s7
	s_mul_hi_u32 s5, s8, s6
	s_mul_i32 s4, s8, s6
	s_add_i32 s5, s5, s1
	s_lshl_b64 s[4:5], s[4:5], 3
	s_add_u32 s1, s26, s4
	s_addc_u32 s6, s27, s5
	s_lshl_b64 s[4:5], s[20:21], 3
	s_add_u32 s1, s1, s4
	s_addc_u32 s6, s6, s5
	v_mad_u64_u32 v[4:5], s[4:5], v0, s22, 0
	v_mov_b32_e32 v8, v5
	v_mad_u64_u32 v[0:1], s[4:5], v0, s23, v[8:9]
	v_mov_b32_e32 v5, v0
	v_lshlrev_b64 v[0:1], 3, v[4:5]
	v_mov_b32_e32 v4, s6
	v_add_co_u32_e32 v0, vcc, s1, v0
	v_addc_co_u32_e32 v1, vcc, v4, v1, vcc
	v_lshlrev_b32_e32 v4, 3, v2
	v_add_co_u32_e32 v0, vcc, v0, v4
	v_addc_co_u32_e32 v1, vcc, 0, v1, vcc
	global_load_dwordx2 v[4:5], v[0:1], off
	v_cmp_lt_u64_e64 s[4:5], s[12:13], 2
	s_and_b64 vcc, exec, s[4:5]
	s_waitcnt vmcnt(0)
	v_mul_f64 v[4:5], v[4:5], s[16:17]
	s_cbranch_vccnz .LBB126_17
; %bb.11:
	v_lshl_add_u32 v8, v6, 3, 0
	v_mad_u64_u32 v[6:7], s[6:7], s2, v2, 0
	v_mov_b32_e32 v10, v7
	v_mad_u64_u32 v[10:11], s[2:3], s3, v2, v[10:11]
	v_mov_b32_e32 v7, v10
	v_lshlrev_b64 v[6:7], 3, v[6:7]
	s_mov_b32 s8, 0
	s_add_u32 s4, s12, -1
	v_mov_b32_e32 v9, s11
	v_add_co_u32_e32 v6, vcc, s10, v6
	s_addc_u32 s5, s13, -1
	v_addc_co_u32_e32 v7, vcc, v9, v7, vcc
	s_lshl_b32 s6, s0, 3
	s_mov_b64 s[0:1], 0
	v_mov_b32_e32 v9, s8
	s_branch .LBB126_13
.LBB126_12:                             ;   in Loop: Header=BB126_13 Depth=1
	s_or_b64 exec, exec, s[2:3]
	s_add_u32 s0, s0, 1
	s_addc_u32 s1, s1, 0
	v_add_co_u32_e32 v6, vcc, s6, v6
	s_cmp_eq_u64 s[4:5], s[0:1]
	v_addc_co_u32_e32 v7, vcc, v7, v9, vcc
	s_cbranch_scc1 .LBB126_17
.LBB126_13:                             ; =>This Inner Loop Header: Depth=1
	v_cmp_eq_u64_e32 vcc, s[0:1], v[2:3]
	s_barrier
	s_and_saveexec_b64 s[2:3], vcc
	s_cbranch_execz .LBB126_15
; %bb.14:                               ;   in Loop: Header=BB126_13 Depth=1
	ds_write_b64 v8, v[4:5]
.LBB126_15:                             ;   in Loop: Header=BB126_13 Depth=1
	s_or_b64 exec, exec, s[2:3]
	v_cmp_lt_u64_e32 vcc, s[0:1], v[2:3]
	s_waitcnt lgkmcnt(0)
	s_barrier
	s_and_saveexec_b64 s[2:3], vcc
	s_cbranch_execz .LBB126_12
; %bb.16:                               ;   in Loop: Header=BB126_13 Depth=1
	flat_load_dwordx2 v[10:11], v[6:7]
	ds_read_b64 v[12:13], v8
	s_waitcnt vmcnt(0) lgkmcnt(0)
	v_fma_f64 v[4:5], -v[10:11], v[12:13], v[4:5]
	s_branch .LBB126_12
.LBB126_17:
	global_store_dwordx2 v[0:1], v[4:5], off
.LBB126_18:
	s_endpgm
	.section	.rodata,"a",@progbits
	.p2align	6, 0x0
	.amdhsa_kernel _ZL39rocblas_trsm_block_forward_substitutionIddPKdPdLb1ELb0ELb1EEv18rocblas_operation_llT0_T1_lllT2_lllib
		.amdhsa_group_segment_fixed_size 0
		.amdhsa_private_segment_fixed_size 0
		.amdhsa_kernarg_size 360
		.amdhsa_user_sgpr_count 6
		.amdhsa_user_sgpr_private_segment_buffer 1
		.amdhsa_user_sgpr_dispatch_ptr 0
		.amdhsa_user_sgpr_queue_ptr 0
		.amdhsa_user_sgpr_kernarg_segment_ptr 1
		.amdhsa_user_sgpr_dispatch_id 0
		.amdhsa_user_sgpr_flat_scratch_init 0
		.amdhsa_user_sgpr_kernarg_preload_length 0
		.amdhsa_user_sgpr_kernarg_preload_offset 0
		.amdhsa_user_sgpr_private_segment_size 0
		.amdhsa_uses_dynamic_stack 0
		.amdhsa_system_sgpr_private_segment_wavefront_offset 0
		.amdhsa_system_sgpr_workgroup_id_x 1
		.amdhsa_system_sgpr_workgroup_id_y 1
		.amdhsa_system_sgpr_workgroup_id_z 1
		.amdhsa_system_sgpr_workgroup_info 0
		.amdhsa_system_vgpr_workitem_id 1
		.amdhsa_next_free_vgpr 14
		.amdhsa_next_free_sgpr 28
		.amdhsa_accum_offset 16
		.amdhsa_reserve_vcc 1
		.amdhsa_reserve_flat_scratch 0
		.amdhsa_float_round_mode_32 0
		.amdhsa_float_round_mode_16_64 0
		.amdhsa_float_denorm_mode_32 3
		.amdhsa_float_denorm_mode_16_64 3
		.amdhsa_dx10_clamp 1
		.amdhsa_ieee_mode 1
		.amdhsa_fp16_overflow 0
		.amdhsa_tg_split 0
		.amdhsa_exception_fp_ieee_invalid_op 0
		.amdhsa_exception_fp_denorm_src 0
		.amdhsa_exception_fp_ieee_div_zero 0
		.amdhsa_exception_fp_ieee_overflow 0
		.amdhsa_exception_fp_ieee_underflow 0
		.amdhsa_exception_fp_ieee_inexact 0
		.amdhsa_exception_int_div_zero 0
	.end_amdhsa_kernel
	.section	.text._ZL39rocblas_trsm_block_forward_substitutionIddPKdPdLb1ELb0ELb1EEv18rocblas_operation_llT0_T1_lllT2_lllib,"axG",@progbits,_ZL39rocblas_trsm_block_forward_substitutionIddPKdPdLb1ELb0ELb1EEv18rocblas_operation_llT0_T1_lllT2_lllib,comdat
.Lfunc_end126:
	.size	_ZL39rocblas_trsm_block_forward_substitutionIddPKdPdLb1ELb0ELb1EEv18rocblas_operation_llT0_T1_lllT2_lllib, .Lfunc_end126-_ZL39rocblas_trsm_block_forward_substitutionIddPKdPdLb1ELb0ELb1EEv18rocblas_operation_llT0_T1_lllT2_lllib
                                        ; -- End function
	.section	.AMDGPU.csdata,"",@progbits
; Kernel info:
; codeLenInByte = 780
; NumSgprs: 32
; NumVgprs: 14
; NumAgprs: 0
; TotalNumVgprs: 14
; ScratchSize: 0
; MemoryBound: 0
; FloatMode: 240
; IeeeMode: 1
; LDSByteSize: 0 bytes/workgroup (compile time only)
; SGPRBlocks: 3
; VGPRBlocks: 1
; NumSGPRsForWavesPerEU: 32
; NumVGPRsForWavesPerEU: 14
; AccumOffset: 16
; Occupancy: 8
; WaveLimiterHint : 1
; COMPUTE_PGM_RSRC2:SCRATCH_EN: 0
; COMPUTE_PGM_RSRC2:USER_SGPR: 6
; COMPUTE_PGM_RSRC2:TRAP_HANDLER: 0
; COMPUTE_PGM_RSRC2:TGID_X_EN: 1
; COMPUTE_PGM_RSRC2:TGID_Y_EN: 1
; COMPUTE_PGM_RSRC2:TGID_Z_EN: 1
; COMPUTE_PGM_RSRC2:TIDIG_COMP_CNT: 1
; COMPUTE_PGM_RSRC3_GFX90A:ACCUM_OFFSET: 3
; COMPUTE_PGM_RSRC3_GFX90A:TG_SPLIT: 0
	.section	.text._ZL40rocblas_trsm_block_backward_substitutionIddPKdPdLb1ELb0ELb1EEv18rocblas_operation_llT0_T1_lllT2_lllib,"axG",@progbits,_ZL40rocblas_trsm_block_backward_substitutionIddPKdPdLb1ELb0ELb1EEv18rocblas_operation_llT0_T1_lllT2_lllib,comdat
	.globl	_ZL40rocblas_trsm_block_backward_substitutionIddPKdPdLb1ELb0ELb1EEv18rocblas_operation_llT0_T1_lllT2_lllib ; -- Begin function _ZL40rocblas_trsm_block_backward_substitutionIddPKdPdLb1ELb0ELb1EEv18rocblas_operation_llT0_T1_lllT2_lllib
	.p2align	8
	.type	_ZL40rocblas_trsm_block_backward_substitutionIddPKdPdLb1ELb0ELb1EEv18rocblas_operation_llT0_T1_lllT2_lllib,@function
_ZL40rocblas_trsm_block_backward_substitutionIddPKdPdLb1ELb0ELb1EEv18rocblas_operation_llT0_T1_lllT2_lllib: ; @_ZL40rocblas_trsm_block_backward_substitutionIddPKdPdLb1ELb0ELb1EEv18rocblas_operation_llT0_T1_lllT2_lllib
; %bb.0:
	s_load_dwordx16 s[12:27], s[4:5], 0x8
	v_and_b32_e32 v2, 0x3ff, v0
	v_bfe_u32 v6, v0, 10, 10
	s_waitcnt lgkmcnt(0)
	s_mul_i32 s0, s8, s25
	s_mul_hi_u32 s1, s8, s24
	s_add_i32 s1, s1, s0
	s_mul_i32 s0, s8, s24
	s_lshl_b64 s[0:1], s[0:1], 3
	s_add_u32 s2, s18, s0
	s_addc_u32 s3, s19, s1
	s_lshl_b64 s[0:1], s[20:21], 3
	s_add_u32 s2, s2, s0
	s_load_dword s0, s[4:5], 0x64
	s_load_dword s6, s[4:5], 0x74
	s_addc_u32 s3, s3, s1
	s_add_u32 s10, s4, 0x68
	s_addc_u32 s11, s5, 0
	s_waitcnt lgkmcnt(0)
	s_lshr_b32 s6, s6, 16
	s_bitcmp0_b32 s0, 0
	s_cbranch_scc1 .LBB127_7
; %bb.1:
	s_lshl_b32 s0, s6, 3
	s_add_i32 s18, s0, 0
	v_cmp_lt_i64_e64 s[0:1], s[12:13], 1
	s_and_b64 vcc, exec, s[0:1]
	s_cbranch_vccnz .LBB127_6
; %bb.2:
	v_lshlrev_b32_e32 v0, 3, v2
	v_mov_b32_e32 v3, 0
	v_cmp_gt_u64_e64 s[0:1], s[12:13], v[2:3]
	v_mov_b32_e32 v1, s3
	v_add_co_u32_e32 v3, vcc, s2, v0
	v_add_u32_e32 v7, s18, v0
	s_mov_b32 s20, 0
	v_addc_co_u32_e32 v8, vcc, 0, v1, vcc
	v_pk_mov_b32 v[0:1], s[12:13], s[12:13] op_sel:[0,1]
	s_branch .LBB127_4
.LBB127_3:                              ;   in Loop: Header=BB127_4 Depth=1
	s_or_b64 exec, exec, s[2:3]
	s_add_i32 s20, s20, s6
	s_ashr_i32 s21, s20, 31
	v_cmp_ge_i64_e32 vcc, s[20:21], v[0:1]
	s_cbranch_vccnz .LBB127_6
.LBB127_4:                              ; =>This Inner Loop Header: Depth=1
	v_add_u32_e32 v4, s20, v6
	v_ashrrev_i32_e32 v5, 31, v4
	v_cmp_gt_i64_e32 vcc, s[12:13], v[4:5]
	v_cmp_lt_i32_e64 s[2:3], v2, v4
	s_and_b64 s[2:3], s[2:3], vcc
	s_and_b64 s[24:25], s[0:1], s[2:3]
	s_and_saveexec_b64 s[2:3], s[24:25]
	s_cbranch_execz .LBB127_3
; %bb.5:                                ;   in Loop: Header=BB127_4 Depth=1
	v_mul_lo_u32 v5, v5, s22
	v_mul_lo_u32 v9, v4, s23
	v_mad_u64_u32 v[10:11], s[24:25], v4, s22, 0
	v_add3_u32 v11, v11, v9, v5
	v_lshlrev_b64 v[10:11], 3, v[10:11]
	v_add_co_u32_e32 v10, vcc, v3, v10
	v_addc_co_u32_e32 v11, vcc, v8, v11, vcc
	global_load_dwordx2 v[10:11], v[10:11], off
	s_load_dword s9, s[10:11], 0xc
	s_waitcnt lgkmcnt(0)
	s_and_b32 s9, s9, 0xffff
	v_mul_lo_u32 v4, v4, s9
	v_lshl_add_u32 v4, v4, 3, v7
	s_waitcnt vmcnt(0)
	ds_write_b64 v4, v[10:11]
	s_branch .LBB127_3
.LBB127_6:
	s_load_dword s2, s[10:11], 0xc
	s_mov_b64 s[0:1], src_shared_base
	s_mov_b32 s19, s1
	s_mov_b32 s23, 0
	s_waitcnt lgkmcnt(0)
	s_and_b32 s22, s2, 0xffff
	s_mov_b64 s[2:3], s[18:19]
.LBB127_7:
	s_mul_i32 s7, s7, s6
	v_add_u32_e32 v0, s7, v6
	v_mov_b32_e32 v1, 0
	v_cmp_gt_i64_e32 vcc, s[14:15], v[0:1]
	s_and_saveexec_b64 s[0:1], vcc
	s_cbranch_execz .LBB127_18
; %bb.8:
	v_mov_b32_e32 v3, v1
	v_cmp_gt_i64_e32 vcc, s[12:13], v[2:3]
	s_and_b64 exec, exec, vcc
	s_cbranch_execz .LBB127_18
; %bb.9:
	s_load_dwordx2 s[0:1], s[4:5], 0x58
	s_load_dwordx4 s[28:31], s[4:5], 0x48
	v_lshlrev_b64 v[0:1], 3, v[0:1]
	s_waitcnt lgkmcnt(0)
	s_mul_i32 s1, s8, s1
	s_mul_hi_u32 s4, s8, s0
	s_mul_i32 s0, s8, s0
	s_add_i32 s1, s4, s1
	s_lshl_b64 s[0:1], s[0:1], 3
	s_add_u32 s4, s26, s0
	s_addc_u32 s5, s27, s1
	s_lshl_b64 s[0:1], s[28:29], 3
	s_add_u32 s4, s4, s0
	s_addc_u32 s5, s5, s1
	v_mad_u64_u32 v[4:5], s[0:1], v2, s30, 0
	v_mov_b32_e32 v8, v5
	v_mad_u64_u32 v[8:9], s[0:1], v2, s31, v[8:9]
	v_mov_b32_e32 v5, v8
	v_lshlrev_b64 v[4:5], 3, v[4:5]
	v_mov_b32_e32 v7, s5
	v_add_co_u32_e32 v4, vcc, s4, v4
	v_addc_co_u32_e32 v5, vcc, v7, v5, vcc
	v_add_co_u32_e32 v0, vcc, v4, v0
	v_addc_co_u32_e32 v1, vcc, v5, v1, vcc
	global_load_dwordx2 v[4:5], v[0:1], off
	v_cmp_lt_u64_e64 s[0:1], s[12:13], 2
	s_and_b64 vcc, exec, s[0:1]
	s_waitcnt vmcnt(0)
	v_mul_f64 v[4:5], v[4:5], s[16:17]
	s_cbranch_vccnz .LBB127_17
; %bb.10:
	s_add_u32 s0, s12, -1
	s_addc_u32 s1, s13, -1
	s_mul_i32 s4, s22, s1
	s_mul_hi_u32 s5, s22, s0
	s_add_i32 s4, s5, s4
	s_mul_i32 s5, s23, s0
	s_add_i32 s5, s4, s5
	s_mul_i32 s4, s22, s0
	s_lshl_b64 s[4:5], s[4:5], 3
	s_add_u32 s2, s2, s4
	v_lshl_add_u32 v8, v6, 3, 0
	v_lshlrev_b32_e32 v6, 3, v2
	s_addc_u32 s3, s3, s5
	v_mov_b32_e32 v7, s3
	v_add_co_u32_e32 v6, vcc, s2, v6
	s_lshl_b64 s[2:3], s[22:23], 3
	s_sub_u32 s4, 0, s2
	s_subb_u32 s2, 0, s3
	v_addc_co_u32_e32 v7, vcc, 0, v7, vcc
	v_mov_b32_e32 v9, s2
.LBB127_11:                             ; =>This Inner Loop Header: Depth=1
	v_cmp_eq_u64_e32 vcc, s[0:1], v[2:3]
	s_barrier
	s_and_saveexec_b64 s[2:3], vcc
	s_cbranch_execz .LBB127_13
; %bb.12:                               ;   in Loop: Header=BB127_11 Depth=1
	ds_write_b64 v8, v[4:5]
.LBB127_13:                             ;   in Loop: Header=BB127_11 Depth=1
	s_or_b64 exec, exec, s[2:3]
	v_cmp_gt_i64_e32 vcc, s[0:1], v[2:3]
	s_waitcnt lgkmcnt(0)
	s_barrier
	s_and_saveexec_b64 s[2:3], vcc
	s_cbranch_execz .LBB127_15
; %bb.14:                               ;   in Loop: Header=BB127_11 Depth=1
	flat_load_dwordx2 v[10:11], v[6:7]
	ds_read_b64 v[12:13], v8
	s_waitcnt vmcnt(0) lgkmcnt(0)
	v_fma_f64 v[4:5], -v[10:11], v[12:13], v[4:5]
.LBB127_15:                             ;   in Loop: Header=BB127_11 Depth=1
	s_or_b64 exec, exec, s[2:3]
	s_add_u32 s2, s0, -1
	s_addc_u32 s3, s1, -1
	s_add_u32 s0, s0, 1
	s_addc_u32 s1, s1, 0
	v_add_co_u32_e32 v6, vcc, s4, v6
	v_addc_co_u32_e32 v7, vcc, v7, v9, vcc
	v_cmp_lt_u64_e64 s[0:1], s[0:1], 3
	s_and_b64 vcc, exec, s[0:1]
	s_cbranch_vccnz .LBB127_17
; %bb.16:                               ;   in Loop: Header=BB127_11 Depth=1
	s_mov_b64 s[0:1], s[2:3]
	s_branch .LBB127_11
.LBB127_17:
	global_store_dwordx2 v[0:1], v[4:5], off
.LBB127_18:
	s_endpgm
	.section	.rodata,"a",@progbits
	.p2align	6, 0x0
	.amdhsa_kernel _ZL40rocblas_trsm_block_backward_substitutionIddPKdPdLb1ELb0ELb1EEv18rocblas_operation_llT0_T1_lllT2_lllib
		.amdhsa_group_segment_fixed_size 0
		.amdhsa_private_segment_fixed_size 0
		.amdhsa_kernarg_size 360
		.amdhsa_user_sgpr_count 6
		.amdhsa_user_sgpr_private_segment_buffer 1
		.amdhsa_user_sgpr_dispatch_ptr 0
		.amdhsa_user_sgpr_queue_ptr 0
		.amdhsa_user_sgpr_kernarg_segment_ptr 1
		.amdhsa_user_sgpr_dispatch_id 0
		.amdhsa_user_sgpr_flat_scratch_init 0
		.amdhsa_user_sgpr_kernarg_preload_length 0
		.amdhsa_user_sgpr_kernarg_preload_offset 0
		.amdhsa_user_sgpr_private_segment_size 0
		.amdhsa_uses_dynamic_stack 0
		.amdhsa_system_sgpr_private_segment_wavefront_offset 0
		.amdhsa_system_sgpr_workgroup_id_x 1
		.amdhsa_system_sgpr_workgroup_id_y 1
		.amdhsa_system_sgpr_workgroup_id_z 1
		.amdhsa_system_sgpr_workgroup_info 0
		.amdhsa_system_vgpr_workitem_id 1
		.amdhsa_next_free_vgpr 14
		.amdhsa_next_free_sgpr 32
		.amdhsa_accum_offset 16
		.amdhsa_reserve_vcc 1
		.amdhsa_reserve_flat_scratch 0
		.amdhsa_float_round_mode_32 0
		.amdhsa_float_round_mode_16_64 0
		.amdhsa_float_denorm_mode_32 3
		.amdhsa_float_denorm_mode_16_64 3
		.amdhsa_dx10_clamp 1
		.amdhsa_ieee_mode 1
		.amdhsa_fp16_overflow 0
		.amdhsa_tg_split 0
		.amdhsa_exception_fp_ieee_invalid_op 0
		.amdhsa_exception_fp_denorm_src 0
		.amdhsa_exception_fp_ieee_div_zero 0
		.amdhsa_exception_fp_ieee_overflow 0
		.amdhsa_exception_fp_ieee_underflow 0
		.amdhsa_exception_fp_ieee_inexact 0
		.amdhsa_exception_int_div_zero 0
	.end_amdhsa_kernel
	.section	.text._ZL40rocblas_trsm_block_backward_substitutionIddPKdPdLb1ELb0ELb1EEv18rocblas_operation_llT0_T1_lllT2_lllib,"axG",@progbits,_ZL40rocblas_trsm_block_backward_substitutionIddPKdPdLb1ELb0ELb1EEv18rocblas_operation_llT0_T1_lllT2_lllib,comdat
.Lfunc_end127:
	.size	_ZL40rocblas_trsm_block_backward_substitutionIddPKdPdLb1ELb0ELb1EEv18rocblas_operation_llT0_T1_lllT2_lllib, .Lfunc_end127-_ZL40rocblas_trsm_block_backward_substitutionIddPKdPdLb1ELb0ELb1EEv18rocblas_operation_llT0_T1_lllT2_lllib
                                        ; -- End function
	.section	.AMDGPU.csdata,"",@progbits
; Kernel info:
; codeLenInByte = 804
; NumSgprs: 36
; NumVgprs: 14
; NumAgprs: 0
; TotalNumVgprs: 14
; ScratchSize: 0
; MemoryBound: 0
; FloatMode: 240
; IeeeMode: 1
; LDSByteSize: 0 bytes/workgroup (compile time only)
; SGPRBlocks: 4
; VGPRBlocks: 1
; NumSGPRsForWavesPerEU: 36
; NumVGPRsForWavesPerEU: 14
; AccumOffset: 16
; Occupancy: 8
; WaveLimiterHint : 1
; COMPUTE_PGM_RSRC2:SCRATCH_EN: 0
; COMPUTE_PGM_RSRC2:USER_SGPR: 6
; COMPUTE_PGM_RSRC2:TRAP_HANDLER: 0
; COMPUTE_PGM_RSRC2:TGID_X_EN: 1
; COMPUTE_PGM_RSRC2:TGID_Y_EN: 1
; COMPUTE_PGM_RSRC2:TGID_Z_EN: 1
; COMPUTE_PGM_RSRC2:TIDIG_COMP_CNT: 1
; COMPUTE_PGM_RSRC3_GFX90A:ACCUM_OFFSET: 3
; COMPUTE_PGM_RSRC3_GFX90A:TG_SPLIT: 0
	.section	.text._ZL26setup_batched_array_kernelILi128EdEvPT0_lPS1_,"axG",@progbits,_ZL26setup_batched_array_kernelILi128EdEvPT0_lPS1_,comdat
	.globl	_ZL26setup_batched_array_kernelILi128EdEvPT0_lPS1_ ; -- Begin function _ZL26setup_batched_array_kernelILi128EdEvPT0_lPS1_
	.p2align	8
	.type	_ZL26setup_batched_array_kernelILi128EdEvPT0_lPS1_,@function
_ZL26setup_batched_array_kernelILi128EdEvPT0_lPS1_: ; @_ZL26setup_batched_array_kernelILi128EdEvPT0_lPS1_
; %bb.0:
	s_load_dwordx4 s[0:3], s[4:5], 0x0
	s_mov_b32 s7, 0
	s_load_dwordx2 s[4:5], s[4:5], 0x10
	v_mov_b32_e32 v2, 0
	s_waitcnt lgkmcnt(0)
	s_mul_i32 s3, s6, s3
	s_mul_hi_u32 s8, s6, s2
	s_add_i32 s3, s8, s3
	s_mul_i32 s2, s6, s2
	s_lshl_b64 s[2:3], s[2:3], 3
	s_add_u32 s0, s0, s2
	s_addc_u32 s1, s1, s3
	s_lshl_b64 s[2:3], s[6:7], 3
	s_add_u32 s2, s4, s2
	s_addc_u32 s3, s5, s3
	v_pk_mov_b32 v[0:1], s[0:1], s[0:1] op_sel:[0,1]
	global_store_dwordx2 v2, v[0:1], s[2:3]
	s_endpgm
	.section	.rodata,"a",@progbits
	.p2align	6, 0x0
	.amdhsa_kernel _ZL26setup_batched_array_kernelILi128EdEvPT0_lPS1_
		.amdhsa_group_segment_fixed_size 0
		.amdhsa_private_segment_fixed_size 0
		.amdhsa_kernarg_size 24
		.amdhsa_user_sgpr_count 6
		.amdhsa_user_sgpr_private_segment_buffer 1
		.amdhsa_user_sgpr_dispatch_ptr 0
		.amdhsa_user_sgpr_queue_ptr 0
		.amdhsa_user_sgpr_kernarg_segment_ptr 1
		.amdhsa_user_sgpr_dispatch_id 0
		.amdhsa_user_sgpr_flat_scratch_init 0
		.amdhsa_user_sgpr_kernarg_preload_length 0
		.amdhsa_user_sgpr_kernarg_preload_offset 0
		.amdhsa_user_sgpr_private_segment_size 0
		.amdhsa_uses_dynamic_stack 0
		.amdhsa_system_sgpr_private_segment_wavefront_offset 0
		.amdhsa_system_sgpr_workgroup_id_x 1
		.amdhsa_system_sgpr_workgroup_id_y 0
		.amdhsa_system_sgpr_workgroup_id_z 0
		.amdhsa_system_sgpr_workgroup_info 0
		.amdhsa_system_vgpr_workitem_id 0
		.amdhsa_next_free_vgpr 3
		.amdhsa_next_free_sgpr 9
		.amdhsa_accum_offset 4
		.amdhsa_reserve_vcc 0
		.amdhsa_reserve_flat_scratch 0
		.amdhsa_float_round_mode_32 0
		.amdhsa_float_round_mode_16_64 0
		.amdhsa_float_denorm_mode_32 3
		.amdhsa_float_denorm_mode_16_64 3
		.amdhsa_dx10_clamp 1
		.amdhsa_ieee_mode 1
		.amdhsa_fp16_overflow 0
		.amdhsa_tg_split 0
		.amdhsa_exception_fp_ieee_invalid_op 0
		.amdhsa_exception_fp_denorm_src 0
		.amdhsa_exception_fp_ieee_div_zero 0
		.amdhsa_exception_fp_ieee_overflow 0
		.amdhsa_exception_fp_ieee_underflow 0
		.amdhsa_exception_fp_ieee_inexact 0
		.amdhsa_exception_int_div_zero 0
	.end_amdhsa_kernel
	.section	.text._ZL26setup_batched_array_kernelILi128EdEvPT0_lPS1_,"axG",@progbits,_ZL26setup_batched_array_kernelILi128EdEvPT0_lPS1_,comdat
.Lfunc_end128:
	.size	_ZL26setup_batched_array_kernelILi128EdEvPT0_lPS1_, .Lfunc_end128-_ZL26setup_batched_array_kernelILi128EdEvPT0_lPS1_
                                        ; -- End function
	.section	.AMDGPU.csdata,"",@progbits
; Kernel info:
; codeLenInByte = 88
; NumSgprs: 13
; NumVgprs: 3
; NumAgprs: 0
; TotalNumVgprs: 3
; ScratchSize: 0
; MemoryBound: 0
; FloatMode: 240
; IeeeMode: 1
; LDSByteSize: 0 bytes/workgroup (compile time only)
; SGPRBlocks: 1
; VGPRBlocks: 0
; NumSGPRsForWavesPerEU: 13
; NumVGPRsForWavesPerEU: 3
; AccumOffset: 4
; Occupancy: 8
; WaveLimiterHint : 0
; COMPUTE_PGM_RSRC2:SCRATCH_EN: 0
; COMPUTE_PGM_RSRC2:USER_SGPR: 6
; COMPUTE_PGM_RSRC2:TRAP_HANDLER: 0
; COMPUTE_PGM_RSRC2:TGID_X_EN: 1
; COMPUTE_PGM_RSRC2:TGID_Y_EN: 0
; COMPUTE_PGM_RSRC2:TGID_Z_EN: 0
; COMPUTE_PGM_RSRC2:TIDIG_COMP_CNT: 0
; COMPUTE_PGM_RSRC3_GFX90A:ACCUM_OFFSET: 0
; COMPUTE_PGM_RSRC3_GFX90A:TG_SPLIT: 0
	.section	.text._ZL25rocblas_trtri_trsm_kernelILi128ELi16ELi8EdPKdPdEv13rocblas_fill_17rocblas_diagonal_T3_lilT4_lli,"axG",@progbits,_ZL25rocblas_trtri_trsm_kernelILi128ELi16ELi8EdPKdPdEv13rocblas_fill_17rocblas_diagonal_T3_lilT4_lli,comdat
	.globl	_ZL25rocblas_trtri_trsm_kernelILi128ELi16ELi8EdPKdPdEv13rocblas_fill_17rocblas_diagonal_T3_lilT4_lli ; -- Begin function _ZL25rocblas_trtri_trsm_kernelILi128ELi16ELi8EdPKdPdEv13rocblas_fill_17rocblas_diagonal_T3_lilT4_lli
	.p2align	8
	.type	_ZL25rocblas_trtri_trsm_kernelILi128ELi16ELi8EdPKdPdEv13rocblas_fill_17rocblas_diagonal_T3_lilT4_lli,@function
_ZL25rocblas_trtri_trsm_kernelILi128ELi16ELi8EdPKdPdEv13rocblas_fill_17rocblas_diagonal_T3_lilT4_lli: ; @_ZL25rocblas_trtri_trsm_kernelILi128ELi16ELi8EdPKdPdEv13rocblas_fill_17rocblas_diagonal_T3_lilT4_lli
; %bb.0:
	v_cmp_gt_u32_e64 s[0:1], 16, v0
	v_cmp_lt_u32_e64 s[8:9], 15, v0
	v_cmp_gt_u32_e64 s[2:3], 32, v0
	v_cmp_lt_u32_e32 vcc, 31, v0
	v_mov_b32_e32 v2, v0
	s_and_saveexec_b64 s[10:11], s[8:9]
	s_cbranch_execz .LBB129_6
; %bb.1:
                                        ; implicit-def: $vgpr2
	s_and_saveexec_b64 s[8:9], vcc
	s_xor_b64 s[8:9], exec, s[8:9]
; %bb.2:
	v_subrev_u32_e32 v2, 32, v0
; %bb.3:
	s_andn2_saveexec_b64 s[8:9], s[8:9]
; %bb.4:
	v_add_u32_e32 v2, -16, v0
; %bb.5:
	s_or_b64 exec, exec, s[8:9]
.LBB129_6:
	s_or_b64 exec, exec, s[10:11]
	s_load_dword s18, s[4:5], 0x18
	s_load_dwordx2 s[16:17], s[4:5], 0x0
	s_load_dwordx4 s[20:23], s[4:5], 0x8
	s_load_dwordx8 s[8:15], s[4:5], 0x20
	s_lshl_b32 s24, s6, 1
	s_waitcnt lgkmcnt(0)
	s_ashr_i32 s19, s18, 31
	s_lshl_b64 s[4:5], s[18:19], 4
	s_add_u32 s27, s4, 16
	s_addc_u32 s28, s5, 0
	s_mul_i32 s25, s28, s24
	s_mul_hi_u32 s26, s27, s24
	s_add_i32 s31, s26, s25
	s_mul_i32 s9, s7, s9
	s_mul_hi_u32 s25, s7, s8
	s_add_i32 s9, s25, s9
	s_mul_i32 s8, s7, s8
	s_lshl_b64 s[8:9], s[8:9], 3
	s_mul_i32 s30, s27, s24
	s_add_u32 s20, s20, s8
	s_addc_u32 s21, s21, s9
	s_lshl_b64 s[8:9], s[30:31], 3
	s_add_u32 s20, s20, s8
	s_addc_u32 s21, s21, s9
	s_lshl_b64 s[8:9], s[22:23], 3
	s_add_u32 s25, s20, s8
	v_mov_b32_e32 v1, 0x1800
	s_addc_u32 s26, s21, s9
	v_cndmask_b32_e64 v1, 0, v1, s[2:3]
	v_mov_b32_e32 v6, 0x1000
	s_and_saveexec_b64 s[8:9], vcc
	s_xor_b64 s[8:9], exec, s[8:9]
	s_cbranch_execz .LBB129_13
; %bb.7:
	v_cmp_gt_u32_e32 vcc, 48, v0
	s_and_saveexec_b64 s[20:21], vcc
	s_cbranch_execz .LBB129_12
; %bb.8:
	v_mov_b32_e32 v3, 0
	s_cmpk_eq_i32 s16, 0x7a
	s_mov_b64 s[22:23], -1
	v_lshlrev_b64 v[4:5], 3, v[2:3]
	s_cbranch_scc1 .LBB129_10
; %bb.9:
	s_lshl_b64 s[22:23], s[18:19], 7
	s_add_u32 s22, s25, s22
	s_addc_u32 s23, s26, s23
	v_mov_b32_e32 v3, s23
	v_add_co_u32_e32 v8, vcc, s22, v4
	v_addc_co_u32_e32 v9, vcc, v3, v5, vcc
	v_mov_b32_e32 v3, 0x78
	v_mad_i64_i32 v[10:11], s[22:23], s18, v3, v[8:9]
	s_lshl_b64 s[22:23], s[18:19], 3
	global_load_dwordx2 v[12:13], v[10:11], off
	v_mov_b32_e32 v3, s23
	v_subrev_co_u32_e32 v10, vcc, s22, v10
	v_subb_co_u32_e32 v11, vcc, v11, v3, vcc
	global_load_dwordx2 v[14:15], v[10:11], off
	v_subrev_co_u32_e32 v10, vcc, s22, v10
	v_subb_co_u32_e32 v11, vcc, v11, v3, vcc
	global_load_dwordx2 v[16:17], v[10:11], off
	;; [unrolled: 3-line block ×14, first 2 shown]
	global_load_dwordx2 v[42:43], v[10:11], off
	v_lshlrev_b32_e32 v3, 3, v2
	s_mov_b64 s[22:23], 0
	s_waitcnt vmcnt(14)
	ds_write2_b64 v3, v[14:15], v[12:13] offset0:224 offset1:240
	s_waitcnt vmcnt(12)
	ds_write2_b64 v3, v[18:19], v[16:17] offset0:192 offset1:208
	;; [unrolled: 2-line block ×7, first 2 shown]
	s_waitcnt vmcnt(0)
	ds_write2_b64 v3, v[40:41], v[42:43] offset1:16
.LBB129_10:
	s_andn2_b64 vcc, exec, s[22:23]
	s_cbranch_vccnz .LBB129_12
; %bb.11:
	v_mov_b32_e32 v3, s26
	v_add_co_u32_e32 v4, vcc, s25, v4
	v_addc_co_u32_e32 v5, vcc, v3, v5, vcc
	s_lshl_b64 s[22:23], s[18:19], 3
	v_mov_b32_e32 v3, s23
	v_add_co_u32_e32 v8, vcc, s22, v4
	v_addc_co_u32_e32 v9, vcc, v5, v3, vcc
	global_load_dwordx2 v[10:11], v[4:5], off offset:128
	global_load_dwordx2 v[12:13], v[8:9], off offset:128
	v_add_co_u32_e32 v4, vcc, s22, v8
	v_addc_co_u32_e32 v5, vcc, v9, v3, vcc
	global_load_dwordx2 v[8:9], v[4:5], off offset:128
	v_add_co_u32_e32 v4, vcc, s22, v4
	v_addc_co_u32_e32 v5, vcc, v5, v3, vcc
	;; [unrolled: 3-line block ×14, first 2 shown]
	global_load_dwordx2 v[4:5], v[4:5], off offset:128
	v_lshlrev_b32_e32 v3, 3, v2
	s_waitcnt vmcnt(14)
	ds_write2_b64 v3, v[10:11], v[12:13] offset1:16
	s_waitcnt vmcnt(12)
	ds_write2_b64 v3, v[8:9], v[14:15] offset0:32 offset1:48
	s_waitcnt vmcnt(10)
	ds_write2_b64 v3, v[16:17], v[18:19] offset0:64 offset1:80
	;; [unrolled: 2-line block ×7, first 2 shown]
.LBB129_12:
	s_or_b64 exec, exec, s[20:21]
.LBB129_13:
	s_or_saveexec_b64 s[8:9], s[8:9]
	v_cndmask_b32_e64 v1, v1, v6, s[0:1]
	s_xor_b64 exec, exec, s[8:9]
	s_cbranch_execz .LBB129_80
; %bb.14:
	v_mov_b32_e32 v3, s28
	v_cndmask_b32_e64 v5, v3, 0, s[0:1]
	v_mov_b32_e32 v3, s27
	v_cndmask_b32_e64 v4, v3, 0, s[0:1]
	s_mov_b64 s[20:21], -1
	s_cmpk_eq_i32 s16, 0x7a
	v_lshlrev_b64 v[4:5], 3, v[4:5]
	s_cbranch_scc1 .LBB129_48
; %bb.15:
	v_mov_b32_e32 v3, 0
	v_mov_b32_e32 v6, s26
	v_add_co_u32_e32 v8, vcc, s25, v4
	v_addc_co_u32_e32 v9, vcc, v6, v5, vcc
	v_lshlrev_b64 v[6:7], 3, v[2:3]
	v_add_co_u32_e32 v6, vcc, v8, v6
	v_addc_co_u32_e32 v7, vcc, v9, v7, vcc
	v_pk_mov_b32 v[8:9], 0, 0
	v_cmp_gt_u32_e32 vcc, 16, v2
	v_pk_mov_b32 v[10:11], v[8:9], v[8:9] op_sel:[0,1]
	s_and_saveexec_b64 s[20:21], vcc
	s_cbranch_execz .LBB129_17
; %bb.16:
	v_mov_b32_e32 v3, 0x78
	v_mad_i64_i32 v[10:11], s[22:23], s18, v3, v[6:7]
	global_load_dwordx2 v[10:11], v[10:11], off
.LBB129_17:
	s_or_b64 exec, exec, s[20:21]
	v_sub_u32_e32 v3, 0xffffff10, v2
	v_lshl_add_u32 v3, v3, 3, v1
	v_cmp_gt_u32_e32 vcc, 15, v2
	s_waitcnt vmcnt(0)
	ds_write_b64 v3, v[10:11] offset:2040
	s_and_saveexec_b64 s[20:21], vcc
	s_cbranch_execz .LBB129_19
; %bb.18:
	v_mov_b32_e32 v3, 0x70
	v_mad_i64_i32 v[8:9], s[22:23], s18, v3, v[6:7]
	global_load_dwordx2 v[8:9], v[8:9], off
.LBB129_19:
	s_or_b64 exec, exec, s[20:21]
	v_sub_u32_e32 v3, 0xffffff20, v2
	v_lshl_add_u32 v3, v3, 3, v1
	s_waitcnt vmcnt(0)
	ds_write_b64 v3, v[8:9] offset:2040
	v_pk_mov_b32 v[8:9], 0, 0
	v_cmp_gt_u32_e32 vcc, 14, v2
	v_pk_mov_b32 v[10:11], v[8:9], v[8:9] op_sel:[0,1]
	s_and_saveexec_b64 s[20:21], vcc
	s_cbranch_execz .LBB129_21
; %bb.20:
	v_mov_b32_e32 v3, 0x68
	v_mad_i64_i32 v[10:11], s[22:23], s18, v3, v[6:7]
	global_load_dwordx2 v[10:11], v[10:11], off
.LBB129_21:
	s_or_b64 exec, exec, s[20:21]
	v_sub_u32_e32 v3, 0xffffff30, v2
	v_lshl_add_u32 v3, v3, 3, v1
	v_cmp_gt_u32_e32 vcc, 13, v2
	s_waitcnt vmcnt(0)
	ds_write_b64 v3, v[10:11] offset:2040
	s_and_saveexec_b64 s[20:21], vcc
	s_cbranch_execz .LBB129_23
; %bb.22:
	v_mov_b32_e32 v3, 0x60
	v_mad_i64_i32 v[8:9], s[22:23], s18, v3, v[6:7]
	global_load_dwordx2 v[8:9], v[8:9], off
.LBB129_23:
	s_or_b64 exec, exec, s[20:21]
	v_sub_u32_e32 v3, 0xffffff40, v2
	v_lshl_add_u32 v3, v3, 3, v1
	s_waitcnt vmcnt(0)
	ds_write_b64 v3, v[8:9] offset:2040
	;; [unrolled: 28-line block ×3, first 2 shown]
	v_pk_mov_b32 v[8:9], 0, 0
	v_cmp_gt_u32_e32 vcc, 10, v2
	v_pk_mov_b32 v[10:11], v[8:9], v[8:9] op_sel:[0,1]
	s_and_saveexec_b64 s[20:21], vcc
	s_cbranch_execz .LBB129_29
; %bb.28:
	v_mov_b32_e32 v3, 0x48
	v_mad_i64_i32 v[10:11], s[22:23], s18, v3, v[6:7]
	global_load_dwordx2 v[10:11], v[10:11], off
.LBB129_29:
	s_or_b64 exec, exec, s[20:21]
	v_sub_u32_e32 v3, 0xffffff70, v2
	v_lshl_add_u32 v3, v3, 3, v1
	v_cmp_gt_u32_e32 vcc, 9, v2
	s_waitcnt vmcnt(0)
	ds_write_b64 v3, v[10:11] offset:2040
	s_and_saveexec_b64 s[20:21], vcc
	s_cbranch_execz .LBB129_31
; %bb.30:
	s_lshl_b64 s[22:23], s[18:19], 6
	v_mov_b32_e32 v3, s23
	v_add_co_u32_e32 v8, vcc, s22, v6
	v_addc_co_u32_e32 v9, vcc, v7, v3, vcc
	global_load_dwordx2 v[8:9], v[8:9], off
.LBB129_31:
	s_or_b64 exec, exec, s[20:21]
	v_sub_u32_e32 v3, 0xffffff80, v2
	v_lshl_add_u32 v3, v3, 3, v1
	s_waitcnt vmcnt(0)
	ds_write_b64 v3, v[8:9] offset:2040
	v_pk_mov_b32 v[8:9], 0, 0
	v_cmp_gt_u32_e32 vcc, 8, v2
	v_pk_mov_b32 v[10:11], v[8:9], v[8:9] op_sel:[0,1]
	s_and_saveexec_b64 s[20:21], vcc
	s_cbranch_execz .LBB129_33
; %bb.32:
	v_mad_i64_i32 v[10:11], s[22:23], s18, 56, v[6:7]
	global_load_dwordx2 v[10:11], v[10:11], off
.LBB129_33:
	s_or_b64 exec, exec, s[20:21]
	v_sub_u32_e32 v3, 0xffffff90, v2
	v_lshl_add_u32 v3, v3, 3, v1
	v_cmp_gt_u32_e32 vcc, 7, v2
	s_waitcnt vmcnt(0)
	ds_write_b64 v3, v[10:11] offset:2040
	s_and_saveexec_b64 s[20:21], vcc
	s_cbranch_execz .LBB129_35
; %bb.34:
	v_mad_i64_i32 v[8:9], s[22:23], s18, 48, v[6:7]
	global_load_dwordx2 v[8:9], v[8:9], off
.LBB129_35:
	s_or_b64 exec, exec, s[20:21]
	v_sub_u32_e32 v3, 0xffffffa0, v2
	v_lshl_add_u32 v3, v3, 3, v1
	s_waitcnt vmcnt(0)
	ds_write_b64 v3, v[8:9] offset:2040
	v_pk_mov_b32 v[8:9], 0, 0
	v_cmp_gt_u32_e32 vcc, 6, v2
	v_pk_mov_b32 v[10:11], v[8:9], v[8:9] op_sel:[0,1]
	s_and_saveexec_b64 s[20:21], vcc
	s_cbranch_execz .LBB129_37
; %bb.36:
	v_mad_i64_i32 v[10:11], s[22:23], s18, 40, v[6:7]
	global_load_dwordx2 v[10:11], v[10:11], off
.LBB129_37:
	s_or_b64 exec, exec, s[20:21]
	v_sub_u32_e32 v3, 0xffffffb0, v2
	v_lshl_add_u32 v3, v3, 3, v1
	v_cmp_gt_u32_e32 vcc, 5, v2
	s_waitcnt vmcnt(0)
	ds_write_b64 v3, v[10:11] offset:2040
	s_and_saveexec_b64 s[20:21], vcc
	s_cbranch_execz .LBB129_39
; %bb.38:
	s_lshl_b64 s[22:23], s[18:19], 5
	v_mov_b32_e32 v3, s23
	v_add_co_u32_e32 v8, vcc, s22, v6
	v_addc_co_u32_e32 v9, vcc, v7, v3, vcc
	global_load_dwordx2 v[8:9], v[8:9], off
.LBB129_39:
	s_or_b64 exec, exec, s[20:21]
	v_sub_u32_e32 v3, 0xffffffc0, v2
	v_lshl_add_u32 v3, v3, 3, v1
	s_waitcnt vmcnt(0)
	ds_write_b64 v3, v[8:9] offset:2040
	v_pk_mov_b32 v[8:9], 0, 0
	v_cmp_gt_u32_e32 vcc, 4, v2
	v_pk_mov_b32 v[10:11], v[8:9], v[8:9] op_sel:[0,1]
	s_and_saveexec_b64 s[20:21], vcc
	s_cbranch_execz .LBB129_41
; %bb.40:
	v_mad_i64_i32 v[10:11], s[22:23], s18, 24, v[6:7]
	global_load_dwordx2 v[10:11], v[10:11], off
.LBB129_41:
	s_or_b64 exec, exec, s[20:21]
	v_sub_u32_e32 v3, 0xffffffd0, v2
	v_lshl_add_u32 v3, v3, 3, v1
	v_cmp_gt_u32_e32 vcc, 3, v2
	s_waitcnt vmcnt(0)
	ds_write_b64 v3, v[10:11] offset:2040
	s_and_saveexec_b64 s[20:21], vcc
	s_cbranch_execz .LBB129_43
; %bb.42:
	v_mov_b32_e32 v3, s5
	v_add_co_u32_e32 v8, vcc, s4, v6
	v_addc_co_u32_e32 v9, vcc, v7, v3, vcc
	global_load_dwordx2 v[8:9], v[8:9], off
.LBB129_43:
	s_or_b64 exec, exec, s[20:21]
	v_sub_u32_e32 v3, 0xffffffe0, v2
	v_lshl_add_u32 v3, v3, 3, v1
	s_waitcnt vmcnt(0)
	ds_write_b64 v3, v[8:9] offset:2040
	v_pk_mov_b32 v[8:9], 0, 0
	v_cmp_gt_u32_e32 vcc, 2, v2
	v_pk_mov_b32 v[10:11], v[8:9], v[8:9] op_sel:[0,1]
	s_and_saveexec_b64 s[20:21], vcc
	s_cbranch_execz .LBB129_45
; %bb.44:
	s_lshl_b64 s[22:23], s[18:19], 3
	v_mov_b32_e32 v3, s23
	v_add_co_u32_e32 v10, vcc, s22, v6
	v_addc_co_u32_e32 v11, vcc, v7, v3, vcc
	global_load_dwordx2 v[10:11], v[10:11], off
.LBB129_45:
	s_or_b64 exec, exec, s[20:21]
	v_sub_u32_e32 v3, -16, v2
	v_lshl_add_u32 v3, v3, 3, v1
	v_cmp_eq_u32_e32 vcc, 0, v2
	s_waitcnt vmcnt(0)
	ds_write_b64 v3, v[10:11] offset:2040
	s_and_saveexec_b64 s[20:21], vcc
	s_cbranch_execz .LBB129_47
; %bb.46:
	global_load_dwordx2 v[8:9], v[6:7], off
.LBB129_47:
	s_or_b64 exec, exec, s[20:21]
	v_lshlrev_b32_e32 v3, 3, v2
	v_sub_u32_e32 v3, v1, v3
	s_mov_b64 s[20:21], 0
	s_waitcnt vmcnt(0)
	ds_write_b64 v3, v[8:9] offset:2040
.LBB129_48:
	s_and_b64 vcc, exec, s[20:21]
	s_cbranch_vccz .LBB129_80
; %bb.49:
	v_mov_b32_e32 v3, 0
	v_mov_b32_e32 v6, s26
	v_add_co_u32_e32 v7, vcc, s25, v4
	v_addc_co_u32_e32 v6, vcc, v6, v5, vcc
	v_lshlrev_b64 v[4:5], 3, v[2:3]
	v_add_co_u32_e32 v4, vcc, v7, v4
	v_addc_co_u32_e32 v5, vcc, v6, v5, vcc
	global_load_dwordx2 v[8:9], v[4:5], off
	v_lshl_add_u32 v3, v2, 3, v1
	v_pk_mov_b32 v[6:7], 0, 0
	v_cmp_ne_u32_e32 vcc, 0, v2
	s_waitcnt vmcnt(0)
	ds_write_b64 v3, v[8:9]
	v_pk_mov_b32 v[8:9], v[6:7], v[6:7] op_sel:[0,1]
	s_and_saveexec_b64 s[20:21], vcc
	s_cbranch_execz .LBB129_51
; %bb.50:
	s_lshl_b64 s[22:23], s[18:19], 3
	v_mov_b32_e32 v9, s23
	v_add_co_u32_e32 v8, vcc, s22, v4
	v_addc_co_u32_e32 v9, vcc, v5, v9, vcc
	global_load_dwordx2 v[8:9], v[8:9], off
.LBB129_51:
	s_or_b64 exec, exec, s[20:21]
	v_cmp_lt_u32_e32 vcc, 1, v2
	s_waitcnt vmcnt(0)
	ds_write_b64 v3, v[8:9] offset:128
	s_and_saveexec_b64 s[20:21], vcc
	s_cbranch_execz .LBB129_53
; %bb.52:
	v_mov_b32_e32 v7, s5
	v_add_co_u32_e32 v6, vcc, s4, v4
	v_addc_co_u32_e32 v7, vcc, v5, v7, vcc
	global_load_dwordx2 v[6:7], v[6:7], off
.LBB129_53:
	s_or_b64 exec, exec, s[20:21]
	s_waitcnt vmcnt(0)
	ds_write_b64 v3, v[6:7] offset:256
	v_pk_mov_b32 v[6:7], 0, 0
	v_cmp_lt_u32_e32 vcc, 2, v2
	v_pk_mov_b32 v[8:9], v[6:7], v[6:7] op_sel:[0,1]
	s_and_saveexec_b64 s[4:5], vcc
	s_cbranch_execz .LBB129_55
; %bb.54:
	v_mad_i64_i32 v[8:9], s[20:21], s18, 24, v[4:5]
	global_load_dwordx2 v[8:9], v[8:9], off
.LBB129_55:
	s_or_b64 exec, exec, s[4:5]
	v_cmp_lt_u32_e32 vcc, 3, v2
	s_waitcnt vmcnt(0)
	ds_write_b64 v3, v[8:9] offset:384
	s_and_saveexec_b64 s[4:5], vcc
	s_cbranch_execz .LBB129_57
; %bb.56:
	s_lshl_b64 s[20:21], s[18:19], 5
	v_mov_b32_e32 v7, s21
	v_add_co_u32_e32 v6, vcc, s20, v4
	v_addc_co_u32_e32 v7, vcc, v5, v7, vcc
	global_load_dwordx2 v[6:7], v[6:7], off
.LBB129_57:
	s_or_b64 exec, exec, s[4:5]
	s_waitcnt vmcnt(0)
	ds_write_b64 v3, v[6:7] offset:512
	v_pk_mov_b32 v[6:7], 0, 0
	v_cmp_lt_u32_e32 vcc, 4, v2
	v_pk_mov_b32 v[8:9], v[6:7], v[6:7] op_sel:[0,1]
	s_and_saveexec_b64 s[4:5], vcc
	s_cbranch_execz .LBB129_59
; %bb.58:
	v_mad_i64_i32 v[8:9], s[20:21], s18, 40, v[4:5]
	global_load_dwordx2 v[8:9], v[8:9], off
.LBB129_59:
	s_or_b64 exec, exec, s[4:5]
	v_cmp_lt_u32_e32 vcc, 5, v2
	s_waitcnt vmcnt(0)
	ds_write_b64 v3, v[8:9] offset:640
	s_and_saveexec_b64 s[4:5], vcc
	s_cbranch_execz .LBB129_61
; %bb.60:
	v_mad_i64_i32 v[6:7], s[20:21], s18, 48, v[4:5]
	global_load_dwordx2 v[6:7], v[6:7], off
.LBB129_61:
	s_or_b64 exec, exec, s[4:5]
	s_waitcnt vmcnt(0)
	ds_write_b64 v3, v[6:7] offset:768
	v_pk_mov_b32 v[6:7], 0, 0
	v_cmp_lt_u32_e32 vcc, 6, v2
	v_pk_mov_b32 v[8:9], v[6:7], v[6:7] op_sel:[0,1]
	s_and_saveexec_b64 s[4:5], vcc
	s_cbranch_execz .LBB129_63
; %bb.62:
	v_mad_i64_i32 v[8:9], s[20:21], s18, 56, v[4:5]
	global_load_dwordx2 v[8:9], v[8:9], off
.LBB129_63:
	s_or_b64 exec, exec, s[4:5]
	v_cmp_lt_u32_e32 vcc, 7, v2
	s_waitcnt vmcnt(0)
	ds_write_b64 v3, v[8:9] offset:896
	s_and_saveexec_b64 s[4:5], vcc
	s_cbranch_execz .LBB129_65
; %bb.64:
	s_lshl_b64 s[20:21], s[18:19], 6
	v_mov_b32_e32 v7, s21
	v_add_co_u32_e32 v6, vcc, s20, v4
	v_addc_co_u32_e32 v7, vcc, v5, v7, vcc
	global_load_dwordx2 v[6:7], v[6:7], off
.LBB129_65:
	s_or_b64 exec, exec, s[4:5]
	s_waitcnt vmcnt(0)
	ds_write_b64 v3, v[6:7] offset:1024
	v_pk_mov_b32 v[6:7], 0, 0
	v_cmp_lt_u32_e32 vcc, 8, v2
	v_pk_mov_b32 v[8:9], v[6:7], v[6:7] op_sel:[0,1]
	s_and_saveexec_b64 s[4:5], vcc
	s_cbranch_execz .LBB129_67
; %bb.66:
	v_mov_b32_e32 v8, 0x48
	v_mad_i64_i32 v[8:9], s[20:21], s18, v8, v[4:5]
	global_load_dwordx2 v[8:9], v[8:9], off
.LBB129_67:
	s_or_b64 exec, exec, s[4:5]
	v_cmp_lt_u32_e32 vcc, 9, v2
	s_waitcnt vmcnt(0)
	ds_write_b64 v3, v[8:9] offset:1152
	s_and_saveexec_b64 s[4:5], vcc
	s_cbranch_execz .LBB129_69
; %bb.68:
	v_mov_b32_e32 v6, 0x50
	v_mad_i64_i32 v[6:7], s[20:21], s18, v6, v[4:5]
	global_load_dwordx2 v[6:7], v[6:7], off
.LBB129_69:
	s_or_b64 exec, exec, s[4:5]
	s_waitcnt vmcnt(0)
	ds_write_b64 v3, v[6:7] offset:1280
	v_pk_mov_b32 v[6:7], 0, 0
	v_cmp_lt_u32_e32 vcc, 10, v2
	v_pk_mov_b32 v[8:9], v[6:7], v[6:7] op_sel:[0,1]
	s_and_saveexec_b64 s[4:5], vcc
	s_cbranch_execz .LBB129_71
; %bb.70:
	v_mov_b32_e32 v8, 0x58
	v_mad_i64_i32 v[8:9], s[20:21], s18, v8, v[4:5]
	global_load_dwordx2 v[8:9], v[8:9], off
.LBB129_71:
	s_or_b64 exec, exec, s[4:5]
	v_cmp_lt_u32_e32 vcc, 11, v2
	s_waitcnt vmcnt(0)
	ds_write_b64 v3, v[8:9] offset:1408
	s_and_saveexec_b64 s[4:5], vcc
	s_cbranch_execz .LBB129_73
; %bb.72:
	v_mov_b32_e32 v6, 0x60
	v_mad_i64_i32 v[6:7], s[20:21], s18, v6, v[4:5]
	global_load_dwordx2 v[6:7], v[6:7], off
.LBB129_73:
	s_or_b64 exec, exec, s[4:5]
	s_waitcnt vmcnt(0)
	ds_write_b64 v3, v[6:7] offset:1536
	v_pk_mov_b32 v[6:7], 0, 0
	v_cmp_lt_u32_e32 vcc, 12, v2
	v_pk_mov_b32 v[8:9], v[6:7], v[6:7] op_sel:[0,1]
	s_and_saveexec_b64 s[4:5], vcc
	s_cbranch_execz .LBB129_75
; %bb.74:
	v_mov_b32_e32 v8, 0x68
	v_mad_i64_i32 v[8:9], s[20:21], s18, v8, v[4:5]
	global_load_dwordx2 v[8:9], v[8:9], off
.LBB129_75:
	s_or_b64 exec, exec, s[4:5]
	v_cmp_lt_u32_e32 vcc, 13, v2
	s_waitcnt vmcnt(0)
	ds_write_b64 v3, v[8:9] offset:1664
	s_and_saveexec_b64 s[4:5], vcc
	s_cbranch_execz .LBB129_77
; %bb.76:
	v_mov_b32_e32 v6, 0x70
	v_mad_i64_i32 v[6:7], s[20:21], s18, v6, v[4:5]
	global_load_dwordx2 v[6:7], v[6:7], off
.LBB129_77:
	s_or_b64 exec, exec, s[4:5]
	s_waitcnt vmcnt(0)
	ds_write_b64 v3, v[6:7] offset:1792
	v_cmp_lt_u32_e32 vcc, 14, v2
	v_pk_mov_b32 v[6:7], 0, 0
	s_and_saveexec_b64 s[4:5], vcc
	s_cbranch_execz .LBB129_79
; %bb.78:
	v_mov_b32_e32 v6, 0x78
	v_mad_i64_i32 v[4:5], s[18:19], s18, v6, v[4:5]
	global_load_dwordx2 v[6:7], v[4:5], off
.LBB129_79:
	s_or_b64 exec, exec, s[4:5]
	s_waitcnt vmcnt(0)
	ds_write_b64 v3, v[6:7] offset:1920
.LBB129_80:
	s_or_b64 exec, exec, s[8:9]
	s_waitcnt lgkmcnt(0)
	s_barrier
	s_and_saveexec_b64 s[4:5], s[2:3]
	s_cbranch_execz .LBB129_86
; %bb.81:
	v_mul_i32_i24_e32 v3, 0x88, v2
	v_mov_b32_e32 v6, 0
	s_cmpk_eq_i32 s17, 0x84
	v_mov_b32_e32 v7, 0x3ff00000
	v_add_u32_e32 v3, v1, v3
	s_cbranch_scc1 .LBB129_85
; %bb.82:
	ds_read_b64 v[4:5], v3
	v_mov_b32_e32 v6, 0
	v_mov_b32_e32 v7, 0x3ff00000
	s_waitcnt lgkmcnt(0)
	v_cmp_neq_f64_e32 vcc, 0, v[4:5]
	s_and_saveexec_b64 s[8:9], vcc
; %bb.83:
	v_div_scale_f64 v[6:7], s[18:19], v[4:5], v[4:5], 1.0
	v_rcp_f64_e32 v[8:9], v[6:7]
	v_div_scale_f64 v[10:11], vcc, 1.0, v[4:5], 1.0
	v_fma_f64 v[12:13], -v[6:7], v[8:9], 1.0
	v_fmac_f64_e32 v[8:9], v[8:9], v[12:13]
	v_fma_f64 v[12:13], -v[6:7], v[8:9], 1.0
	v_fmac_f64_e32 v[8:9], v[8:9], v[12:13]
	v_mul_f64 v[12:13], v[10:11], v[8:9]
	v_fma_f64 v[6:7], -v[6:7], v[12:13], v[10:11]
	v_div_fmas_f64 v[6:7], v[6:7], v[8:9], v[12:13]
	v_div_fixup_f64 v[6:7], v[6:7], v[4:5], 1.0
; %bb.84:
	s_or_b64 exec, exec, s[8:9]
.LBB129_85:
	ds_write_b64 v3, v[6:7]
.LBB129_86:
	s_or_b64 exec, exec, s[4:5]
	s_waitcnt lgkmcnt(0)
	s_barrier
	s_and_saveexec_b64 s[4:5], s[2:3]
	s_cbranch_execz .LBB129_108
; %bb.87:
	v_lshl_add_u32 v3, v2, 3, v1
	v_mul_i32_i24_e32 v4, 0x88, v2
	v_add_u32_e32 v6, 0x80, v3
	v_add_u32_e32 v7, 8, v1
	;; [unrolled: 1-line block ×4, first 2 shown]
	s_mov_b32 s17, 0
	v_add_u32_e32 v10, v1, v4
	s_branch .LBB129_89
.LBB129_88:                             ;   in Loop: Header=BB129_89 Depth=1
	v_add_u32_e32 v6, 0x100, v6
	v_add_u32_e32 v7, 16, v7
	;; [unrolled: 1-line block ×3, first 2 shown]
	s_cmp_eq_u32 s17, 16
	v_add_u32_e32 v9, 0x100, v9
	s_cbranch_scc1 .LBB129_108
.LBB129_89:                             ; =>This Loop Header: Depth=1
                                        ;     Child Loop BB129_95 Depth 2
                                        ;     Child Loop BB129_104 Depth 2
	v_cmp_ge_i32_e32 vcc, s17, v2
                                        ; implicit-def: $sgpr18_sgpr19
                                        ; implicit-def: $sgpr20
	s_and_saveexec_b64 s[8:9], vcc
	s_xor_b64 s[8:9], exec, s[8:9]
; %bb.90:                               ;   in Loop: Header=BB129_89 Depth=1
	s_lshl_b32 s20, s17, 7
	s_mov_b64 s[18:19], 0
; %bb.91:                               ;   in Loop: Header=BB129_89 Depth=1
	s_or_saveexec_b64 s[8:9], s[8:9]
	v_mov_b32_e32 v12, s20
	v_pk_mov_b32 v[4:5], s[18:19], s[18:19] op_sel:[0,1]
	s_xor_b64 exec, exec, s[8:9]
	s_cbranch_execz .LBB129_93
; %bb.92:                               ;   in Loop: Header=BB129_89 Depth=1
	s_mul_i32 s18, s17, 0x88
	v_add_u32_e32 v11, s18, v1
	s_lshl_b32 s18, s17, 7
	v_add_u32_e32 v4, s18, v3
	ds_read_b64 v[4:5], v4
	ds_read_b64 v[12:13], v11
	s_waitcnt lgkmcnt(0)
	v_fma_f64 v[4:5], v[4:5], v[12:13], 0
	v_mov_b32_e32 v12, s18
.LBB129_93:                             ;   in Loop: Header=BB129_89 Depth=1
	s_or_b64 exec, exec, s[8:9]
	s_or_b32 s18, s17, 1
	v_add_u32_e32 v11, v7, v12
	v_add_u32_e32 v12, v3, v12
	v_mov_b32_e32 v13, v6
	s_mov_b32 s19, s18
	s_branch .LBB129_95
.LBB129_94:                             ;   in Loop: Header=BB129_95 Depth=2
	s_or_b64 exec, exec, s[8:9]
	s_add_i32 s8, s19, 1
	v_add_u32_e32 v13, 0x80, v13
	v_add_u32_e32 v11, 8, v11
	s_cmp_gt_u32 s19, 14
	s_mov_b32 s19, s8
	s_cbranch_scc1 .LBB129_99
.LBB129_95:                             ;   Parent Loop BB129_89 Depth=1
                                        ; =>  This Inner Loop Header: Depth=2
	v_cmp_eq_u32_e32 vcc, s19, v2
	s_and_saveexec_b64 s[8:9], vcc
	s_cbranch_execz .LBB129_97
; %bb.96:                               ;   in Loop: Header=BB129_95 Depth=2
	ds_read_b64 v[14:15], v10
	v_add_f64 v[16:17], -v[4:5], 0
	s_waitcnt lgkmcnt(0)
	v_mul_f64 v[14:15], v[16:17], v[14:15]
	ds_write_b64 v12, v[14:15]
.LBB129_97:                             ;   in Loop: Header=BB129_95 Depth=2
	s_or_b64 exec, exec, s[8:9]
	v_cmp_lt_i32_e32 vcc, s19, v2
	s_and_saveexec_b64 s[8:9], vcc
	s_cbranch_execz .LBB129_94
; %bb.98:                               ;   in Loop: Header=BB129_95 Depth=2
	ds_read_b64 v[14:15], v13
	ds_read_b64 v[16:17], v11
	s_waitcnt lgkmcnt(0)
	v_fmac_f64_e32 v[4:5], v[14:15], v[16:17]
	s_branch .LBB129_94
.LBB129_99:                             ;   in Loop: Header=BB129_89 Depth=1
	v_cmp_lt_i32_e32 vcc, s18, v2
	v_pk_mov_b32 v[4:5], 0, 0
	s_and_saveexec_b64 s[8:9], vcc
	s_cbranch_execz .LBB129_101
; %bb.100:                              ;   in Loop: Header=BB129_89 Depth=1
	s_mul_i32 s19, s18, 0x88
	v_lshl_add_u32 v4, s18, 7, v3
	v_add_u32_e32 v11, s19, v1
	ds_read_b64 v[4:5], v4
	ds_read_b64 v[12:13], v11
	s_waitcnt lgkmcnt(0)
	v_fma_f64 v[4:5], v[4:5], v[12:13], 0
.LBB129_101:                            ;   in Loop: Header=BB129_89 Depth=1
	s_or_b64 exec, exec, s[8:9]
	s_add_i32 s17, s17, 2
	s_cmp_gt_u32 s18, 14
	s_cbranch_scc1 .LBB129_88
; %bb.102:                              ;   in Loop: Header=BB129_89 Depth=1
	s_lshl_b32 s8, s18, 7
	v_add_u32_e32 v11, s8, v3
	v_mov_b32_e32 v12, v9
	v_mov_b32_e32 v13, v8
	s_mov_b32 s18, s17
	s_branch .LBB129_104
.LBB129_103:                            ;   in Loop: Header=BB129_104 Depth=2
	s_or_b64 exec, exec, s[8:9]
	s_add_i32 s8, s18, 1
	v_add_u32_e32 v13, 8, v13
	v_add_u32_e32 v12, 0x80, v12
	s_cmp_lt_u32 s18, 15
	s_mov_b32 s18, s8
	s_cbranch_scc0 .LBB129_88
.LBB129_104:                            ;   Parent Loop BB129_89 Depth=1
                                        ; =>  This Inner Loop Header: Depth=2
	v_cmp_eq_u32_e32 vcc, s18, v2
	s_and_saveexec_b64 s[8:9], vcc
	s_cbranch_execz .LBB129_106
; %bb.105:                              ;   in Loop: Header=BB129_104 Depth=2
	ds_read_b64 v[14:15], v10
	v_add_f64 v[16:17], -v[4:5], 0
	s_waitcnt lgkmcnt(0)
	v_mul_f64 v[14:15], v[16:17], v[14:15]
	ds_write_b64 v11, v[14:15]
.LBB129_106:                            ;   in Loop: Header=BB129_104 Depth=2
	s_or_b64 exec, exec, s[8:9]
	v_cmp_lt_i32_e32 vcc, s18, v2
	s_and_saveexec_b64 s[8:9], vcc
	s_cbranch_execz .LBB129_103
; %bb.107:                              ;   in Loop: Header=BB129_104 Depth=2
	ds_read_b64 v[14:15], v12
	ds_read_b64 v[16:17], v13
	s_waitcnt lgkmcnt(0)
	v_fmac_f64_e32 v[4:5], v[14:15], v[16:17]
	s_branch .LBB129_103
.LBB129_108:
	s_or_b64 exec, exec, s[4:5]
	s_cmpk_lg_i32 s16, 0x7a
	s_cselect_b64 s[8:9], -1, 0
	s_movk_i32 s4, 0x100
	v_and_b32_e32 v3, 15, v0
	v_lshrrev_b32_e32 v6, 4, v0
	v_cmp_gt_u32_e64 s[4:5], s4, v0
	s_and_b64 vcc, exec, s[8:9]
	s_waitcnt lgkmcnt(0)
	s_barrier
	s_cbranch_vccz .LBB129_119
; %bb.109:
	s_mov_b64 s[16:17], 0
	s_mov_b64 s[20:21], 0
                                        ; implicit-def: $vgpr4_vgpr5
	s_and_saveexec_b64 s[18:19], s[4:5]
	s_cbranch_execz .LBB129_120
; %bb.110:
	v_and_b32_e32 v4, 0xf0, v0
	s_movk_i32 s20, 0x6f
	v_xor_b32_e32 v7, 0xff, v4
	v_add_u32_e32 v9, 1, v6
	v_cmp_lt_u32_e32 vcc, s20, v0
	v_pk_mov_b32 v[4:5], 0, 0
	v_mov_b32_e32 v8, 0
	s_and_saveexec_b64 s[20:21], vcc
	s_cbranch_execz .LBB129_114
; %bb.111:
	v_mov_b32_e32 v4, 0x17c8
	v_and_b32_e32 v8, 24, v9
	v_lshlrev_b32_e32 v10, 3, v3
	v_lshl_add_u32 v11, v7, 3, v4
	s_mov_b32 s25, 0
	s_mov_b64 s[22:23], 0
	v_pk_mov_b32 v[4:5], 0, 0
.LBB129_112:                            ; =>This Inner Loop Header: Depth=1
	ds_read2_b64 v[12:15], v10 offset1:16
	ds_read_b128 v[16:19], v11
	ds_read_b128 v[20:23], v11 offset:16
	ds_read_b128 v[24:27], v11 offset:32
	;; [unrolled: 1-line block ×3, first 2 shown]
	ds_read2_b64 v[32:35], v10 offset0:32 offset1:48
	ds_read2_b64 v[36:39], v10 offset0:64 offset1:80
	ds_read2_b64 v[40:43], v10 offset0:96 offset1:112
	s_add_i32 s25, s25, 8
	s_waitcnt lgkmcnt(3)
	v_fmac_f64_e32 v[4:5], v[12:13], v[30:31]
	v_fmac_f64_e32 v[4:5], v[14:15], v[28:29]
	s_waitcnt lgkmcnt(2)
	v_fmac_f64_e32 v[4:5], v[32:33], v[26:27]
	v_fmac_f64_e32 v[4:5], v[34:35], v[24:25]
	;; [unrolled: 3-line block ×3, first 2 shown]
	v_cmp_eq_u32_e32 vcc, s25, v8
	s_waitcnt lgkmcnt(0)
	v_fmac_f64_e32 v[4:5], v[40:41], v[18:19]
	v_add_u32_e32 v10, 0x400, v10
	v_subrev_u32_e32 v11, 64, v11
	s_or_b64 s[22:23], vcc, s[22:23]
	v_fmac_f64_e32 v[4:5], v[42:43], v[16:17]
	s_andn2_b64 exec, exec, s[22:23]
	s_cbranch_execnz .LBB129_112
; %bb.113:
	s_or_b64 exec, exec, s[22:23]
.LBB129_114:
	s_or_b64 exec, exec, s[20:21]
	v_and_b32_e32 v9, 7, v9
	v_cmp_ne_u32_e32 vcc, 0, v9
	s_and_saveexec_b64 s[20:21], vcc
	s_cbranch_execz .LBB129_118
; %bb.115:
	v_lshlrev_b32_e32 v7, 3, v7
	v_lshlrev_b32_e32 v10, 3, v8
	v_sub_u32_e32 v7, v7, v10
	v_lshlrev_b32_e32 v10, 3, v3
	v_add_u32_e32 v7, 0x1800, v7
	v_lshl_or_b32 v8, v8, 7, v10
	s_mov_b64 s[22:23], 0
.LBB129_116:                            ; =>This Inner Loop Header: Depth=1
	ds_read_b64 v[10:11], v8
	ds_read_b64 v[12:13], v7
	v_add_u32_e32 v9, -1, v9
	v_cmp_eq_u32_e32 vcc, 0, v9
	v_add_u32_e32 v7, -8, v7
	v_add_u32_e32 v8, 0x80, v8
	s_or_b64 s[22:23], vcc, s[22:23]
	s_waitcnt lgkmcnt(0)
	v_fmac_f64_e32 v[4:5], v[10:11], v[12:13]
	s_andn2_b64 exec, exec, s[22:23]
	s_cbranch_execnz .LBB129_116
; %bb.117:
	s_or_b64 exec, exec, s[22:23]
.LBB129_118:
	s_or_b64 exec, exec, s[20:21]
	s_mov_b64 s[20:21], exec
	s_or_b64 exec, exec, s[18:19]
	s_and_b64 vcc, exec, s[16:17]
	s_cbranch_vccnz .LBB129_121
	s_branch .LBB129_126
.LBB129_119:
	s_mov_b64 s[20:21], 0
                                        ; implicit-def: $vgpr4_vgpr5
	s_cbranch_execnz .LBB129_121
	s_branch .LBB129_126
.LBB129_120:
	s_or_b64 exec, exec, s[18:19]
	s_and_b64 vcc, exec, s[16:17]
	s_cbranch_vccz .LBB129_126
.LBB129_121:
                                        ; implicit-def: $vgpr4_vgpr5
	s_and_saveexec_b64 s[16:17], s[4:5]
	s_cbranch_execz .LBB129_125
; %bb.122:
	v_lshlrev_b32_e32 v4, 3, v0
	v_and_b32_e32 v4, 0x780, v4
	v_lshlrev_b32_e32 v5, 3, v6
	s_movk_i32 s18, 0x1000
	v_or3_b32 v8, v4, v5, s18
	v_lshlrev_b32_e32 v4, 3, v3
	v_add_u32_e32 v7, -1, v6
	v_lshl_or_b32 v9, v6, 7, v4
	s_mov_b64 s[18:19], 0
	v_pk_mov_b32 v[4:5], 0, 0
.LBB129_123:                            ; =>This Inner Loop Header: Depth=1
	ds_read_b64 v[10:11], v9
	ds_read_b64 v[12:13], v8
	v_add_u32_e32 v7, 1, v7
	v_cmp_lt_u32_e32 vcc, 14, v7
	v_add_u32_e32 v8, 8, v8
	v_add_u32_e32 v9, 0x80, v9
	s_or_b64 s[18:19], vcc, s[18:19]
	s_waitcnt lgkmcnt(0)
	v_fmac_f64_e32 v[4:5], v[10:11], v[12:13]
	s_andn2_b64 exec, exec, s[18:19]
	s_cbranch_execnz .LBB129_123
; %bb.124:
	s_or_b64 exec, exec, s[18:19]
	s_or_b64 s[20:21], s[20:21], exec
.LBB129_125:
	s_or_b64 exec, exec, s[16:17]
.LBB129_126:
	s_and_saveexec_b64 s[16:17], s[20:21]
	s_cbranch_execz .LBB129_128
; %bb.127:
	v_lshlrev_b32_e32 v7, 3, v0
	ds_write_b64 v7, v[4:5] offset:2048
.LBB129_128:
	s_or_b64 exec, exec, s[16:17]
	s_bfe_u32 s16, s6, 0x1d0002
	s_mul_i32 s6, s7, s15
	s_mul_hi_u32 s15, s7, s14
	s_add_i32 s15, s15, s6
	s_mul_i32 s14, s7, s14
	s_and_b32 s18, s24, 6
	s_lshl_b64 s[6:7], s[14:15], 3
	s_mov_b32 s17, 0
	s_add_u32 s10, s10, s6
	s_addc_u32 s11, s11, s7
	s_mulk_i32 s18, 0x4080
	s_lshl_b64 s[6:7], s[16:17], 17
	s_or_b32 s6, s6, s18
	s_add_u32 s10, s10, s6
	s_addc_u32 s11, s11, s7
	s_lshl_b64 s[6:7], s[12:13], 3
	s_add_u32 s14, s10, s6
	s_addc_u32 s15, s11, s7
	s_and_b64 vcc, exec, s[8:9]
	s_waitcnt lgkmcnt(0)
	s_barrier
	s_cbranch_vccz .LBB129_134
; %bb.129:
	s_mov_b64 s[10:11], 0
	s_mov_b64 s[6:7], 0
                                        ; implicit-def: $vgpr4_vgpr5
                                        ; implicit-def: $sgpr16
	s_and_saveexec_b64 s[12:13], s[4:5]
	s_cbranch_execz .LBB129_133
; %bb.130:
	v_lshlrev_b32_e32 v5, 3, v0
	v_xor_b32_e32 v4, 0xff, v3
	v_and_b32_e32 v5, 0x780, v5
	v_lshlrev_b32_e32 v8, 3, v3
	s_movk_i32 s6, 0x800
	v_or3_b32 v8, v5, v8, s6
	v_lshlrev_b32_e32 v4, 3, v4
	v_lshlrev_b32_e32 v5, 7, v3
	v_sub_u32_e32 v4, v4, v5
	v_add_u32_e32 v7, -1, v3
	v_or_b32_e32 v9, 0x1000, v4
	s_mov_b64 s[6:7], 0
	v_pk_mov_b32 v[4:5], 0, 0
.LBB129_131:                            ; =>This Inner Loop Header: Depth=1
	ds_read_b64 v[10:11], v9
	ds_read_b64 v[12:13], v8
	v_add_u32_e32 v7, 1, v7
	v_cmp_lt_u32_e32 vcc, 14, v7
	v_add_u32_e32 v8, 8, v8
	v_add_u32_e32 v9, 0xffffff80, v9
	s_or_b64 s[6:7], vcc, s[6:7]
	s_waitcnt lgkmcnt(0)
	v_fma_f64 v[4:5], -v[10:11], v[12:13], v[4:5]
	s_andn2_b64 exec, exec, s[6:7]
	s_cbranch_execnz .LBB129_131
; %bb.132:
	s_or_b64 exec, exec, s[6:7]
	s_mov_b64 s[6:7], exec
	s_movk_i32 s16, 0x800
.LBB129_133:
	s_or_b64 exec, exec, s[12:13]
	s_and_b64 vcc, exec, s[10:11]
	s_cbranch_vccnz .LBB129_135
	s_branch .LBB129_146
.LBB129_134:
	s_mov_b64 s[6:7], 0
                                        ; implicit-def: $vgpr4_vgpr5
                                        ; implicit-def: $sgpr16
	s_cbranch_execz .LBB129_146
.LBB129_135:
                                        ; implicit-def: $vgpr4_vgpr5
                                        ; implicit-def: $sgpr16
	s_and_saveexec_b64 s[10:11], s[4:5]
	s_cbranch_execz .LBB129_145
; %bb.136:
	v_add_u32_e32 v8, 1, v3
	v_cmp_lt_u32_e32 vcc, 6, v3
	v_pk_mov_b32 v[4:5], 0, 0
	v_mov_b32_e32 v7, 0
	v_lshlrev_b32_e32 v0, 3, v0
	s_and_saveexec_b64 s[4:5], vcc
	s_cbranch_execz .LBB129_140
; %bb.137:
	v_mov_b32_e32 v4, 0x1800
	v_lshl_or_b32 v9, v3, 3, v4
	v_and_b32_e32 v4, 0x780, v0
	v_and_b32_e32 v7, 24, v8
	v_or_b32_e32 v10, 0x800, v4
	s_mov_b32 s16, 0
	s_mov_b64 s[12:13], 0
	v_pk_mov_b32 v[4:5], 0, 0
.LBB129_138:                            ; =>This Inner Loop Header: Depth=1
	ds_read2_b64 v[12:15], v9 offset1:16
	ds_read_b128 v[16:19], v10
	ds_read_b128 v[20:23], v10 offset:16
	ds_read_b128 v[24:27], v10 offset:32
	ds_read_b128 v[28:31], v10 offset:48
	ds_read2_b64 v[32:35], v9 offset0:32 offset1:48
	ds_read2_b64 v[36:39], v9 offset0:64 offset1:80
	;; [unrolled: 1-line block ×3, first 2 shown]
	s_waitcnt lgkmcnt(6)
	v_fma_f64 v[4:5], -v[12:13], v[16:17], v[4:5]
	v_fma_f64 v[4:5], -v[14:15], v[18:19], v[4:5]
	s_waitcnt lgkmcnt(2)
	v_fma_f64 v[4:5], -v[32:33], v[20:21], v[4:5]
	v_fma_f64 v[4:5], -v[34:35], v[22:23], v[4:5]
	s_waitcnt lgkmcnt(1)
	v_fma_f64 v[4:5], -v[36:37], v[24:25], v[4:5]
	s_add_i32 s16, s16, 8
	v_fma_f64 v[4:5], -v[38:39], v[26:27], v[4:5]
	v_cmp_eq_u32_e32 vcc, s16, v7
	s_waitcnt lgkmcnt(0)
	v_fma_f64 v[4:5], -v[40:41], v[28:29], v[4:5]
	v_add_u32_e32 v9, 0x400, v9
	v_add_u32_e32 v10, 64, v10
	s_or_b64 s[12:13], vcc, s[12:13]
	v_fma_f64 v[4:5], -v[42:43], v[30:31], v[4:5]
	s_andn2_b64 exec, exec, s[12:13]
	s_cbranch_execnz .LBB129_138
; %bb.139:
	s_or_b64 exec, exec, s[12:13]
.LBB129_140:
	s_or_b64 exec, exec, s[4:5]
	v_and_b32_e32 v8, 7, v8
	v_cmp_ne_u32_e32 vcc, 0, v8
	s_and_saveexec_b64 s[4:5], vcc
	s_cbranch_execz .LBB129_144
; %bb.141:
	v_and_b32_e32 v0, 0x780, v0
	v_lshlrev_b32_e32 v9, 3, v7
	s_movk_i32 s12, 0x800
	v_add3_u32 v0, v0, v9, s12
	v_lshlrev_b32_e32 v9, 3, v3
	v_lshl_or_b32 v7, v7, 7, v9
	v_add_u32_e32 v7, 0x1800, v7
	s_mov_b64 s[12:13], 0
.LBB129_142:                            ; =>This Inner Loop Header: Depth=1
	ds_read_b64 v[10:11], v7
	ds_read_b64 v[12:13], v0
	v_add_u32_e32 v8, -1, v8
	v_cmp_eq_u32_e32 vcc, 0, v8
	v_add_u32_e32 v0, 8, v0
	v_add_u32_e32 v7, 0x80, v7
	s_or_b64 s[12:13], vcc, s[12:13]
	s_waitcnt lgkmcnt(0)
	v_fma_f64 v[4:5], -v[10:11], v[12:13], v[4:5]
	s_andn2_b64 exec, exec, s[12:13]
	s_cbranch_execnz .LBB129_142
; %bb.143:
	s_or_b64 exec, exec, s[12:13]
.LBB129_144:
	s_or_b64 exec, exec, s[4:5]
	s_mov_b32 s16, 16
	s_or_b64 s[6:7], s[6:7], exec
.LBB129_145:
	s_or_b64 exec, exec, s[10:11]
.LBB129_146:
	s_and_saveexec_b64 s[4:5], s[6:7]
	s_cbranch_execnz .LBB129_148
; %bb.147:
	s_or_b64 exec, exec, s[4:5]
	s_and_saveexec_b64 s[4:5], s[2:3]
	s_cbranch_execnz .LBB129_149
	s_branch .LBB129_158
.LBB129_148:
	v_lshlrev_b32_e32 v0, 7, v6
	v_or3_b32 v6, v0, s16, v3
	v_mov_b32_e32 v7, 0
	v_lshlrev_b64 v[6:7], 3, v[6:7]
	v_mov_b32_e32 v0, s15
	v_add_co_u32_e32 v6, vcc, s14, v6
	v_addc_co_u32_e32 v7, vcc, v0, v7, vcc
	global_store_dwordx2 v[6:7], v[4:5], off
	s_or_b64 exec, exec, s[4:5]
	s_and_saveexec_b64 s[4:5], s[2:3]
	s_cbranch_execz .LBB129_158
.LBB129_149:
	v_mov_b32_e32 v0, 0x810
	v_cndmask_b32_e64 v0, v0, 0, s[0:1]
	s_andn2_b64 vcc, exec, s[8:9]
	s_mov_b64 s[0:1], -1
	s_cbranch_vccnz .LBB129_154
; %bb.150:
	s_mov_b32 s0, 16
	v_cmp_gt_i32_e32 vcc, 16, v2
	s_and_saveexec_b64 s[2:3], vcc
	s_cbranch_execz .LBB129_153
; %bb.151:
	v_lshlrev_b32_e32 v4, 3, v0
	v_mov_b32_e32 v3, 0
	v_mov_b32_e32 v5, s15
	v_add_co_u32_e32 v6, vcc, s14, v4
	v_addc_co_u32_e32 v7, vcc, 0, v5, vcc
	v_lshlrev_b64 v[4:5], 3, v[2:3]
	v_add_co_u32_e32 v3, vcc, v6, v4
	v_addc_co_u32_e32 v4, vcc, v7, v5, vcc
	v_lshlrev_b32_e32 v5, 3, v2
	v_sub_u32_e32 v5, v1, v5
	s_mov_b32 s1, 0
	v_add_u32_e32 v5, 0x78, v5
	s_mov_b64 s[4:5], 0
.LBB129_152:                            ; =>This Inner Loop Header: Depth=1
	ds_read_b64 v[6:7], v5
	s_add_i32 s0, s0, -1
	s_lshl_b64 s[6:7], s[0:1], 10
	v_cmp_le_i32_e32 vcc, s0, v2
	v_mov_b32_e32 v9, s7
	s_or_b64 s[4:5], vcc, s[4:5]
	v_add_co_u32_e32 v8, vcc, s6, v3
	v_add_u32_e32 v5, 0x80, v5
	v_addc_co_u32_e32 v9, vcc, v4, v9, vcc
	s_waitcnt lgkmcnt(0)
	global_store_dwordx2 v[8:9], v[6:7], off
	s_andn2_b64 exec, exec, s[4:5]
	s_cbranch_execnz .LBB129_152
.LBB129_153:
	s_or_b64 exec, exec, s[2:3]
	s_mov_b64 s[0:1], 0
.LBB129_154:
	s_andn2_b64 vcc, exec, s[0:1]
	s_cbranch_vccnz .LBB129_158
; %bb.155:
	v_cmp_lt_i32_e32 vcc, -1, v2
	s_and_b64 exec, exec, vcc
	s_cbranch_execz .LBB129_158
; %bb.156:
	v_lshlrev_b32_e32 v0, 3, v0
	v_lshl_add_u32 v4, v2, 3, v1
	v_mov_b32_e32 v3, 0
	v_mov_b32_e32 v1, s15
	v_add_co_u32_e32 v5, vcc, s14, v0
	v_addc_co_u32_e32 v6, vcc, 0, v1, vcc
	v_lshlrev_b64 v[0:1], 3, v[2:3]
	v_add_co_u32_e32 v0, vcc, v5, v0
	v_addc_co_u32_e32 v1, vcc, v6, v1, vcc
	v_add_u32_e32 v2, 1, v2
	s_mov_b64 s[0:1], 0
.LBB129_157:                            ; =>This Inner Loop Header: Depth=1
	ds_read_b64 v[6:7], v4
	v_add_u32_e32 v2, -1, v2
	v_cmp_eq_u32_e32 vcc, 0, v2
	s_or_b64 s[0:1], vcc, s[0:1]
	v_add_u32_e32 v4, 0x80, v4
	s_waitcnt lgkmcnt(0)
	global_store_dwordx2 v[0:1], v[6:7], off
	v_add_co_u32_e32 v0, vcc, 0x400, v0
	v_addc_co_u32_e32 v1, vcc, 0, v1, vcc
	s_andn2_b64 exec, exec, s[0:1]
	s_cbranch_execnz .LBB129_157
.LBB129_158:
	s_endpgm
	.section	.rodata,"a",@progbits
	.p2align	6, 0x0
	.amdhsa_kernel _ZL25rocblas_trtri_trsm_kernelILi128ELi16ELi8EdPKdPdEv13rocblas_fill_17rocblas_diagonal_T3_lilT4_lli
		.amdhsa_group_segment_fixed_size 8192
		.amdhsa_private_segment_fixed_size 0
		.amdhsa_kernarg_size 68
		.amdhsa_user_sgpr_count 6
		.amdhsa_user_sgpr_private_segment_buffer 1
		.amdhsa_user_sgpr_dispatch_ptr 0
		.amdhsa_user_sgpr_queue_ptr 0
		.amdhsa_user_sgpr_kernarg_segment_ptr 1
		.amdhsa_user_sgpr_dispatch_id 0
		.amdhsa_user_sgpr_flat_scratch_init 0
		.amdhsa_user_sgpr_kernarg_preload_length 0
		.amdhsa_user_sgpr_kernarg_preload_offset 0
		.amdhsa_user_sgpr_private_segment_size 0
		.amdhsa_uses_dynamic_stack 0
		.amdhsa_system_sgpr_private_segment_wavefront_offset 0
		.amdhsa_system_sgpr_workgroup_id_x 1
		.amdhsa_system_sgpr_workgroup_id_y 0
		.amdhsa_system_sgpr_workgroup_id_z 1
		.amdhsa_system_sgpr_workgroup_info 0
		.amdhsa_system_vgpr_workitem_id 0
		.amdhsa_next_free_vgpr 44
		.amdhsa_next_free_sgpr 32
		.amdhsa_accum_offset 44
		.amdhsa_reserve_vcc 1
		.amdhsa_reserve_flat_scratch 0
		.amdhsa_float_round_mode_32 0
		.amdhsa_float_round_mode_16_64 0
		.amdhsa_float_denorm_mode_32 3
		.amdhsa_float_denorm_mode_16_64 3
		.amdhsa_dx10_clamp 1
		.amdhsa_ieee_mode 1
		.amdhsa_fp16_overflow 0
		.amdhsa_tg_split 0
		.amdhsa_exception_fp_ieee_invalid_op 0
		.amdhsa_exception_fp_denorm_src 0
		.amdhsa_exception_fp_ieee_div_zero 0
		.amdhsa_exception_fp_ieee_overflow 0
		.amdhsa_exception_fp_ieee_underflow 0
		.amdhsa_exception_fp_ieee_inexact 0
		.amdhsa_exception_int_div_zero 0
	.end_amdhsa_kernel
	.section	.text._ZL25rocblas_trtri_trsm_kernelILi128ELi16ELi8EdPKdPdEv13rocblas_fill_17rocblas_diagonal_T3_lilT4_lli,"axG",@progbits,_ZL25rocblas_trtri_trsm_kernelILi128ELi16ELi8EdPKdPdEv13rocblas_fill_17rocblas_diagonal_T3_lilT4_lli,comdat
.Lfunc_end129:
	.size	_ZL25rocblas_trtri_trsm_kernelILi128ELi16ELi8EdPKdPdEv13rocblas_fill_17rocblas_diagonal_T3_lilT4_lli, .Lfunc_end129-_ZL25rocblas_trtri_trsm_kernelILi128ELi16ELi8EdPKdPdEv13rocblas_fill_17rocblas_diagonal_T3_lilT4_lli
                                        ; -- End function
	.section	.AMDGPU.csdata,"",@progbits
; Kernel info:
; codeLenInByte = 5692
; NumSgprs: 36
; NumVgprs: 44
; NumAgprs: 0
; TotalNumVgprs: 44
; ScratchSize: 0
; MemoryBound: 0
; FloatMode: 240
; IeeeMode: 1
; LDSByteSize: 8192 bytes/workgroup (compile time only)
; SGPRBlocks: 4
; VGPRBlocks: 5
; NumSGPRsForWavesPerEU: 36
; NumVGPRsForWavesPerEU: 44
; AccumOffset: 44
; Occupancy: 8
; WaveLimiterHint : 0
; COMPUTE_PGM_RSRC2:SCRATCH_EN: 0
; COMPUTE_PGM_RSRC2:USER_SGPR: 6
; COMPUTE_PGM_RSRC2:TRAP_HANDLER: 0
; COMPUTE_PGM_RSRC2:TGID_X_EN: 1
; COMPUTE_PGM_RSRC2:TGID_Y_EN: 0
; COMPUTE_PGM_RSRC2:TGID_Z_EN: 1
; COMPUTE_PGM_RSRC2:TIDIG_COMP_CNT: 0
; COMPUTE_PGM_RSRC3_GFX90A:ACCUM_OFFSET: 10
; COMPUTE_PGM_RSRC3_GFX90A:TG_SPLIT: 0
	.section	.text._ZL18rocblas_trtri_fillILi128EdPdEvP15_rocblas_handle13rocblas_fill_ililT1_llii,"axG",@progbits,_ZL18rocblas_trtri_fillILi128EdPdEvP15_rocblas_handle13rocblas_fill_ililT1_llii,comdat
	.globl	_ZL18rocblas_trtri_fillILi128EdPdEvP15_rocblas_handle13rocblas_fill_ililT1_llii ; -- Begin function _ZL18rocblas_trtri_fillILi128EdPdEvP15_rocblas_handle13rocblas_fill_ililT1_llii
	.p2align	8
	.type	_ZL18rocblas_trtri_fillILi128EdPdEvP15_rocblas_handle13rocblas_fill_ililT1_llii,@function
_ZL18rocblas_trtri_fillILi128EdPdEvP15_rocblas_handle13rocblas_fill_ililT1_llii: ; @_ZL18rocblas_trtri_fillILi128EdPdEvP15_rocblas_handle13rocblas_fill_ililT1_llii
; %bb.0:
	s_load_dword s1, s[4:5], 0x40
	s_load_dwordx2 s[2:3], s[4:5], 0x10
	s_mov_b32 s0, s6
	s_waitcnt lgkmcnt(0)
	s_ashr_i32 s6, s1, 31
	s_mul_i32 s8, s1, s3
	s_mul_hi_u32 s9, s1, s2
	s_mul_i32 s16, s1, s2
	s_mov_b32 s1, 0
	s_add_i32 s8, s9, s8
	s_mul_i32 s6, s6, s2
	s_lshl_b64 s[0:1], s[0:1], 7
	s_add_i32 s17, s8, s6
	v_or_b32_e32 v0, s0, v0
	v_mov_b32_e32 v1, s1
	v_cmp_gt_u64_e32 vcc, s[16:17], v[0:1]
	s_and_saveexec_b64 s[0:1], vcc
	s_cbranch_execz .LBB130_16
; %bb.1:
	v_cvt_f32_u32_e32 v5, s2
	v_cvt_f32_u32_e32 v6, s3
	s_load_dword s18, s[4:5], 0x18
	s_load_dwordx8 s[8:15], s[4:5], 0x20
	s_load_dwordx2 s[20:21], s[4:5], 0x8
	v_mov_b32_e32 v4, 0
	v_mov_b32_e32 v15, 0x260
	v_mac_f32_e32 v5, 0x4f800000, v6
	s_waitcnt lgkmcnt(0)
	s_mul_i32 s0, s7, s15
	s_mul_hi_u32 s1, s7, s14
	v_rcp_f32_e32 v5, v5
	v_cvt_f32_u32_e32 v6, s2
	s_add_i32 s1, s1, s0
	s_mul_i32 s0, s7, s14
	s_ashr_i32 s19, s18, 31
	s_lshl_b64 s[0:1], s[0:1], 3
	s_add_u32 s6, s10, s0
	s_addc_u32 s7, s11, s1
	s_lshl_b64 s[0:1], s[12:13], 3
	v_mul_f32_e32 v5, 0x5f7ffffc, v5
	v_rcp_iflag_f32_e32 v6, v6
	s_add_u32 s14, s6, s0
	v_mul_f32_e32 v7, 0x2f800000, v5
	s_addc_u32 s15, s7, s1
	s_add_i32 s0, s21, -2
	s_load_dword s6, s[4:5], 0x48
	s_load_dword s7, s[4:5], 0x54
	v_trunc_f32_e32 v7, v7
	v_cvt_f64_i32_e32 v[2:3], s0
	s_add_i32 s0, s21, -1
	v_mac_f32_e32 v5, 0xcf800000, v7
	s_mul_hi_i32 s1, s0, s21
	s_mul_i32 s0, s0, s21
	v_cvt_u32_f32_e32 v12, v5
	v_mul_f32_e32 v5, 0x4f7ffffe, v6
	s_ashr_i32 s22, s21, 31
	s_lshl_b64 s[4:5], s[0:1], 2
	v_cvt_u32_f32_e32 v13, v7
	v_cvt_u32_f32_e32 v14, v5
	s_mov_b32 s23, s21
	s_add_u32 s21, s4, -7
	s_addc_u32 s24, s5, -1
	s_lshr_b64 s[4:5], s[0:1], 1
	s_waitcnt lgkmcnt(0)
	s_and_b32 s0, s7, 0xffff
	s_mov_b32 s10, 0
	s_mul_hi_u32 s25, s0, s6
	s_mul_i32 s26, s0, s6
	s_mov_b64 s[6:7], 0
	s_brev_b32 s11, 8
	s_movk_i32 s27, 0xffe0
	v_mov_b32_e32 v16, 0xffffff80
	s_branch .LBB130_3
.LBB130_2:                              ;   in Loop: Header=BB130_3 Depth=1
	v_mov_b32_e32 v5, s25
	v_add_co_u32_e32 v0, vcc, s26, v0
	v_addc_co_u32_e32 v1, vcc, v1, v5, vcc
	v_cmp_le_u64_e32 vcc, s[16:17], v[0:1]
	s_or_b64 s[6:7], vcc, s[6:7]
	s_andn2_b64 exec, exec, s[6:7]
	s_cbranch_execz .LBB130_16
.LBB130_3:                              ; =>This Inner Loop Header: Depth=1
	v_or_b32_e32 v5, s3, v1
	v_cmp_ne_u64_e32 vcc, 0, v[4:5]
                                        ; implicit-def: $vgpr6_vgpr7
	s_and_saveexec_b64 s[0:1], vcc
	s_xor_b64 s[12:13], exec, s[0:1]
	s_cbranch_execz .LBB130_5
; %bb.4:                                ;   in Loop: Header=BB130_3 Depth=1
	s_sub_u32 s0, 0, s2
	s_subb_u32 s1, 0, s3
	v_mul_hi_u32 v6, s0, v12
	v_mul_lo_u32 v7, s0, v13
	v_mul_lo_u32 v5, s1, v12
	v_add_u32_e32 v6, v6, v7
	v_add_u32_e32 v5, v6, v5
	v_mul_lo_u32 v8, s0, v12
	v_mul_lo_u32 v7, v12, v5
	v_mul_hi_u32 v9, v12, v8
	v_mul_hi_u32 v6, v12, v5
	v_add_co_u32_e32 v7, vcc, v9, v7
	v_addc_co_u32_e32 v6, vcc, 0, v6, vcc
	v_mul_hi_u32 v10, v13, v8
	v_mul_lo_u32 v8, v13, v8
	v_add_co_u32_e32 v7, vcc, v7, v8
	v_mul_hi_u32 v9, v13, v5
	v_addc_co_u32_e32 v6, vcc, v6, v10, vcc
	v_addc_co_u32_e32 v7, vcc, 0, v9, vcc
	v_mul_lo_u32 v5, v13, v5
	v_add_co_u32_e32 v5, vcc, v6, v5
	v_addc_co_u32_e32 v6, vcc, 0, v7, vcc
	v_add_co_u32_e32 v5, vcc, v12, v5
	v_addc_co_u32_e32 v6, vcc, v13, v6, vcc
	v_mul_lo_u32 v7, s0, v6
	v_mul_hi_u32 v8, s0, v5
	v_add_u32_e32 v7, v8, v7
	v_mul_lo_u32 v8, s1, v5
	v_add_u32_e32 v7, v7, v8
	v_mul_lo_u32 v9, s0, v5
	v_mul_hi_u32 v10, v6, v9
	v_mul_lo_u32 v11, v6, v9
	v_mul_lo_u32 v18, v5, v7
	v_mul_hi_u32 v9, v5, v9
	v_mul_hi_u32 v17, v5, v7
	v_add_co_u32_e32 v9, vcc, v9, v18
	v_addc_co_u32_e32 v17, vcc, 0, v17, vcc
	v_add_co_u32_e32 v9, vcc, v9, v11
	v_mul_hi_u32 v8, v6, v7
	v_addc_co_u32_e32 v9, vcc, v17, v10, vcc
	v_addc_co_u32_e32 v8, vcc, 0, v8, vcc
	v_mul_lo_u32 v7, v6, v7
	v_add_co_u32_e32 v7, vcc, v9, v7
	v_addc_co_u32_e32 v8, vcc, 0, v8, vcc
	v_add_co_u32_e32 v5, vcc, v5, v7
	v_addc_co_u32_e32 v8, vcc, v6, v8, vcc
	v_mad_u64_u32 v[6:7], s[0:1], v0, v8, 0
	v_mul_hi_u32 v9, v0, v5
	v_add_co_u32_e32 v10, vcc, v9, v6
	v_addc_co_u32_e32 v11, vcc, 0, v7, vcc
	v_mad_u64_u32 v[6:7], s[0:1], v1, v8, 0
	v_mad_u64_u32 v[8:9], s[0:1], v1, v5, 0
	v_add_co_u32_e32 v5, vcc, v10, v8
	v_addc_co_u32_e32 v5, vcc, v11, v9, vcc
	v_addc_co_u32_e32 v7, vcc, 0, v7, vcc
	v_add_co_u32_e32 v5, vcc, v5, v6
	v_addc_co_u32_e32 v8, vcc, 0, v7, vcc
	v_mul_lo_u32 v9, s3, v5
	v_mul_lo_u32 v10, s2, v8
	v_mad_u64_u32 v[6:7], s[0:1], s2, v5, 0
	v_add3_u32 v7, v7, v10, v9
	v_sub_u32_e32 v9, v1, v7
	v_mov_b32_e32 v10, s3
	v_sub_co_u32_e32 v6, vcc, v0, v6
	v_subb_co_u32_e64 v9, s[0:1], v9, v10, vcc
	v_subrev_co_u32_e64 v10, s[0:1], s2, v6
	v_subbrev_co_u32_e64 v9, s[0:1], 0, v9, s[0:1]
	v_cmp_le_u32_e64 s[0:1], s3, v9
	v_cndmask_b32_e64 v11, 0, -1, s[0:1]
	v_cmp_le_u32_e64 s[0:1], s2, v10
	v_cndmask_b32_e64 v10, 0, -1, s[0:1]
	v_cmp_eq_u32_e64 s[0:1], s3, v9
	v_cndmask_b32_e64 v9, v11, v10, s[0:1]
	v_add_co_u32_e64 v10, s[0:1], 2, v5
	v_addc_co_u32_e64 v11, s[0:1], 0, v8, s[0:1]
	v_add_co_u32_e64 v17, s[0:1], 1, v5
	v_addc_co_u32_e64 v18, s[0:1], 0, v8, s[0:1]
	v_subb_co_u32_e32 v7, vcc, v1, v7, vcc
	v_cmp_ne_u32_e64 s[0:1], 0, v9
	v_cmp_le_u32_e32 vcc, s3, v7
	v_cndmask_b32_e64 v9, v18, v11, s[0:1]
	v_cndmask_b32_e64 v11, 0, -1, vcc
	v_cmp_le_u32_e32 vcc, s2, v6
	v_cndmask_b32_e64 v6, 0, -1, vcc
	v_cmp_eq_u32_e32 vcc, s3, v7
	v_cndmask_b32_e32 v6, v11, v6, vcc
	v_cmp_ne_u32_e32 vcc, 0, v6
	v_cndmask_b32_e64 v6, v17, v10, s[0:1]
	v_cndmask_b32_e32 v7, v8, v9, vcc
	v_cndmask_b32_e32 v6, v5, v6, vcc
.LBB130_5:                              ;   in Loop: Header=BB130_3 Depth=1
	s_andn2_saveexec_b64 s[0:1], s[12:13]
	s_cbranch_execz .LBB130_7
; %bb.6:                                ;   in Loop: Header=BB130_3 Depth=1
	s_sub_i32 s12, 0, s2
	v_mul_lo_u32 v5, s12, v14
	v_mul_hi_u32 v5, v14, v5
	v_add_u32_e32 v5, v14, v5
	v_mul_hi_u32 v5, v0, v5
	v_mul_lo_u32 v6, v5, s2
	v_sub_u32_e32 v6, v0, v6
	v_subrev_u32_e32 v7, s2, v6
	v_cmp_le_u32_e32 vcc, s2, v6
	v_cndmask_b32_e32 v6, v6, v7, vcc
	v_add_u32_e32 v7, 1, v5
	v_cndmask_b32_e32 v5, v5, v7, vcc
	v_add_u32_e32 v7, 1, v5
	v_cmp_le_u32_e32 vcc, s2, v6
	v_cndmask_b32_e32 v6, v5, v7, vcc
	v_mov_b32_e32 v7, v4
.LBB130_7:                              ;   in Loop: Header=BB130_3 Depth=1
	s_or_b64 exec, exec, s[0:1]
	v_mul_lo_u32 v5, v7, s2
	v_mul_lo_u32 v10, v6, s3
	v_mad_u64_u32 v[8:9], s[0:1], v6, s2, 0
	v_add3_u32 v5, v9, v10, v5
	v_sub_co_u32_e32 v8, vcc, v0, v8
	s_cmpk_lt_i32 s20, 0x7a
	v_subb_co_u32_e32 v9, vcc, v1, v5, vcc
	s_cbranch_scc1 .LBB130_10
; %bb.8:                                ;   in Loop: Header=BB130_3 Depth=1
	s_mov_b64 s[0:1], 0
	s_cmpk_eq_i32 s20, 0x7a
	s_mov_b64 s[12:13], 0
                                        ; implicit-def: $vgpr10_vgpr11
	s_cbranch_scc0 .LBB130_11
; %bb.9:                                ;   in Loop: Header=BB130_3 Depth=1
	v_lshlrev_b64 v[10:11], 3, v[8:9]
	v_mov_b32_e32 v5, s24
	v_sub_co_u32_e32 v17, vcc, s21, v10
	v_subb_co_u32_e32 v5, vcc, v5, v11, vcc
	v_cvt_f64_u32_e32 v[10:11], v5
	v_ldexp_f64 v[10:11], v[10:11], 32
	v_cvt_f64_u32_e32 v[18:19], v17
	v_add_f64 v[10:11], v[10:11], v[18:19]
	v_cmp_gt_f64_e32 vcc, s[10:11], v[10:11]
	v_cndmask_b32_e64 v5, 0, 1, vcc
	v_lshlrev_b32_e32 v5, 8, v5
	v_ldexp_f64 v[10:11], v[10:11], v5
	v_rsq_f64_e32 v[18:19], v[10:11]
	v_cndmask_b32_e32 v5, 0, v16, vcc
	v_cmp_class_f64_e32 vcc, v[10:11], v15
	v_mul_f64 v[20:21], v[10:11], v[18:19]
	v_mul_f64 v[18:19], v[18:19], 0.5
	v_fma_f64 v[22:23], -v[18:19], v[20:21], 0.5
	v_fmac_f64_e32 v[20:21], v[20:21], v[22:23]
	v_fma_f64 v[24:25], -v[20:21], v[20:21], v[10:11]
	v_fmac_f64_e32 v[18:19], v[18:19], v[22:23]
	v_fmac_f64_e32 v[20:21], v[24:25], v[18:19]
	v_fma_f64 v[22:23], -v[20:21], v[20:21], v[10:11]
	v_fmac_f64_e32 v[20:21], v[22:23], v[18:19]
	v_ldexp_f64 v[18:19], v[20:21], v5
	v_cndmask_b32_e32 v11, v19, v11, vcc
	v_cndmask_b32_e32 v10, v18, v10, vcc
	v_fma_f64 v[10:11], v[10:11], 0.5, -0.5
	v_floor_f64_e32 v[10:11], v[10:11]
	v_add_f64 v[10:11], v[2:3], -v[10:11]
	v_trunc_f64_e32 v[10:11], v[10:11]
	v_ldexp_f64 v[18:19], v[10:11], s27
	v_floor_f64_e32 v[18:19], v[18:19]
	v_fmac_f64_e32 v[10:11], 0xc1f00000, v[18:19]
	v_cvt_u32_f64_e32 v10, v[10:11]
	v_cvt_u32_f64_e32 v11, v[18:19]
	v_mov_b32_e32 v5, s5
	v_subrev_co_u32_e32 v18, vcc, s4, v8
	v_subb_co_u32_e32 v19, vcc, v9, v5, vcc
	v_mov_b32_e32 v5, s22
	v_sub_co_u32_e32 v17, vcc, s23, v10
	v_subb_co_u32_e32 v5, vcc, v5, v11, vcc
	v_add_co_u32_e32 v20, vcc, -1, v17
	v_addc_co_u32_e32 v21, vcc, -1, v5, vcc
	v_mul_lo_u32 v22, v21, v17
	v_mul_lo_u32 v5, v20, v5
	v_mad_u64_u32 v[20:21], s[12:13], v20, v17, 0
	v_add3_u32 v21, v21, v5, v22
	v_mul_lo_u32 v5, v7, s8
	v_mul_lo_u32 v17, v6, s9
	v_mad_u64_u32 v[22:23], s[12:13], v6, s8, 0
	v_add3_u32 v23, v23, v17, v5
	v_mul_lo_u32 v5, v10, s19
	v_mad_u64_u32 v[24:25], s[12:13], v10, s18, 0
	v_mul_lo_u32 v17, v11, s18
	v_lshlrev_b64 v[22:23], 3, v[22:23]
	v_add3_u32 v25, v25, v5, v17
	v_mov_b32_e32 v5, s15
	v_add_co_u32_e32 v17, vcc, s14, v22
	v_addc_co_u32_e32 v5, vcc, v5, v23, vcc
	v_lshlrev_b64 v[22:23], 3, v[24:25]
	v_add_co_u32_e32 v17, vcc, v17, v22
	v_addc_co_u32_e32 v5, vcc, v5, v23, vcc
	v_lshlrev_b64 v[18:19], 3, v[18:19]
	;; [unrolled: 3-line block ×4, first 2 shown]
	v_and_b32_e32 v10, -8, v10
	v_add_co_u32_e32 v10, vcc, v17, v10
	v_addc_co_u32_e32 v5, vcc, v5, v11, vcc
	v_add_co_u32_e32 v10, vcc, 8, v10
	v_addc_co_u32_e32 v11, vcc, 0, v5, vcc
	s_mov_b64 s[12:13], -1
	s_branch .LBB130_11
.LBB130_10:                             ;   in Loop: Header=BB130_3 Depth=1
	s_mov_b64 s[0:1], -1
	s_mov_b64 s[12:13], 0
                                        ; implicit-def: $vgpr10_vgpr11
.LBB130_11:                             ;   in Loop: Header=BB130_3 Depth=1
	s_and_b64 vcc, exec, s[0:1]
	s_cbranch_vccz .LBB130_14
; %bb.12:                               ;   in Loop: Header=BB130_3 Depth=1
	s_cmpk_eq_i32 s20, 0x79
                                        ; implicit-def: $vgpr10_vgpr11
	s_cbranch_scc0 .LBB130_14
; %bb.13:                               ;   in Loop: Header=BB130_3 Depth=1
	v_lshlrev_b64 v[10:11], 3, v[8:9]
	v_or_b32_e32 v5, 1, v10
	v_cvt_f64_u32_e32 v[10:11], v11
	v_ldexp_f64 v[10:11], v[10:11], 32
	v_cvt_f64_u32_e32 v[18:19], v5
	v_add_f64 v[10:11], v[10:11], v[18:19]
	v_cmp_gt_f64_e32 vcc, s[10:11], v[10:11]
	v_cndmask_b32_e64 v5, 0, 1, vcc
	v_lshlrev_b32_e32 v5, 8, v5
	v_ldexp_f64 v[10:11], v[10:11], v5
	v_rsq_f64_e32 v[18:19], v[10:11]
	v_cndmask_b32_e32 v5, 0, v16, vcc
	v_cmp_class_f64_e32 vcc, v[10:11], v15
	v_mul_lo_u32 v17, v6, s9
	v_mul_f64 v[20:21], v[10:11], v[18:19]
	v_mul_f64 v[18:19], v[18:19], 0.5
	v_fma_f64 v[22:23], -v[18:19], v[20:21], 0.5
	v_fmac_f64_e32 v[20:21], v[20:21], v[22:23]
	v_fma_f64 v[24:25], -v[20:21], v[20:21], v[10:11]
	v_fmac_f64_e32 v[18:19], v[18:19], v[22:23]
	v_fmac_f64_e32 v[20:21], v[24:25], v[18:19]
	v_fma_f64 v[22:23], -v[20:21], v[20:21], v[10:11]
	v_fmac_f64_e32 v[20:21], v[22:23], v[18:19]
	v_ldexp_f64 v[18:19], v[20:21], v5
	v_cndmask_b32_e32 v11, v19, v11, vcc
	v_cndmask_b32_e32 v10, v18, v10, vcc
	v_add_f64 v[10:11], v[10:11], -1.0
	v_mul_f64 v[10:11], v[10:11], 0.5
	v_trunc_f64_e32 v[10:11], v[10:11]
	v_ldexp_f64 v[18:19], v[10:11], s27
	v_floor_f64_e32 v[18:19], v[18:19]
	v_fmac_f64_e32 v[10:11], 0xc1f00000, v[18:19]
	v_cvt_u32_f64_e32 v10, v[10:11]
	v_cvt_u32_f64_e32 v11, v[18:19]
	v_mad_u64_u32 v[18:19], s[0:1], v10, v10, v[10:11]
	v_mul_lo_u32 v5, v10, v11
	v_add3_u32 v19, v5, v19, v5
	v_lshrrev_b64 v[18:19], 1, v[18:19]
	v_sub_co_u32_e32 v8, vcc, v8, v18
	v_mul_lo_u32 v5, v7, s8
	v_mad_u64_u32 v[6:7], s[0:1], v6, s8, 0
	v_subb_co_u32_e32 v9, vcc, v9, v19, vcc
	v_add3_u32 v7, v7, v17, v5
	v_pk_mov_b32 v[18:19], s[18:19], s[18:19] op_sel:[0,1]
	v_mul_lo_u32 v5, s19, v10
	v_mad_u64_u32 v[18:19], s[0:1], s18, v10, v[18:19]
	v_mul_lo_u32 v10, s18, v11
	v_lshlrev_b64 v[6:7], 3, v[6:7]
	v_add3_u32 v19, v5, v19, v10
	v_mov_b32_e32 v5, s15
	v_add_co_u32_e32 v10, vcc, s14, v6
	v_addc_co_u32_e32 v5, vcc, v5, v7, vcc
	v_lshlrev_b64 v[6:7], 3, v[18:19]
	v_add_co_u32_e32 v10, vcc, v10, v6
	v_addc_co_u32_e32 v5, vcc, v5, v7, vcc
	v_lshlrev_b64 v[6:7], 3, v[8:9]
	v_add_co_u32_e32 v10, vcc, v10, v6
	v_addc_co_u32_e32 v11, vcc, v5, v7, vcc
	s_mov_b64 s[12:13], -1
.LBB130_14:                             ;   in Loop: Header=BB130_3 Depth=1
	s_and_b64 vcc, exec, s[12:13]
	s_cbranch_vccz .LBB130_2
; %bb.15:                               ;   in Loop: Header=BB130_3 Depth=1
	v_mov_b32_e32 v5, v4
	global_store_dwordx2 v[10:11], v[4:5], off
	s_branch .LBB130_2
.LBB130_16:
	s_endpgm
	.section	.rodata,"a",@progbits
	.p2align	6, 0x0
	.amdhsa_kernel _ZL18rocblas_trtri_fillILi128EdPdEvP15_rocblas_handle13rocblas_fill_ililT1_llii
		.amdhsa_group_segment_fixed_size 0
		.amdhsa_private_segment_fixed_size 0
		.amdhsa_kernarg_size 328
		.amdhsa_user_sgpr_count 6
		.amdhsa_user_sgpr_private_segment_buffer 1
		.amdhsa_user_sgpr_dispatch_ptr 0
		.amdhsa_user_sgpr_queue_ptr 0
		.amdhsa_user_sgpr_kernarg_segment_ptr 1
		.amdhsa_user_sgpr_dispatch_id 0
		.amdhsa_user_sgpr_flat_scratch_init 0
		.amdhsa_user_sgpr_kernarg_preload_length 0
		.amdhsa_user_sgpr_kernarg_preload_offset 0
		.amdhsa_user_sgpr_private_segment_size 0
		.amdhsa_uses_dynamic_stack 0
		.amdhsa_system_sgpr_private_segment_wavefront_offset 0
		.amdhsa_system_sgpr_workgroup_id_x 1
		.amdhsa_system_sgpr_workgroup_id_y 0
		.amdhsa_system_sgpr_workgroup_id_z 1
		.amdhsa_system_sgpr_workgroup_info 0
		.amdhsa_system_vgpr_workitem_id 0
		.amdhsa_next_free_vgpr 26
		.amdhsa_next_free_sgpr 28
		.amdhsa_accum_offset 28
		.amdhsa_reserve_vcc 1
		.amdhsa_reserve_flat_scratch 0
		.amdhsa_float_round_mode_32 0
		.amdhsa_float_round_mode_16_64 0
		.amdhsa_float_denorm_mode_32 3
		.amdhsa_float_denorm_mode_16_64 3
		.amdhsa_dx10_clamp 1
		.amdhsa_ieee_mode 1
		.amdhsa_fp16_overflow 0
		.amdhsa_tg_split 0
		.amdhsa_exception_fp_ieee_invalid_op 0
		.amdhsa_exception_fp_denorm_src 0
		.amdhsa_exception_fp_ieee_div_zero 0
		.amdhsa_exception_fp_ieee_overflow 0
		.amdhsa_exception_fp_ieee_underflow 0
		.amdhsa_exception_fp_ieee_inexact 0
		.amdhsa_exception_int_div_zero 0
	.end_amdhsa_kernel
	.section	.text._ZL18rocblas_trtri_fillILi128EdPdEvP15_rocblas_handle13rocblas_fill_ililT1_llii,"axG",@progbits,_ZL18rocblas_trtri_fillILi128EdPdEvP15_rocblas_handle13rocblas_fill_ililT1_llii,comdat
.Lfunc_end130:
	.size	_ZL18rocblas_trtri_fillILi128EdPdEvP15_rocblas_handle13rocblas_fill_ililT1_llii, .Lfunc_end130-_ZL18rocblas_trtri_fillILi128EdPdEvP15_rocblas_handle13rocblas_fill_ililT1_llii
                                        ; -- End function
	.section	.AMDGPU.csdata,"",@progbits
; Kernel info:
; codeLenInByte = 1952
; NumSgprs: 32
; NumVgprs: 26
; NumAgprs: 0
; TotalNumVgprs: 26
; ScratchSize: 0
; MemoryBound: 0
; FloatMode: 240
; IeeeMode: 1
; LDSByteSize: 0 bytes/workgroup (compile time only)
; SGPRBlocks: 3
; VGPRBlocks: 3
; NumSGPRsForWavesPerEU: 32
; NumVGPRsForWavesPerEU: 26
; AccumOffset: 28
; Occupancy: 8
; WaveLimiterHint : 0
; COMPUTE_PGM_RSRC2:SCRATCH_EN: 0
; COMPUTE_PGM_RSRC2:USER_SGPR: 6
; COMPUTE_PGM_RSRC2:TRAP_HANDLER: 0
; COMPUTE_PGM_RSRC2:TGID_X_EN: 1
; COMPUTE_PGM_RSRC2:TGID_Y_EN: 0
; COMPUTE_PGM_RSRC2:TGID_Z_EN: 1
; COMPUTE_PGM_RSRC2:TIDIG_COMP_CNT: 0
; COMPUTE_PGM_RSRC3_GFX90A:ACCUM_OFFSET: 6
; COMPUTE_PGM_RSRC3_GFX90A:TG_SPLIT: 0
	.section	.text._ZL24rocblas_copy_matrix_trsmILi128ELi8EdPKdPdEviiiT2_ilT3_illli,"axG",@progbits,_ZL24rocblas_copy_matrix_trsmILi128ELi8EdPKdPdEviiiT2_ilT3_illli,comdat
	.globl	_ZL24rocblas_copy_matrix_trsmILi128ELi8EdPKdPdEviiiT2_ilT3_illli ; -- Begin function _ZL24rocblas_copy_matrix_trsmILi128ELi8EdPKdPdEviiiT2_ilT3_illli
	.p2align	8
	.type	_ZL24rocblas_copy_matrix_trsmILi128ELi8EdPKdPdEviiiT2_ilT3_illli,@function
_ZL24rocblas_copy_matrix_trsmILi128ELi8EdPKdPdEviiiT2_ilT3_illli: ; @_ZL24rocblas_copy_matrix_trsmILi128ELi8EdPKdPdEviiiT2_ilT3_illli
; %bb.0:
	s_load_dwordx2 s[0:1], s[4:5], 0x0
	v_and_b32_e32 v1, 0x3ff, v0
	v_mov_b32_e32 v3, 0
	v_bfe_u32 v0, v0, 10, 10
	v_lshl_add_u32 v2, s6, 7, v1
	v_lshl_add_u32 v0, s7, 3, v0
	v_mov_b32_e32 v1, v3
	s_waitcnt lgkmcnt(0)
	s_ashr_i32 s7, s1, 31
	s_mov_b32 s6, s1
	s_ashr_i32 s1, s0, 31
	v_cmp_gt_u64_e32 vcc, s[0:1], v[2:3]
	v_cmp_gt_u64_e64 s[0:1], s[6:7], v[0:1]
	s_mov_b32 s9, 0
	s_and_b64 s[0:1], vcc, s[0:1]
	s_and_saveexec_b64 s[2:3], s[0:1]
	s_cbranch_execz .LBB131_3
; %bb.1:
	s_load_dwordx2 s[16:17], s[4:5], 0x10
	s_load_dword s11, s[4:5], 0x18
	s_load_dwordx4 s[0:3], s[4:5], 0x20
	s_load_dword s20, s[4:5], 0x30
	s_load_dword s10, s[4:5], 0x5c
	s_load_dwordx4 s[12:15], s[4:5], 0x38
	s_load_dwordx2 s[18:19], s[4:5], 0x48
	s_waitcnt lgkmcnt(0)
	s_ashr_i32 s21, s11, 31
	s_ashr_i32 s22, s20, 31
	s_lshl_b32 s10, s10, 3
	s_mul_i32 s4, s13, s8
	s_mul_hi_u32 s5, s12, s8
	s_add_i32 s5, s5, s4
	s_mul_i32 s4, s12, s8
	v_mad_u64_u32 v[4:5], s[12:13], s20, v0, 0
	v_mov_b32_e32 v6, v5
	v_mad_u64_u32 v[6:7], s[12:13], s22, v0, v[6:7]
	s_lshl_b64 s[4:5], s[4:5], 3
	s_lshl_b64 s[12:13], s[18:19], 3
	v_mov_b32_e32 v5, v6
	s_add_u32 s4, s12, s4
	v_lshlrev_b64 v[4:5], 3, v[4:5]
	s_addc_u32 s5, s13, s5
	v_mov_b32_e32 v6, s5
	v_add_co_u32_e32 v7, vcc, s4, v4
	v_addc_co_u32_e32 v6, vcc, v6, v5, vcc
	v_lshlrev_b64 v[4:5], 3, v[2:3]
	v_add_co_u32_e32 v2, vcc, v7, v4
	v_addc_co_u32_e32 v3, vcc, v6, v5, vcc
	v_mov_b32_e32 v6, s3
	v_add_co_u32_e32 v2, vcc, s2, v2
	s_mul_i32 s1, s1, s8
	s_mul_hi_u32 s4, s0, s8
	v_addc_co_u32_e32 v3, vcc, v6, v3, vcc
	s_add_i32 s1, s4, s1
	v_mad_u64_u32 v[6:7], s[4:5], s11, v0, 0
	s_mul_i32 s22, s22, s10
	s_mul_hi_u32 s2, s20, s10
	v_mov_b32_e32 v8, v7
	s_add_i32 s3, s2, s22
	s_mul_i32 s2, s20, s10
	s_mul_i32 s0, s0, s8
	v_mad_u64_u32 v[8:9], s[4:5], s21, v0, v[8:9]
	s_lshl_b64 s[2:3], s[2:3], 3
	s_lshl_b64 s[0:1], s[0:1], 3
	s_lshl_b64 s[4:5], s[14:15], 3
	v_mov_b32_e32 v7, v8
	s_add_u32 s0, s4, s0
	v_lshlrev_b64 v[6:7], 3, v[6:7]
	s_addc_u32 s1, s5, s1
	v_mov_b32_e32 v8, s1
	v_add_co_u32_e32 v6, vcc, s0, v6
	v_addc_co_u32_e32 v7, vcc, v8, v7, vcc
	v_add_co_u32_e32 v4, vcc, v6, v4
	s_mul_i32 s21, s21, s10
	s_mul_hi_u32 s0, s11, s10
	v_addc_co_u32_e32 v5, vcc, v7, v5, vcc
	s_add_i32 s1, s0, s21
	s_mul_i32 s0, s11, s10
	v_mov_b32_e32 v6, s17
	v_add_co_u32_e32 v4, vcc, s16, v4
	s_lshl_b64 s[0:1], s[0:1], 3
	v_addc_co_u32_e32 v5, vcc, v6, v5, vcc
	s_mov_b64 s[4:5], 0
	v_mov_b32_e32 v6, s9
	v_mov_b32_e32 v7, s3
	;; [unrolled: 1-line block ×3, first 2 shown]
.LBB131_2:                              ; =>This Inner Loop Header: Depth=1
	global_load_dwordx2 v[10:11], v[4:5], off
	v_add_co_u32_e32 v0, vcc, s10, v0
	v_addc_co_u32_e32 v1, vcc, v1, v6, vcc
	v_add_co_u32_e32 v4, vcc, s0, v4
	v_addc_co_u32_e32 v5, vcc, v5, v8, vcc
	v_cmp_le_u64_e32 vcc, s[6:7], v[0:1]
	s_or_b64 s[4:5], vcc, s[4:5]
	s_waitcnt vmcnt(0)
	global_store_dwordx2 v[2:3], v[10:11], off
	v_add_co_u32_e32 v2, vcc, s2, v2
	v_addc_co_u32_e32 v3, vcc, v3, v7, vcc
	s_andn2_b64 exec, exec, s[4:5]
	s_cbranch_execnz .LBB131_2
.LBB131_3:
	s_endpgm
	.section	.rodata,"a",@progbits
	.p2align	6, 0x0
	.amdhsa_kernel _ZL24rocblas_copy_matrix_trsmILi128ELi8EdPKdPdEviiiT2_ilT3_illli
		.amdhsa_group_segment_fixed_size 0
		.amdhsa_private_segment_fixed_size 0
		.amdhsa_kernarg_size 344
		.amdhsa_user_sgpr_count 6
		.amdhsa_user_sgpr_private_segment_buffer 1
		.amdhsa_user_sgpr_dispatch_ptr 0
		.amdhsa_user_sgpr_queue_ptr 0
		.amdhsa_user_sgpr_kernarg_segment_ptr 1
		.amdhsa_user_sgpr_dispatch_id 0
		.amdhsa_user_sgpr_flat_scratch_init 0
		.amdhsa_user_sgpr_kernarg_preload_length 0
		.amdhsa_user_sgpr_kernarg_preload_offset 0
		.amdhsa_user_sgpr_private_segment_size 0
		.amdhsa_uses_dynamic_stack 0
		.amdhsa_system_sgpr_private_segment_wavefront_offset 0
		.amdhsa_system_sgpr_workgroup_id_x 1
		.amdhsa_system_sgpr_workgroup_id_y 1
		.amdhsa_system_sgpr_workgroup_id_z 1
		.amdhsa_system_sgpr_workgroup_info 0
		.amdhsa_system_vgpr_workitem_id 1
		.amdhsa_next_free_vgpr 12
		.amdhsa_next_free_sgpr 23
		.amdhsa_accum_offset 12
		.amdhsa_reserve_vcc 1
		.amdhsa_reserve_flat_scratch 0
		.amdhsa_float_round_mode_32 0
		.amdhsa_float_round_mode_16_64 0
		.amdhsa_float_denorm_mode_32 3
		.amdhsa_float_denorm_mode_16_64 3
		.amdhsa_dx10_clamp 1
		.amdhsa_ieee_mode 1
		.amdhsa_fp16_overflow 0
		.amdhsa_tg_split 0
		.amdhsa_exception_fp_ieee_invalid_op 0
		.amdhsa_exception_fp_denorm_src 0
		.amdhsa_exception_fp_ieee_div_zero 0
		.amdhsa_exception_fp_ieee_overflow 0
		.amdhsa_exception_fp_ieee_underflow 0
		.amdhsa_exception_fp_ieee_inexact 0
		.amdhsa_exception_int_div_zero 0
	.end_amdhsa_kernel
	.section	.text._ZL24rocblas_copy_matrix_trsmILi128ELi8EdPKdPdEviiiT2_ilT3_illli,"axG",@progbits,_ZL24rocblas_copy_matrix_trsmILi128ELi8EdPKdPdEviiiT2_ilT3_illli,comdat
.Lfunc_end131:
	.size	_ZL24rocblas_copy_matrix_trsmILi128ELi8EdPKdPdEviiiT2_ilT3_illli, .Lfunc_end131-_ZL24rocblas_copy_matrix_trsmILi128ELi8EdPKdPdEviiiT2_ilT3_illli
                                        ; -- End function
	.section	.AMDGPU.csdata,"",@progbits
; Kernel info:
; codeLenInByte = 484
; NumSgprs: 27
; NumVgprs: 12
; NumAgprs: 0
; TotalNumVgprs: 12
; ScratchSize: 0
; MemoryBound: 0
; FloatMode: 240
; IeeeMode: 1
; LDSByteSize: 0 bytes/workgroup (compile time only)
; SGPRBlocks: 3
; VGPRBlocks: 1
; NumSGPRsForWavesPerEU: 27
; NumVGPRsForWavesPerEU: 12
; AccumOffset: 12
; Occupancy: 8
; WaveLimiterHint : 0
; COMPUTE_PGM_RSRC2:SCRATCH_EN: 0
; COMPUTE_PGM_RSRC2:USER_SGPR: 6
; COMPUTE_PGM_RSRC2:TRAP_HANDLER: 0
; COMPUTE_PGM_RSRC2:TGID_X_EN: 1
; COMPUTE_PGM_RSRC2:TGID_Y_EN: 1
; COMPUTE_PGM_RSRC2:TGID_Z_EN: 1
; COMPUTE_PGM_RSRC2:TIDIG_COMP_CNT: 1
; COMPUTE_PGM_RSRC3_GFX90A:ACCUM_OFFSET: 2
; COMPUTE_PGM_RSRC3_GFX90A:TG_SPLIT: 0
	.section	.text._ZL23rocblas_set_matrix_trsmILi128ELi8E19rocblas_complex_numIfEPS1_EvlliT2_llT1_li,"axG",@progbits,_ZL23rocblas_set_matrix_trsmILi128ELi8E19rocblas_complex_numIfEPS1_EvlliT2_llT1_li,comdat
	.globl	_ZL23rocblas_set_matrix_trsmILi128ELi8E19rocblas_complex_numIfEPS1_EvlliT2_llT1_li ; -- Begin function _ZL23rocblas_set_matrix_trsmILi128ELi8E19rocblas_complex_numIfEPS1_EvlliT2_llT1_li
	.p2align	8
	.type	_ZL23rocblas_set_matrix_trsmILi128ELi8E19rocblas_complex_numIfEPS1_EvlliT2_llT1_li,@function
_ZL23rocblas_set_matrix_trsmILi128ELi8E19rocblas_complex_numIfEPS1_EvlliT2_llT1_li: ; @_ZL23rocblas_set_matrix_trsmILi128ELi8E19rocblas_complex_numIfEPS1_EvlliT2_llT1_li
; %bb.0:
	s_load_dwordx4 s[0:3], s[4:5], 0x0
	v_and_b32_e32 v1, 0x3ff, v0
	v_mov_b32_e32 v3, 0
	v_bfe_u32 v0, v0, 10, 10
	v_lshl_add_u32 v2, s6, 7, v1
	v_lshl_add_u32 v0, s7, 3, v0
	v_mov_b32_e32 v1, v3
	s_waitcnt lgkmcnt(0)
	v_cmp_gt_u64_e32 vcc, s[0:1], v[2:3]
	v_cmp_gt_u64_e64 s[0:1], s[2:3], v[0:1]
	s_and_b64 s[0:1], vcc, s[0:1]
	s_and_saveexec_b64 s[2:3], s[0:1]
	s_cbranch_execz .LBB132_2
; %bb.1:
	s_load_dwordx2 s[6:7], s[4:5], 0x28
	s_load_dwordx4 s[0:3], s[4:5], 0x18
	s_load_dwordx2 s[10:11], s[4:5], 0x38
	s_waitcnt lgkmcnt(0)
	s_mul_i32 s5, s8, s7
	s_mul_hi_u32 s7, s8, s6
	s_mul_i32 s4, s8, s6
	s_add_i32 s5, s7, s5
	s_lshl_b64 s[4:5], s[4:5], 3
	s_add_u32 s4, s0, s4
	s_addc_u32 s5, s1, s5
	s_lshl_b64 s[0:1], s[10:11], 3
	s_add_u32 s4, s4, s0
	s_addc_u32 s5, s5, s1
	v_mad_u64_u32 v[4:5], s[0:1], v0, s2, 0
	v_mov_b32_e32 v6, v5
	v_mad_u64_u32 v[0:1], s[0:1], v0, s3, v[6:7]
	v_mov_b32_e32 v5, v0
	v_lshlrev_b64 v[0:1], 3, v[4:5]
	v_mov_b32_e32 v4, s5
	v_add_co_u32_e32 v5, vcc, s4, v0
	v_addc_co_u32_e32 v4, vcc, v4, v1, vcc
	v_lshlrev_b64 v[0:1], 3, v[2:3]
	v_add_co_u32_e32 v0, vcc, v5, v0
	v_addc_co_u32_e32 v1, vcc, v4, v1, vcc
	v_mov_b32_e32 v2, v3
	global_store_dwordx2 v[0:1], v[2:3], off
.LBB132_2:
	s_endpgm
	.section	.rodata,"a",@progbits
	.p2align	6, 0x0
	.amdhsa_kernel _ZL23rocblas_set_matrix_trsmILi128ELi8E19rocblas_complex_numIfEPS1_EvlliT2_llT1_li
		.amdhsa_group_segment_fixed_size 0
		.amdhsa_private_segment_fixed_size 0
		.amdhsa_kernarg_size 68
		.amdhsa_user_sgpr_count 6
		.amdhsa_user_sgpr_private_segment_buffer 1
		.amdhsa_user_sgpr_dispatch_ptr 0
		.amdhsa_user_sgpr_queue_ptr 0
		.amdhsa_user_sgpr_kernarg_segment_ptr 1
		.amdhsa_user_sgpr_dispatch_id 0
		.amdhsa_user_sgpr_flat_scratch_init 0
		.amdhsa_user_sgpr_kernarg_preload_length 0
		.amdhsa_user_sgpr_kernarg_preload_offset 0
		.amdhsa_user_sgpr_private_segment_size 0
		.amdhsa_uses_dynamic_stack 0
		.amdhsa_system_sgpr_private_segment_wavefront_offset 0
		.amdhsa_system_sgpr_workgroup_id_x 1
		.amdhsa_system_sgpr_workgroup_id_y 1
		.amdhsa_system_sgpr_workgroup_id_z 1
		.amdhsa_system_sgpr_workgroup_info 0
		.amdhsa_system_vgpr_workitem_id 1
		.amdhsa_next_free_vgpr 8
		.amdhsa_next_free_sgpr 12
		.amdhsa_accum_offset 8
		.amdhsa_reserve_vcc 1
		.amdhsa_reserve_flat_scratch 0
		.amdhsa_float_round_mode_32 0
		.amdhsa_float_round_mode_16_64 0
		.amdhsa_float_denorm_mode_32 3
		.amdhsa_float_denorm_mode_16_64 3
		.amdhsa_dx10_clamp 1
		.amdhsa_ieee_mode 1
		.amdhsa_fp16_overflow 0
		.amdhsa_tg_split 0
		.amdhsa_exception_fp_ieee_invalid_op 0
		.amdhsa_exception_fp_denorm_src 0
		.amdhsa_exception_fp_ieee_div_zero 0
		.amdhsa_exception_fp_ieee_overflow 0
		.amdhsa_exception_fp_ieee_underflow 0
		.amdhsa_exception_fp_ieee_inexact 0
		.amdhsa_exception_int_div_zero 0
	.end_amdhsa_kernel
	.section	.text._ZL23rocblas_set_matrix_trsmILi128ELi8E19rocblas_complex_numIfEPS1_EvlliT2_llT1_li,"axG",@progbits,_ZL23rocblas_set_matrix_trsmILi128ELi8E19rocblas_complex_numIfEPS1_EvlliT2_llT1_li,comdat
.Lfunc_end132:
	.size	_ZL23rocblas_set_matrix_trsmILi128ELi8E19rocblas_complex_numIfEPS1_EvlliT2_llT1_li, .Lfunc_end132-_ZL23rocblas_set_matrix_trsmILi128ELi8E19rocblas_complex_numIfEPS1_EvlliT2_llT1_li
                                        ; -- End function
	.section	.AMDGPU.csdata,"",@progbits
; Kernel info:
; codeLenInByte = 220
; NumSgprs: 16
; NumVgprs: 8
; NumAgprs: 0
; TotalNumVgprs: 8
; ScratchSize: 0
; MemoryBound: 0
; FloatMode: 240
; IeeeMode: 1
; LDSByteSize: 0 bytes/workgroup (compile time only)
; SGPRBlocks: 1
; VGPRBlocks: 0
; NumSGPRsForWavesPerEU: 16
; NumVGPRsForWavesPerEU: 8
; AccumOffset: 8
; Occupancy: 8
; WaveLimiterHint : 0
; COMPUTE_PGM_RSRC2:SCRATCH_EN: 0
; COMPUTE_PGM_RSRC2:USER_SGPR: 6
; COMPUTE_PGM_RSRC2:TRAP_HANDLER: 0
; COMPUTE_PGM_RSRC2:TGID_X_EN: 1
; COMPUTE_PGM_RSRC2:TGID_Y_EN: 1
; COMPUTE_PGM_RSRC2:TGID_Z_EN: 1
; COMPUTE_PGM_RSRC2:TIDIG_COMP_CNT: 1
; COMPUTE_PGM_RSRC3_GFX90A:ACCUM_OFFSET: 1
; COMPUTE_PGM_RSRC3_GFX90A:TG_SPLIT: 0
	.section	.text._ZL38rocblas_trsm_small_left_device_sharedBILi4ELi4ELb0E19rocblas_complex_numIfES1_PKS1_PS1_Ev13rocblas_fill_18rocblas_operation_17rocblas_diagonal_iiT3_T4_lilT5_lili,"axG",@progbits,_ZL38rocblas_trsm_small_left_device_sharedBILi4ELi4ELb0E19rocblas_complex_numIfES1_PKS1_PS1_Ev13rocblas_fill_18rocblas_operation_17rocblas_diagonal_iiT3_T4_lilT5_lili,comdat
	.globl	_ZL38rocblas_trsm_small_left_device_sharedBILi4ELi4ELb0E19rocblas_complex_numIfES1_PKS1_PS1_Ev13rocblas_fill_18rocblas_operation_17rocblas_diagonal_iiT3_T4_lilT5_lili ; -- Begin function _ZL38rocblas_trsm_small_left_device_sharedBILi4ELi4ELb0E19rocblas_complex_numIfES1_PKS1_PS1_Ev13rocblas_fill_18rocblas_operation_17rocblas_diagonal_iiT3_T4_lilT5_lili
	.p2align	8
	.type	_ZL38rocblas_trsm_small_left_device_sharedBILi4ELi4ELb0E19rocblas_complex_numIfES1_PKS1_PS1_Ev13rocblas_fill_18rocblas_operation_17rocblas_diagonal_iiT3_T4_lilT5_lili,@function
_ZL38rocblas_trsm_small_left_device_sharedBILi4ELi4ELb0E19rocblas_complex_numIfES1_PKS1_PS1_Ev13rocblas_fill_18rocblas_operation_17rocblas_diagonal_iiT3_T4_lilT5_lili: ; @_ZL38rocblas_trsm_small_left_device_sharedBILi4ELi4ELb0E19rocblas_complex_numIfES1_PKS1_PS1_Ev13rocblas_fill_18rocblas_operation_17rocblas_diagonal_iiT3_T4_lilT5_lili
; %bb.0:
	s_load_dwordx4 s[16:19], s[6:7], 0x4
	s_load_dwordx2 s[24:25], s[6:7], 0x14
	s_load_dwordx4 s[12:15], s[6:7], 0x38
	s_load_dwordx2 s[10:11], s[6:7], 0x48
	s_load_dword s41, s[6:7], 0x68
	v_and_b32_e32 v8, 0x3ff, v0
	s_waitcnt lgkmcnt(0)
	s_min_i32 s33, s18, 4
	s_mov_b32 s42, 0
	s_add_i32 s40, s33, -1
	v_cmp_gt_i32_e32 vcc, s33, v8
	s_and_saveexec_b64 s[26:27], vcc
	s_cbranch_execz .LBB133_35
; %bb.1:
	s_load_dword s28, s[6:7], 0x30
	s_load_dwordx4 s[20:23], s[6:7], 0x20
	s_mul_i32 s0, s9, s13
	s_mul_hi_u32 s1, s9, s12
	s_mul_i32 s12, s9, s12
	s_waitcnt lgkmcnt(0)
	s_ashr_i32 s29, s28, 31
	s_cmpk_lg_i32 s16, 0x71
	s_cselect_b64 s[30:31], -1, 0
	s_add_i32 s13, s1, s0
	v_cndmask_b32_e64 v1, 0, 1, s[30:31]
	s_cmp_lt_u32 s40, 3
	v_cmp_ne_u32_e64 s[0:1], 1, v1
	s_cbranch_scc1 .LBB133_20
; %bb.2:
	s_lshl_b64 s[2:3], s[12:13], 3
	s_add_u32 s34, s20, s2
	s_addc_u32 s35, s21, s3
	s_lshl_b64 s[2:3], s[22:23], 3
	s_add_u32 s2, s34, s2
	s_addc_u32 s3, s35, s3
	v_lshlrev_b32_e32 v1, 3, v8
	v_mov_b32_e32 v3, s3
	v_add_co_u32_e32 v2, vcc, s2, v1
	s_mul_hi_i32 s2, s28, 24
	s_lshl_b64 s[34:35], s[28:29], 5
	s_lshl_b64 s[36:37], s[28:29], 4
	;; [unrolled: 1-line block ×3, first 2 shown]
	v_addc_co_u32_e32 v3, vcc, 0, v3, vcc
	s_and_b32 s42, s33, -4
	s_mul_i32 s43, s28, 24
	s_mov_b32 s44, 0
	v_mov_b32_e32 v9, s39
	v_mov_b32_e32 v10, s37
	;; [unrolled: 1-line block ×4, first 2 shown]
	s_branch .LBB133_4
.LBB133_3:                              ;   in Loop: Header=BB133_4 Depth=1
	global_load_dword v4, v[6:7], off
	s_add_i32 s44, s44, 4
	v_add_co_u32_e32 v2, vcc, s34, v2
	v_addc_co_u32_e32 v3, vcc, v3, v12, vcc
	s_cmp_eq_u32 s42, s44
	s_waitcnt vmcnt(0)
	ds_write_b64 v1, v[4:5] offset:96
	v_add_u32_e32 v1, 0x80, v1
	s_cbranch_scc1 .LBB133_20
.LBB133_4:                              ; =>This Inner Loop Header: Depth=1
	s_and_b64 vcc, exec, s[30:31]
	s_cbranch_vccz .LBB133_6
; %bb.5:                                ;   in Loop: Header=BB133_4 Depth=1
	global_load_dword v5, v[2:3], off offset:4
	s_cbranch_execz .LBB133_7
	s_branch .LBB133_8
.LBB133_6:                              ;   in Loop: Header=BB133_4 Depth=1
                                        ; implicit-def: $vgpr5
.LBB133_7:                              ;   in Loop: Header=BB133_4 Depth=1
	global_load_dword v4, v[2:3], off offset:4
	s_waitcnt vmcnt(0)
	v_xor_b32_e32 v5, 0x80000000, v4
.LBB133_8:                              ;   in Loop: Header=BB133_4 Depth=1
	global_load_dword v4, v[2:3], off
	v_add_co_u32_e64 v6, s[2:3], s38, v2
	s_and_b64 vcc, exec, s[0:1]
	v_addc_co_u32_e64 v7, s[2:3], v3, v9, s[2:3]
	s_waitcnt vmcnt(0)
	ds_write_b64 v1, v[4:5]
	s_cbranch_vccnz .LBB133_10
; %bb.9:                                ;   in Loop: Header=BB133_4 Depth=1
	global_load_dword v5, v[6:7], off offset:4
	s_cbranch_execz .LBB133_11
	s_branch .LBB133_12
.LBB133_10:                             ;   in Loop: Header=BB133_4 Depth=1
                                        ; implicit-def: $vgpr5
.LBB133_11:                             ;   in Loop: Header=BB133_4 Depth=1
	global_load_dword v4, v[6:7], off offset:4
	s_waitcnt vmcnt(0)
	v_xor_b32_e32 v5, 0x80000000, v4
.LBB133_12:                             ;   in Loop: Header=BB133_4 Depth=1
	global_load_dword v4, v[6:7], off
	v_add_co_u32_e64 v6, s[2:3], s36, v2
	s_and_b64 vcc, exec, s[0:1]
	v_addc_co_u32_e64 v7, s[2:3], v3, v10, s[2:3]
	s_waitcnt vmcnt(0)
	ds_write_b64 v1, v[4:5] offset:32
	s_cbranch_vccnz .LBB133_14
; %bb.13:                               ;   in Loop: Header=BB133_4 Depth=1
	global_load_dword v5, v[6:7], off offset:4
	s_cbranch_execz .LBB133_15
	s_branch .LBB133_16
.LBB133_14:                             ;   in Loop: Header=BB133_4 Depth=1
                                        ; implicit-def: $vgpr5
.LBB133_15:                             ;   in Loop: Header=BB133_4 Depth=1
	global_load_dword v4, v[6:7], off offset:4
	s_waitcnt vmcnt(0)
	v_xor_b32_e32 v5, 0x80000000, v4
.LBB133_16:                             ;   in Loop: Header=BB133_4 Depth=1
	global_load_dword v4, v[6:7], off
	v_add_co_u32_e64 v6, s[2:3], s43, v2
	s_and_b64 vcc, exec, s[0:1]
	v_addc_co_u32_e64 v7, s[2:3], v3, v11, s[2:3]
	s_waitcnt vmcnt(0)
	ds_write_b64 v1, v[4:5] offset:64
	s_cbranch_vccnz .LBB133_18
; %bb.17:                               ;   in Loop: Header=BB133_4 Depth=1
	global_load_dword v5, v[6:7], off offset:4
	s_cbranch_execnz .LBB133_3
	s_branch .LBB133_19
.LBB133_18:                             ;   in Loop: Header=BB133_4 Depth=1
                                        ; implicit-def: $vgpr5
.LBB133_19:                             ;   in Loop: Header=BB133_4 Depth=1
	global_load_dword v4, v[6:7], off offset:4
	s_waitcnt vmcnt(0)
	v_xor_b32_e32 v5, 0x80000000, v4
	s_branch .LBB133_3
.LBB133_20:
	s_and_b32 s30, s33, 3
	s_cmp_eq_u32 s30, 0
	s_cbranch_scc1 .LBB133_27
; %bb.21:
	s_lshl_b64 s[2:3], s[12:13], 3
	s_mul_i32 s12, s29, s42
	s_mul_hi_u32 s13, s28, s42
	s_add_i32 s13, s13, s12
	s_mul_i32 s12, s28, s42
	s_lshl_b64 s[12:13], s[12:13], 3
	s_add_u32 s12, s2, s12
	s_addc_u32 s13, s3, s13
	s_lshl_b64 s[2:3], s[22:23], 3
	s_add_u32 s2, s12, s2
	s_addc_u32 s3, s13, s3
	s_add_u32 s2, s20, s2
	v_lshlrev_b32_e32 v2, 3, v8
	s_addc_u32 s3, s21, s3
	v_lshl_or_b32 v1, s42, 5, v2
	v_mov_b32_e32 v3, s3
	v_add_co_u32_e32 v2, vcc, s2, v2
	v_addc_co_u32_e32 v3, vcc, 0, v3, vcc
	v_add_co_u32_e32 v2, vcc, 4, v2
	s_lshl_b64 s[2:3], s[28:29], 3
	v_addc_co_u32_e32 v3, vcc, 0, v3, vcc
	v_mov_b32_e32 v6, s3
	s_branch .LBB133_23
.LBB133_22:                             ;   in Loop: Header=BB133_23 Depth=1
	global_load_dword v4, v[2:3], off offset:-4
	s_add_i32 s30, s30, -1
	v_add_co_u32_e32 v2, vcc, s2, v2
	s_cmp_lg_u32 s30, 0
	v_addc_co_u32_e32 v3, vcc, v3, v6, vcc
	s_waitcnt vmcnt(0)
	ds_write_b64 v1, v[4:5]
	v_add_u32_e32 v1, 32, v1
	s_cbranch_scc0 .LBB133_27
.LBB133_23:                             ; =>This Inner Loop Header: Depth=1
	s_and_b64 vcc, exec, s[0:1]
	s_cbranch_vccnz .LBB133_25
; %bb.24:                               ;   in Loop: Header=BB133_23 Depth=1
	global_load_dword v5, v[2:3], off
	s_cbranch_execnz .LBB133_22
	s_branch .LBB133_26
.LBB133_25:                             ;   in Loop: Header=BB133_23 Depth=1
                                        ; implicit-def: $vgpr5
.LBB133_26:                             ;   in Loop: Header=BB133_23 Depth=1
	global_load_dword v4, v[2:3], off
	s_waitcnt vmcnt(0)
	v_xor_b32_e32 v5, 0x80000000, v4
	s_branch .LBB133_22
.LBB133_27:
	v_mul_u32_u24_e32 v1, 5, v8
	s_cmpk_lg_i32 s17, 0x84
	v_lshlrev_b32_e32 v1, 3, v1
	s_mov_b64 s[0:1], -1
	s_cbranch_scc0 .LBB133_33
; %bb.28:
	ds_read_b64 v[2:3], v1
	s_mov_b32 s0, 0
	s_waitcnt lgkmcnt(0)
	v_cmp_gt_f32_e32 vcc, 0, v3
	v_cndmask_b32_e64 v4, v3, -v3, vcc
	v_cmp_gt_f32_e32 vcc, 0, v2
	v_cndmask_b32_e64 v5, v2, -v2, vcc
	v_cmp_ngt_f32_e32 vcc, v5, v4
                                        ; implicit-def: $vgpr4_vgpr5
	s_and_saveexec_b64 s[2:3], vcc
	s_xor_b64 s[2:3], exec, s[2:3]
	s_cbranch_execz .LBB133_30
; %bb.29:
	v_div_scale_f32 v4, s[12:13], v3, v3, v2
	v_rcp_f32_e32 v5, v4
	v_div_scale_f32 v6, vcc, v2, v3, v2
	s_mov_b32 s1, -1.0
	v_fma_f32 v7, -v4, v5, 1.0
	v_fmac_f32_e32 v5, v7, v5
	v_mul_f32_e32 v7, v6, v5
	v_fma_f32 v9, -v4, v7, v6
	v_fmac_f32_e32 v7, v9, v5
	v_fma_f32 v4, -v4, v7, v6
	v_div_fmas_f32 v4, v4, v5, v7
	v_div_fixup_f32 v4, v4, v3, v2
	v_fmac_f32_e32 v3, v2, v4
	v_div_scale_f32 v2, s[12:13], v3, v3, 1.0
	v_rcp_f32_e32 v5, v2
	v_fma_f32 v6, -v2, v5, 1.0
	v_fmac_f32_e32 v5, v6, v5
	v_div_scale_f32 v6, vcc, 1.0, v3, 1.0
	v_mul_f32_e32 v7, v6, v5
	v_fma_f32 v9, -v2, v7, v6
	v_fmac_f32_e32 v7, v9, v5
	v_fma_f32 v2, -v2, v7, v6
	v_div_fmas_f32 v2, v2, v5, v7
	v_mul_f32_e32 v5, 0, v4
	v_div_fixup_f32 v2, v2, v3, 1.0
	v_pk_add_f32 v[4:5], v[4:5], s[0:1]
	v_pk_mul_f32 v[4:5], v[4:5], v[2:3] op_sel_hi:[1,0]
                                        ; implicit-def: $vgpr2_vgpr3
.LBB133_30:
	s_andn2_saveexec_b64 s[0:1], s[2:3]
	s_cbranch_execz .LBB133_32
; %bb.31:
	v_div_scale_f32 v4, s[2:3], v2, v2, v3
	v_rcp_f32_e32 v5, v4
	v_div_scale_f32 v6, vcc, v3, v2, v3
	v_fma_f32 v7, -v4, v5, 1.0
	v_fmac_f32_e32 v5, v7, v5
	v_mul_f32_e32 v7, v6, v5
	v_fma_f32 v9, -v4, v7, v6
	v_fmac_f32_e32 v7, v9, v5
	v_fma_f32 v4, -v4, v7, v6
	v_div_fmas_f32 v4, v4, v5, v7
	v_div_fixup_f32 v5, v4, v2, v3
	v_fmac_f32_e32 v2, v3, v5
	v_div_scale_f32 v3, s[2:3], v2, v2, 1.0
	v_rcp_f32_e32 v4, v3
	s_mov_b32 s2, 1.0
	s_mov_b32 s3, 0
	v_fma_f32 v6, -v3, v4, 1.0
	v_fmac_f32_e32 v4, v6, v4
	v_div_scale_f32 v6, vcc, 1.0, v2, 1.0
	v_mul_f32_e32 v7, v6, v4
	v_fma_f32 v9, -v3, v7, v6
	v_fmac_f32_e32 v7, v9, v4
	v_fma_f32 v3, -v3, v7, v6
	v_div_fmas_f32 v3, v3, v4, v7
	v_mul_f32_e32 v4, 0, v5
	v_pk_add_f32 v[6:7], v[4:5], s[2:3]
	v_pk_add_f32 v[4:5], v[4:5], s[2:3] neg_lo:[1,0] neg_hi:[1,0]
	v_div_fixup_f32 v2, v3, v2, 1.0
	v_mov_b32_e32 v7, v5
	v_pk_mul_f32 v[4:5], v[6:7], v[2:3] op_sel_hi:[1,0]
.LBB133_32:
	s_or_b64 exec, exec, s[0:1]
	s_mov_b64 s[0:1], 0
	ds_write_b64 v1, v[4:5]
.LBB133_33:
	s_and_b64 vcc, exec, s[0:1]
	s_cbranch_vccz .LBB133_35
; %bb.34:
	v_mov_b32_e32 v2, 1.0
	v_mov_b32_e32 v3, 0
	ds_write_b64 v1, v[2:3]
.LBB133_35:
	s_or_b64 exec, exec, s[26:27]
	s_load_dword s20, s[6:7], 0x50
	s_load_dwordx2 s[0:1], s[6:7], 0x58
	s_add_i32 s41, s41, -1
	v_lshlrev_b32_e32 v9, 3, v8
	s_waitcnt lgkmcnt(0)
	s_ashr_i32 s12, s20, 31
	s_mul_i32 s1, s9, s1
	s_mul_hi_u32 s3, s9, s0
	s_mul_i32 s2, s9, s0
	s_lshl_b32 s0, s8, 2
	s_add_i32 s3, s3, s1
	s_sub_i32 s1, s19, s0
	s_cmp_ge_u32 s8, s41
	s_cselect_b32 s6, s1, 4
	s_ashr_i32 s1, s0, 31
	s_cmp_gt_i32 s18, 0
	v_cmp_gt_i32_e32 vcc, s6, v8
	s_cselect_b64 s[6:7], -1, 0
	s_and_b64 s[6:7], vcc, s[6:7]
	s_and_saveexec_b64 s[8:9], s[6:7]
	s_cbranch_execz .LBB133_38
; %bb.36:
	s_lshl_b64 s[22:23], s[0:1], 3
	s_lshl_b64 s[18:19], s[2:3], 3
	v_mov_b32_e32 v2, s23
	v_add_co_u32_e32 v4, vcc, s22, v9
	s_lshl_b64 s[22:23], s[10:11], 3
	s_add_u32 s1, s14, s22
	s_addc_u32 s13, s15, s23
	s_add_u32 s18, s1, s18
	s_addc_u32 s19, s13, s19
	v_addc_co_u32_e32 v5, vcc, 0, v2, vcc
	v_pk_mov_b32 v[2:3], s[18:19], s[18:19] op_sel:[0,1]
	v_mad_u64_u32 v[2:3], s[18:19], v4, s20, v[2:3]
	v_mul_lo_u32 v4, v4, s12
	v_mul_lo_u32 v5, v5, s20
	v_add3_u32 v3, v5, v3, v4
	v_add_co_u32_e32 v2, vcc, 4, v2
	v_or_b32_e32 v1, 0x80, v9
	v_addc_co_u32_e32 v3, vcc, 0, v3, vcc
	s_mov_b32 s1, s33
.LBB133_37:                             ; =>This Inner Loop Header: Depth=1
	global_load_dwordx2 v[4:5], v[2:3], off offset:-4
	s_add_i32 s1, s1, -1
	v_add_co_u32_e32 v2, vcc, 8, v2
	v_addc_co_u32_e32 v3, vcc, 0, v3, vcc
	s_cmp_lg_u32 s1, 0
	s_waitcnt vmcnt(0)
	v_mul_f32_e32 v6, s25, v5
	v_mul_f32_e32 v7, s24, v5
	v_fma_f32 v6, s24, v4, -v6
	v_fmac_f32_e32 v7, s25, v4
	ds_write_b64 v1, v[6:7]
	v_add_u32_e32 v1, 32, v1
	s_cbranch_scc1 .LBB133_37
.LBB133_38:
	s_or_b64 exec, exec, s[8:9]
	s_load_dwordx2 s[4:5], s[4:5], 0x4
	v_bfe_u32 v1, v0, 10, 10
	v_bfe_u32 v2, v0, 20, 10
	v_mov_b32_e32 v0, 0x100
	s_waitcnt lgkmcnt(0)
	s_lshr_b32 s1, s4, 16
	s_mul_i32 s1, s1, s5
	v_mul_u32_u24_e32 v1, s5, v1
	v_mul_u32_u24_e32 v3, s1, v8
	v_add3_u32 v11, v3, v1, v2
	v_lshl_add_u32 v10, v11, 5, v0
	s_cmpk_eq_i32 s16, 0x6f
	s_mov_b64 s[4:5], -1
	; wave barrier
	s_cbranch_scc1 .LBB133_67
; %bb.39:
	v_mov_b32_e32 v1, 0x80
	s_mov_b32 s5, 0
	v_lshl_or_b32 v12, v8, 3, v1
	v_lshl_add_u32 v13, v11, 5, v0
	s_mov_b32 s4, s5
	s_mov_b32 s1, s5
	s_branch .LBB133_41
.LBB133_40:                             ;   in Loop: Header=BB133_41 Depth=1
	s_cmp_ge_i32 s1, s33
	s_cselect_b64 s[8:9], -1, 0
	s_add_i32 s4, s4, 1
	s_cmp_eq_u32 s4, 3
	s_cselect_b64 s[12:13], -1, 0
	s_or_b64 s[8:9], s[8:9], s[12:13]
	s_andn2_b64 vcc, exec, s[8:9]
	s_cbranch_vccz .LBB133_66
.LBB133_41:                             ; =>This Loop Header: Depth=1
                                        ;     Child Loop BB133_44 Depth 2
                                        ;       Child Loop BB133_45 Depth 3
                                        ;       Child Loop BB133_49 Depth 3
                                        ;         Child Loop BB133_51 Depth 4
                                        ;         Child Loop BB133_57 Depth 4
                                        ;       Child Loop BB133_60 Depth 3
                                        ;         Child Loop BB133_62 Depth 4
	s_lshl_b64 s[8:9], s[4:5], 2
	s_getpc_b64 s[12:13]
	s_add_u32 s12, s12, __const._ZL38rocblas_trsm_small_left_device_sharedBILi4ELi4ELb0E19rocblas_complex_numIfES1_PKS1_PS1_Ev13rocblas_fill_18rocblas_operation_17rocblas_diagonal_iiT3_T4_lilT5_lili.step_sizes@rel32@lo+4
	s_addc_u32 s13, s13, __const._ZL38rocblas_trsm_small_left_device_sharedBILi4ELi4ELb0E19rocblas_complex_numIfES1_PKS1_PS1_Ev13rocblas_fill_18rocblas_operation_17rocblas_diagonal_iiT3_T4_lilT5_lili.step_sizes@rel32@hi+12
	s_add_u32 s8, s8, s12
	s_addc_u32 s9, s9, s13
	s_load_dword s21, s[8:9], 0x0
	s_waitcnt lgkmcnt(0)
	s_add_i32 s22, s21, -1
	s_add_i32 s8, s22, s1
	s_cmp_ge_i32 s8, s33
	s_cbranch_scc1 .LBB133_40
; %bb.42:                               ;   in Loop: Header=BB133_41 Depth=1
	s_max_i32 s23, s21, 1
	s_add_i32 s8, s4, -1
	s_cmp_gt_u32 s8, 1
	s_cselect_b64 s[8:9], -1, 0
	s_and_b32 s24, s23, 0x7ffffffe
	s_cmp_lg_u32 s23, s24
	s_cselect_b64 s[12:13], -1, 0
	v_lshl_add_u32 v14, s1, 5, v12
	s_lshl_b32 s25, s21, 5
	s_mul_i32 s26, s1, 40
	s_mul_i32 s27, s21, 40
	s_branch .LBB133_44
.LBB133_43:                             ;   in Loop: Header=BB133_44 Depth=2
	s_add_i32 s1, s1, s21
	s_add_i32 s16, s22, s1
	;; [unrolled: 1-line block ×3, first 2 shown]
	s_cmp_ge_i32 s16, s33
	v_add_u32_e32 v14, s25, v14
	s_cbranch_scc1 .LBB133_40
.LBB133_44:                             ;   Parent Loop BB133_41 Depth=1
                                        ; =>  This Loop Header: Depth=2
                                        ;       Child Loop BB133_45 Depth 3
                                        ;       Child Loop BB133_49 Depth 3
                                        ;         Child Loop BB133_51 Depth 4
                                        ;         Child Loop BB133_57 Depth 4
                                        ;       Child Loop BB133_60 Depth 3
                                        ;         Child Loop BB133_62 Depth 4
	v_mov_b32_e32 v0, v10
	v_mov_b32_e32 v1, v14
	s_mov_b32 s16, s23
.LBB133_45:                             ;   Parent Loop BB133_41 Depth=1
                                        ;     Parent Loop BB133_44 Depth=2
                                        ; =>    This Inner Loop Header: Depth=3
	ds_read_b64 v[2:3], v1
	s_add_i32 s16, s16, -1
	v_add_u32_e32 v1, 32, v1
	s_cmp_eq_u32 s16, 0
	s_waitcnt lgkmcnt(0)
	ds_write_b64 v0, v[2:3]
	v_add_u32_e32 v0, 8, v0
	s_cbranch_scc0 .LBB133_45
; %bb.46:                               ;   in Loop: Header=BB133_44 Depth=2
	s_cmp_lt_i32 s1, 1
	s_cbranch_scc1 .LBB133_58
; %bb.47:                               ;   in Loop: Header=BB133_44 Depth=2
	s_mov_b32 s28, s1
	s_mov_b32 s29, 0
	;; [unrolled: 1-line block ×3, first 2 shown]
	s_branch .LBB133_49
.LBB133_48:                             ;   in Loop: Header=BB133_49 Depth=3
	s_add_i32 s30, s30, 1
	s_add_i32 s29, s29, 8
	s_cmp_ge_i32 s30, s1
	s_cbranch_scc1 .LBB133_58
.LBB133_49:                             ;   Parent Loop BB133_41 Depth=1
                                        ;     Parent Loop BB133_44 Depth=2
                                        ; =>    This Loop Header: Depth=3
                                        ;         Child Loop BB133_51 Depth 4
                                        ;         Child Loop BB133_57 Depth 4
	s_waitcnt lgkmcnt(0)
	v_lshl_or_b32 v0, s30, 5, v9
	ds_read_b64 v[0:1], v0 offset:128
	s_and_b64 vcc, exec, s[8:9]
	s_cbranch_vccz .LBB133_53
; %bb.50:                               ;   in Loop: Header=BB133_49 Depth=3
	s_mov_b32 s16, s30
	s_waitcnt lgkmcnt(0)
	v_mov_b32_e32 v4, v0
	v_mov_b32_e32 v5, v0
	;; [unrolled: 1-line block ×5, first 2 shown]
	s_mov_b32 s17, 1
	s_mov_b32 s18, 0
	s_mov_b32 s19, s24
	v_mov_b32_e32 v3, v10
.LBB133_51:                             ;   Parent Loop BB133_41 Depth=1
                                        ;     Parent Loop BB133_44 Depth=2
                                        ;       Parent Loop BB133_49 Depth=3
                                        ; =>      This Inner Loop Header: Depth=4
	s_add_i32 s31, s17, s28
	s_add_i32 s34, s18, s1
	s_lshl_b32 s34, s34, 2
	s_lshl_b32 s31, s31, 2
	s_add_i32 s31, s31, s16
	s_add_i32 s34, s34, s30
	s_lshl_b32 s34, s34, 3
	s_lshl_b32 s31, s31, 3
	v_mov_b32_e32 v15, s34
	v_mov_b32_e32 v22, s31
	ds_read_b128 v[16:19], v3
	ds_read_b64 v[20:21], v15
	ds_read_b64 v[22:23], v22
	s_add_i32 s18, s18, 2
	s_add_i32 s17, s17, 2
	s_add_i32 s19, s19, -2
	s_waitcnt lgkmcnt(2)
	v_mov_b32_e32 v25, v18
	v_mov_b32_e32 v18, v17
	s_waitcnt lgkmcnt(0)
	v_mov_b32_e32 v17, v22
	v_mov_b32_e32 v22, v21
	;; [unrolled: 1-line block ×4, first 2 shown]
	v_pk_mul_f32 v[20:21], v[22:23], v[6:7]
	v_pk_mul_f32 v[22:23], v[22:23], v[4:5]
	v_pk_fma_f32 v[20:21], v[16:17], v[4:5], v[20:21] neg_lo:[0,0,1] neg_hi:[0,0,1]
	v_pk_fma_f32 v[16:17], v[16:17], v[6:7], v[22:23]
	v_pk_add_f32 v[20:21], v[24:25], v[20:21] neg_lo:[0,1] neg_hi:[0,1]
	v_pk_add_f32 v[18:19], v[18:19], v[16:17] neg_lo:[0,1] neg_hi:[0,1]
	v_mov_b32_e32 v16, v20
	v_mov_b32_e32 v17, v18
	;; [unrolled: 1-line block ×3, first 2 shown]
	s_cmp_lg_u32 s19, 0
	ds_write_b128 v3, v[16:19]
	v_add_u32_e32 v3, 16, v3
	s_cbranch_scc1 .LBB133_51
; %bb.52:                               ;   in Loop: Header=BB133_49 Depth=3
	s_mov_b64 s[16:17], s[12:13]
	s_mov_b32 s18, s24
	s_branch .LBB133_55
.LBB133_53:                             ;   in Loop: Header=BB133_49 Depth=3
	s_mov_b64 s[16:17], 0
                                        ; implicit-def: $vgpr2_vgpr3
	s_mov_b32 s18, s24
	s_cbranch_execz .LBB133_55
; %bb.54:                               ;   in Loop: Header=BB133_49 Depth=3
	s_waitcnt lgkmcnt(0)
	v_mov_b32_e32 v2, v1
	s_mov_b64 s[16:17], -1
	s_mov_b32 s18, 0
.LBB133_55:                             ;   in Loop: Header=BB133_49 Depth=3
	s_andn2_b64 vcc, exec, s[16:17]
	s_cbranch_vccnz .LBB133_48
; %bb.56:                               ;   in Loop: Header=BB133_49 Depth=3
	s_add_i32 s17, s1, s18
	s_lshl_b32 s17, s17, 5
	s_waitcnt lgkmcnt(0)
	v_mov_b32_e32 v3, v1
	v_mov_b32_e32 v1, v0
	s_sub_i32 s16, s23, s18
	s_add_i32 s17, s29, s17
	v_lshl_add_u32 v4, s18, 3, v13
.LBB133_57:                             ;   Parent Loop BB133_41 Depth=1
                                        ;     Parent Loop BB133_44 Depth=2
                                        ;       Parent Loop BB133_49 Depth=3
                                        ; =>      This Inner Loop Header: Depth=4
	v_mov_b32_e32 v5, s17
	ds_read_b64 v[16:17], v5
	ds_read_b64 v[6:7], v4
	s_add_i32 s16, s16, -1
	s_add_i32 s17, s17, 32
	s_cmp_eq_u32 s16, 0
	s_waitcnt lgkmcnt(1)
	v_pk_mul_f32 v[18:19], v[16:17], v[2:3]
	v_pk_fma_f32 v[20:21], v[16:17], v[0:1], v[18:19] op_sel:[0,0,1] op_sel_hi:[1,1,0] neg_lo:[0,0,1] neg_hi:[0,0,1]
	v_pk_fma_f32 v[16:17], v[16:17], v[0:1], v[18:19] op_sel:[0,0,1] op_sel_hi:[1,1,0]
	v_mov_b32_e32 v21, v17
	s_waitcnt lgkmcnt(0)
	v_pk_add_f32 v[6:7], v[6:7], v[20:21] neg_lo:[0,1] neg_hi:[0,1]
	ds_write_b64 v4, v[6:7]
	v_add_u32_e32 v4, 8, v4
	s_cbranch_scc0 .LBB133_57
	s_branch .LBB133_48
.LBB133_58:                             ;   in Loop: Header=BB133_44 Depth=2
	s_lshl_b32 s18, s1, 2
	s_mov_b32 s19, 0
	s_mov_b32 s28, s26
	s_branch .LBB133_60
.LBB133_59:                             ;   in Loop: Header=BB133_60 Depth=3
	s_mul_i32 s16, s30, 40
	v_mov_b32_e32 v3, s16
	ds_read_b64 v[4:5], v3
	s_add_i32 s19, s19, 1
	s_add_i32 s28, s28, 32
	v_add_lshl_u32 v3, s29, v8, 3
	s_cmp_eq_u32 s19, s23
	s_waitcnt lgkmcnt(0)
	v_mul_f32_e32 v6, v5, v1
	v_mul_f32_e32 v7, v4, v1
	v_fma_f32 v6, v4, v0, -v6
	v_fmac_f32_e32 v7, v5, v0
	ds_write_b64 v2, v[6:7]
	ds_write_b64 v3, v[6:7] offset:128
	s_cbranch_scc1 .LBB133_43
.LBB133_60:                             ;   Parent Loop BB133_41 Depth=1
                                        ;     Parent Loop BB133_44 Depth=2
                                        ; =>    This Loop Header: Depth=3
                                        ;         Child Loop BB133_62 Depth 4
	s_cmp_lg_u32 s19, 0
	v_lshl_add_u32 v2, s19, 3, v10
	s_cbranch_scc0 .LBB133_64
; %bb.61:                               ;   in Loop: Header=BB133_60 Depth=3
	s_waitcnt lgkmcnt(0)
	ds_read_b64 v[0:1], v2
	s_mov_b32 s16, 0
	s_mov_b32 s17, s28
	v_mov_b32_e32 v3, v10
.LBB133_62:                             ;   Parent Loop BB133_41 Depth=1
                                        ;     Parent Loop BB133_44 Depth=2
                                        ;       Parent Loop BB133_60 Depth=3
                                        ; =>      This Inner Loop Header: Depth=4
	v_mov_b32_e32 v6, s17
	ds_read_b64 v[4:5], v3
	ds_read_b64 v[6:7], v6
	s_add_i32 s16, s16, 1
	s_add_i32 s17, s17, 8
	v_add_u32_e32 v3, 8, v3
	s_cmp_ge_u32 s16, s19
	s_waitcnt lgkmcnt(0)
	v_pk_mul_f32 v[16:17], v[6:7], v[4:5] op_sel:[0,1]
	v_pk_fma_f32 v[18:19], v[6:7], v[4:5], v[16:17] op_sel:[0,0,1] op_sel_hi:[1,1,0] neg_lo:[0,0,1] neg_hi:[0,0,1]
	v_pk_fma_f32 v[4:5], v[6:7], v[4:5], v[16:17] op_sel:[0,0,1] op_sel_hi:[1,0,0]
	v_mov_b32_e32 v19, v5
	v_pk_add_f32 v[0:1], v[0:1], v[18:19] neg_lo:[0,1] neg_hi:[0,1]
	ds_write_b64 v2, v[0:1]
	s_cbranch_scc0 .LBB133_62
; %bb.63:                               ;   in Loop: Header=BB133_60 Depth=3
	s_add_i32 s30, s19, s1
	s_lshl_b32 s29, s30, 2
	s_branch .LBB133_59
.LBB133_64:                             ;   in Loop: Header=BB133_60 Depth=3
                                        ; implicit-def: $vgpr0
                                        ; implicit-def: $sgpr30
                                        ; implicit-def: $sgpr29
	s_cbranch_execz .LBB133_59
; %bb.65:                               ;   in Loop: Header=BB133_60 Depth=3
	s_waitcnt lgkmcnt(0)
	ds_read_b64 v[0:1], v10
	s_mov_b32 s29, s18
	s_mov_b32 s30, s1
	s_branch .LBB133_59
.LBB133_66:
	s_mov_b64 s[4:5], 0
.LBB133_67:
	s_and_b64 vcc, exec, s[4:5]
	s_cbranch_vccz .LBB133_94
; %bb.68:
	v_mov_b32_e32 v0, 0x80
	v_lshl_or_b32 v12, v8, 3, v0
	s_lshl_b32 s1, s33, 5
	v_mov_b32_e32 v0, 0x100
	s_mov_b32 s5, 0
	s_sub_i32 s1, s1, 32
	v_lshl_add_u32 v11, v11, 5, v0
	s_mov_b32 s4, s5
	s_mov_b32 s21, s40
	s_branch .LBB133_70
.LBB133_69:                             ;   in Loop: Header=BB133_70 Depth=1
	s_cmp_lt_i32 s21, 0
	s_cselect_b64 s[8:9], -1, 0
	s_add_i32 s4, s4, 1
	s_cmp_eq_u32 s4, 3
	s_cselect_b64 s[12:13], -1, 0
	s_or_b64 s[8:9], s[8:9], s[12:13]
	s_and_b64 vcc, exec, s[8:9]
	s_cbranch_vccnz .LBB133_94
.LBB133_70:                             ; =>This Loop Header: Depth=1
                                        ;     Child Loop BB133_73 Depth 2
                                        ;       Child Loop BB133_74 Depth 3
                                        ;       Child Loop BB133_85 Depth 3
                                        ;         Child Loop BB133_87 Depth 4
                                        ;         Child Loop BB133_93 Depth 4
                                        ;       Child Loop BB133_78 Depth 3
                                        ;         Child Loop BB133_80 Depth 4
	s_lshl_b64 s[8:9], s[4:5], 2
	s_getpc_b64 s[12:13]
	s_add_u32 s12, s12, __const._ZL38rocblas_trsm_small_left_device_sharedBILi4ELi4ELb0E19rocblas_complex_numIfES1_PKS1_PS1_Ev13rocblas_fill_18rocblas_operation_17rocblas_diagonal_iiT3_T4_lilT5_lili.step_sizes@rel32@lo+4
	s_addc_u32 s13, s13, __const._ZL38rocblas_trsm_small_left_device_sharedBILi4ELi4ELb0E19rocblas_complex_numIfES1_PKS1_PS1_Ev13rocblas_fill_18rocblas_operation_17rocblas_diagonal_iiT3_T4_lilT5_lili.step_sizes@rel32@hi+12
	s_add_u32 s8, s8, s12
	s_addc_u32 s9, s9, s13
	s_load_dword s22, s[8:9], 0x0
	s_waitcnt lgkmcnt(0)
	s_add_i32 s23, s22, -1
	s_cmp_lt_i32 s21, s23
	s_cbranch_scc1 .LBB133_69
; %bb.71:                               ;   in Loop: Header=BB133_70 Depth=1
	s_max_i32 s24, s22, 1
	s_add_i32 s8, s4, -1
	s_cmp_gt_u32 s8, 1
	s_cselect_b64 s[8:9], -1, 0
	s_and_b32 s25, s24, 0x7ffffffe
	s_cmp_lg_u32 s24, s25
	s_cselect_b64 s[12:13], -1, 0
	s_lshl_b32 s16, s22, 5
	s_sub_i32 s26, 0, s16
	s_lshl_b32 s16, s21, 3
	s_add_i32 s27, s1, s16
	s_lshl_b32 s16, s22, 3
	v_lshl_add_u32 v13, s21, 5, v12
	s_sub_i32 s28, 0, s16
	s_mul_i32 s29, s21, 40
	s_mul_i32 s30, s22, 0xffffffd8
	s_branch .LBB133_73
.LBB133_72:                             ;   in Loop: Header=BB133_73 Depth=2
	s_sub_i32 s21, s21, s22
	s_add_i32 s27, s27, s28
	s_add_i32 s29, s29, s30
	s_cmp_lt_i32 s21, s23
	v_add_u32_e32 v13, s26, v13
	s_cbranch_scc1 .LBB133_69
.LBB133_73:                             ;   Parent Loop BB133_70 Depth=1
                                        ; =>  This Loop Header: Depth=2
                                        ;       Child Loop BB133_74 Depth 3
                                        ;       Child Loop BB133_85 Depth 3
                                        ;         Child Loop BB133_87 Depth 4
                                        ;         Child Loop BB133_93 Depth 4
                                        ;       Child Loop BB133_78 Depth 3
                                        ;         Child Loop BB133_80 Depth 4
	v_mov_b32_e32 v0, v10
	v_mov_b32_e32 v1, v13
	s_mov_b32 s16, s24
.LBB133_74:                             ;   Parent Loop BB133_70 Depth=1
                                        ;     Parent Loop BB133_73 Depth=2
                                        ; =>    This Inner Loop Header: Depth=3
	ds_read_b64 v[2:3], v1
	s_add_i32 s16, s16, -1
	v_subrev_u32_e32 v1, 32, v1
	s_cmp_eq_u32 s16, 0
	s_waitcnt lgkmcnt(0)
	ds_write_b64 v0, v[2:3]
	v_add_u32_e32 v0, 8, v0
	s_cbranch_scc0 .LBB133_74
; %bb.75:                               ;   in Loop: Header=BB133_73 Depth=2
	s_cmp_le_i32 s40, s21
	s_mov_b32 s31, s27
	s_mov_b32 s34, s40
	s_cbranch_scc0 .LBB133_85
.LBB133_76:                             ;   in Loop: Header=BB133_73 Depth=2
	s_mov_b32 s18, 0
	s_mov_b32 s19, s29
	s_branch .LBB133_78
.LBB133_77:                             ;   in Loop: Header=BB133_78 Depth=3
	s_mul_i32 s16, s31, 40
	v_mov_b32_e32 v3, s16
	ds_read_b64 v[4:5], v3
	s_add_i32 s18, s18, 1
	s_add_i32 s19, s19, -8
	v_lshl_or_b32 v3, s31, 5, v9
	s_cmp_eq_u32 s18, s24
	s_waitcnt lgkmcnt(0)
	v_mul_f32_e32 v6, v5, v1
	v_mul_f32_e32 v7, v4, v1
	v_fma_f32 v6, v4, v0, -v6
	v_fmac_f32_e32 v7, v5, v0
	ds_write_b64 v2, v[6:7]
	ds_write_b64 v3, v[6:7] offset:128
	s_cbranch_scc1 .LBB133_72
.LBB133_78:                             ;   Parent Loop BB133_70 Depth=1
                                        ;     Parent Loop BB133_73 Depth=2
                                        ; =>    This Loop Header: Depth=3
                                        ;         Child Loop BB133_80 Depth 4
	s_cmp_lg_u32 s18, 0
	v_lshl_add_u32 v2, s18, 3, v10
	s_cbranch_scc0 .LBB133_82
; %bb.79:                               ;   in Loop: Header=BB133_78 Depth=3
	s_waitcnt lgkmcnt(0)
	ds_read_b64 v[0:1], v2
	s_mov_b32 s16, 0
	v_mov_b32_e32 v3, v10
	s_mov_b32 s17, s19
.LBB133_80:                             ;   Parent Loop BB133_70 Depth=1
                                        ;     Parent Loop BB133_73 Depth=2
                                        ;       Parent Loop BB133_78 Depth=3
                                        ; =>      This Inner Loop Header: Depth=4
	v_mov_b32_e32 v6, s17
	ds_read_b64 v[4:5], v3
	ds_read_b64 v[6:7], v6
	s_add_i32 s16, s16, 1
	s_sub_i32 s17, s17, 32
	v_add_u32_e32 v3, 8, v3
	s_cmp_ge_u32 s16, s18
	s_waitcnt lgkmcnt(0)
	v_pk_mul_f32 v[14:15], v[6:7], v[4:5] op_sel:[0,1]
	v_pk_fma_f32 v[16:17], v[6:7], v[4:5], v[14:15] op_sel:[0,0,1] op_sel_hi:[1,1,0] neg_lo:[0,0,1] neg_hi:[0,0,1]
	v_pk_fma_f32 v[4:5], v[6:7], v[4:5], v[14:15] op_sel:[0,0,1] op_sel_hi:[1,0,0]
	v_mov_b32_e32 v17, v5
	v_pk_add_f32 v[0:1], v[0:1], v[16:17] neg_lo:[0,1] neg_hi:[0,1]
	ds_write_b64 v2, v[0:1]
	s_cbranch_scc0 .LBB133_80
; %bb.81:                               ;   in Loop: Header=BB133_78 Depth=3
	s_sub_i32 s31, s21, s18
	s_branch .LBB133_77
.LBB133_82:                             ;   in Loop: Header=BB133_78 Depth=3
                                        ; implicit-def: $vgpr0
                                        ; implicit-def: $sgpr31
	s_cbranch_execz .LBB133_77
; %bb.83:                               ;   in Loop: Header=BB133_78 Depth=3
	s_waitcnt lgkmcnt(0)
	ds_read_b64 v[0:1], v10
	s_mov_b32 s31, s21
	s_branch .LBB133_77
.LBB133_84:                             ;   in Loop: Header=BB133_85 Depth=3
	s_add_i32 s34, s34, -1
	s_sub_i32 s31, s31, 32
	s_cmp_le_i32 s34, s21
	s_cbranch_scc1 .LBB133_76
.LBB133_85:                             ;   Parent Loop BB133_70 Depth=1
                                        ;     Parent Loop BB133_73 Depth=2
                                        ; =>    This Loop Header: Depth=3
                                        ;         Child Loop BB133_87 Depth 4
                                        ;         Child Loop BB133_93 Depth 4
	s_lshl_b32 s16, s34, 2
	s_waitcnt lgkmcnt(0)
	v_or_b32_e32 v0, s16, v8
	v_lshlrev_b32_e32 v0, 3, v0
	ds_read_b64 v[0:1], v0 offset:128
	s_and_b64 vcc, exec, s[8:9]
	s_cbranch_vccz .LBB133_89
; %bb.86:                               ;   in Loop: Header=BB133_85 Depth=3
	s_add_i32 s16, s16, s21
	s_mov_b32 s17, s16
	s_waitcnt lgkmcnt(0)
	v_mov_b32_e32 v4, v0
	v_mov_b32_e32 v5, v0
	;; [unrolled: 1-line block ×5, first 2 shown]
	s_mov_b32 s18, 1
	s_mov_b32 s19, 0
	;; [unrolled: 1-line block ×3, first 2 shown]
	v_mov_b32_e32 v3, v10
.LBB133_87:                             ;   Parent Loop BB133_70 Depth=1
                                        ;     Parent Loop BB133_73 Depth=2
                                        ;       Parent Loop BB133_85 Depth=3
                                        ; =>      This Inner Loop Header: Depth=4
	s_sub_i32 s36, s17, s18
	s_sub_i32 s37, s16, s19
	s_lshl_b32 s37, s37, 3
	s_lshl_b32 s36, s36, 3
	v_mov_b32_e32 v18, s37
	v_mov_b32_e32 v20, s36
	ds_read_b128 v[14:17], v3
	ds_read_b64 v[18:19], v18
	ds_read_b64 v[20:21], v20
	s_add_i32 s19, s19, 2
	s_add_i32 s18, s18, 2
	s_add_i32 s35, s35, -2
	s_waitcnt lgkmcnt(2)
	v_mov_b32_e32 v23, v16
	v_mov_b32_e32 v16, v15
	s_waitcnt lgkmcnt(0)
	v_mov_b32_e32 v15, v20
	v_mov_b32_e32 v20, v19
	;; [unrolled: 1-line block ×4, first 2 shown]
	v_pk_mul_f32 v[18:19], v[20:21], v[6:7]
	v_pk_mul_f32 v[20:21], v[20:21], v[4:5]
	v_pk_fma_f32 v[18:19], v[14:15], v[4:5], v[18:19] neg_lo:[0,0,1] neg_hi:[0,0,1]
	v_pk_fma_f32 v[14:15], v[14:15], v[6:7], v[20:21]
	v_pk_add_f32 v[18:19], v[22:23], v[18:19] neg_lo:[0,1] neg_hi:[0,1]
	v_pk_add_f32 v[16:17], v[16:17], v[14:15] neg_lo:[0,1] neg_hi:[0,1]
	v_mov_b32_e32 v14, v18
	v_mov_b32_e32 v15, v16
	;; [unrolled: 1-line block ×3, first 2 shown]
	s_cmp_lg_u32 s35, 0
	ds_write_b128 v3, v[14:17]
	v_add_u32_e32 v3, 16, v3
	s_cbranch_scc1 .LBB133_87
; %bb.88:                               ;   in Loop: Header=BB133_85 Depth=3
	s_mov_b64 s[16:17], s[12:13]
	s_mov_b32 s18, s25
	s_branch .LBB133_91
.LBB133_89:                             ;   in Loop: Header=BB133_85 Depth=3
	s_mov_b64 s[16:17], 0
                                        ; implicit-def: $vgpr2_vgpr3
	s_mov_b32 s18, s25
	s_cbranch_execz .LBB133_91
; %bb.90:                               ;   in Loop: Header=BB133_85 Depth=3
	s_waitcnt lgkmcnt(0)
	v_mov_b32_e32 v2, v1
	s_mov_b64 s[16:17], -1
	s_mov_b32 s18, 0
.LBB133_91:                             ;   in Loop: Header=BB133_85 Depth=3
	s_andn2_b64 vcc, exec, s[16:17]
	s_cbranch_vccnz .LBB133_84
; %bb.92:                               ;   in Loop: Header=BB133_85 Depth=3
	s_lshl_b32 s19, s18, 3
	s_waitcnt lgkmcnt(0)
	v_mov_b32_e32 v3, v1
	v_mov_b32_e32 v1, v0
	s_sub_i32 s16, s31, s19
	s_sub_i32 s17, s24, s18
	v_add_u32_e32 v4, s19, v11
.LBB133_93:                             ;   Parent Loop BB133_70 Depth=1
                                        ;     Parent Loop BB133_73 Depth=2
                                        ;       Parent Loop BB133_85 Depth=3
                                        ; =>      This Inner Loop Header: Depth=4
	v_mov_b32_e32 v5, s16
	ds_read_b64 v[14:15], v5
	ds_read_b64 v[6:7], v4
	s_add_i32 s16, s16, -8
	s_add_i32 s17, s17, -1
	s_cmp_eq_u32 s17, 0
	s_waitcnt lgkmcnt(1)
	v_pk_mul_f32 v[16:17], v[14:15], v[2:3]
	v_pk_fma_f32 v[18:19], v[14:15], v[0:1], v[16:17] op_sel:[0,0,1] op_sel_hi:[1,1,0] neg_lo:[0,0,1] neg_hi:[0,0,1]
	v_pk_fma_f32 v[14:15], v[14:15], v[0:1], v[16:17] op_sel:[0,0,1] op_sel_hi:[1,1,0]
	v_mov_b32_e32 v19, v15
	s_waitcnt lgkmcnt(0)
	v_pk_add_f32 v[6:7], v[6:7], v[18:19] neg_lo:[0,1] neg_hi:[0,1]
	ds_write_b64 v4, v[6:7]
	v_add_u32_e32 v4, 8, v4
	s_cbranch_scc0 .LBB133_93
	s_branch .LBB133_84
.LBB133_94:
	s_waitcnt lgkmcnt(0)
	; wave barrier
	s_waitcnt lgkmcnt(0)
	s_and_saveexec_b64 s[4:5], s[6:7]
	s_cbranch_execz .LBB133_97
; %bb.95:
	s_lshl_b64 s[2:3], s[2:3], 3
	s_add_u32 s1, s14, s2
	s_addc_u32 s4, s15, s3
	s_lshl_b64 s[2:3], s[10:11], 3
	s_add_u32 s2, s1, s2
	s_mul_hi_i32 s1, s20, s0
	s_mul_i32 s0, s20, s0
	s_addc_u32 s3, s4, s3
	s_lshl_b64 s[0:1], s[0:1], 3
	s_add_u32 s2, s2, s0
	s_addc_u32 s3, s3, s1
	v_mad_i64_i32 v[0:1], s[0:1], s20, v8, 0
	v_lshlrev_b64 v[0:1], 3, v[0:1]
	v_mov_b32_e32 v2, s3
	v_add_co_u32_e32 v0, vcc, s2, v0
	v_addc_co_u32_e32 v1, vcc, v2, v1, vcc
	v_mov_b32_e32 v2, 0x80
	v_lshl_or_b32 v2, v8, 3, v2
.LBB133_96:                             ; =>This Inner Loop Header: Depth=1
	ds_read_b64 v[4:5], v2
	s_add_i32 s33, s33, -1
	v_add_u32_e32 v2, 32, v2
	s_cmp_lg_u32 s33, 0
	s_waitcnt lgkmcnt(0)
	global_store_dwordx2 v[0:1], v[4:5], off
	v_add_co_u32_e32 v0, vcc, 8, v0
	v_addc_co_u32_e32 v1, vcc, 0, v1, vcc
	s_cbranch_scc1 .LBB133_96
.LBB133_97:
	s_endpgm
	.section	.rodata,"a",@progbits
	.p2align	6, 0x0
	.amdhsa_kernel _ZL38rocblas_trsm_small_left_device_sharedBILi4ELi4ELb0E19rocblas_complex_numIfES1_PKS1_PS1_Ev13rocblas_fill_18rocblas_operation_17rocblas_diagonal_iiT3_T4_lilT5_lili
		.amdhsa_group_segment_fixed_size 384
		.amdhsa_private_segment_fixed_size 0
		.amdhsa_kernarg_size 360
		.amdhsa_user_sgpr_count 8
		.amdhsa_user_sgpr_private_segment_buffer 1
		.amdhsa_user_sgpr_dispatch_ptr 1
		.amdhsa_user_sgpr_queue_ptr 0
		.amdhsa_user_sgpr_kernarg_segment_ptr 1
		.amdhsa_user_sgpr_dispatch_id 0
		.amdhsa_user_sgpr_flat_scratch_init 0
		.amdhsa_user_sgpr_kernarg_preload_length 0
		.amdhsa_user_sgpr_kernarg_preload_offset 0
		.amdhsa_user_sgpr_private_segment_size 0
		.amdhsa_uses_dynamic_stack 0
		.amdhsa_system_sgpr_private_segment_wavefront_offset 0
		.amdhsa_system_sgpr_workgroup_id_x 1
		.amdhsa_system_sgpr_workgroup_id_y 0
		.amdhsa_system_sgpr_workgroup_id_z 1
		.amdhsa_system_sgpr_workgroup_info 0
		.amdhsa_system_vgpr_workitem_id 2
		.amdhsa_next_free_vgpr 26
		.amdhsa_next_free_sgpr 45
		.amdhsa_accum_offset 28
		.amdhsa_reserve_vcc 1
		.amdhsa_reserve_flat_scratch 0
		.amdhsa_float_round_mode_32 0
		.amdhsa_float_round_mode_16_64 0
		.amdhsa_float_denorm_mode_32 3
		.amdhsa_float_denorm_mode_16_64 3
		.amdhsa_dx10_clamp 1
		.amdhsa_ieee_mode 1
		.amdhsa_fp16_overflow 0
		.amdhsa_tg_split 0
		.amdhsa_exception_fp_ieee_invalid_op 0
		.amdhsa_exception_fp_denorm_src 0
		.amdhsa_exception_fp_ieee_div_zero 0
		.amdhsa_exception_fp_ieee_overflow 0
		.amdhsa_exception_fp_ieee_underflow 0
		.amdhsa_exception_fp_ieee_inexact 0
		.amdhsa_exception_int_div_zero 0
	.end_amdhsa_kernel
	.section	.text._ZL38rocblas_trsm_small_left_device_sharedBILi4ELi4ELb0E19rocblas_complex_numIfES1_PKS1_PS1_Ev13rocblas_fill_18rocblas_operation_17rocblas_diagonal_iiT3_T4_lilT5_lili,"axG",@progbits,_ZL38rocblas_trsm_small_left_device_sharedBILi4ELi4ELb0E19rocblas_complex_numIfES1_PKS1_PS1_Ev13rocblas_fill_18rocblas_operation_17rocblas_diagonal_iiT3_T4_lilT5_lili,comdat
.Lfunc_end133:
	.size	_ZL38rocblas_trsm_small_left_device_sharedBILi4ELi4ELb0E19rocblas_complex_numIfES1_PKS1_PS1_Ev13rocblas_fill_18rocblas_operation_17rocblas_diagonal_iiT3_T4_lilT5_lili, .Lfunc_end133-_ZL38rocblas_trsm_small_left_device_sharedBILi4ELi4ELb0E19rocblas_complex_numIfES1_PKS1_PS1_Ev13rocblas_fill_18rocblas_operation_17rocblas_diagonal_iiT3_T4_lilT5_lili
                                        ; -- End function
	.section	.AMDGPU.csdata,"",@progbits
; Kernel info:
; codeLenInByte = 3780
; NumSgprs: 49
; NumVgprs: 26
; NumAgprs: 0
; TotalNumVgprs: 26
; ScratchSize: 0
; MemoryBound: 0
; FloatMode: 240
; IeeeMode: 1
; LDSByteSize: 384 bytes/workgroup (compile time only)
; SGPRBlocks: 6
; VGPRBlocks: 3
; NumSGPRsForWavesPerEU: 49
; NumVGPRsForWavesPerEU: 26
; AccumOffset: 28
; Occupancy: 8
; WaveLimiterHint : 0
; COMPUTE_PGM_RSRC2:SCRATCH_EN: 0
; COMPUTE_PGM_RSRC2:USER_SGPR: 8
; COMPUTE_PGM_RSRC2:TRAP_HANDLER: 0
; COMPUTE_PGM_RSRC2:TGID_X_EN: 1
; COMPUTE_PGM_RSRC2:TGID_Y_EN: 0
; COMPUTE_PGM_RSRC2:TGID_Z_EN: 1
; COMPUTE_PGM_RSRC2:TIDIG_COMP_CNT: 2
; COMPUTE_PGM_RSRC3_GFX90A:ACCUM_OFFSET: 6
; COMPUTE_PGM_RSRC3_GFX90A:TG_SPLIT: 0
	.section	.text._ZL30rocblas_trsm_small_left_deviceILi4ELi4ELb0E19rocblas_complex_numIfES1_PKS1_PS1_Ev13rocblas_fill_18rocblas_operation_17rocblas_diagonal_iiT3_T4_lilT5_lili,"axG",@progbits,_ZL30rocblas_trsm_small_left_deviceILi4ELi4ELb0E19rocblas_complex_numIfES1_PKS1_PS1_Ev13rocblas_fill_18rocblas_operation_17rocblas_diagonal_iiT3_T4_lilT5_lili,comdat
	.globl	_ZL30rocblas_trsm_small_left_deviceILi4ELi4ELb0E19rocblas_complex_numIfES1_PKS1_PS1_Ev13rocblas_fill_18rocblas_operation_17rocblas_diagonal_iiT3_T4_lilT5_lili ; -- Begin function _ZL30rocblas_trsm_small_left_deviceILi4ELi4ELb0E19rocblas_complex_numIfES1_PKS1_PS1_Ev13rocblas_fill_18rocblas_operation_17rocblas_diagonal_iiT3_T4_lilT5_lili
	.p2align	8
	.type	_ZL30rocblas_trsm_small_left_deviceILi4ELi4ELb0E19rocblas_complex_numIfES1_PKS1_PS1_Ev13rocblas_fill_18rocblas_operation_17rocblas_diagonal_iiT3_T4_lilT5_lili,@function
_ZL30rocblas_trsm_small_left_deviceILi4ELi4ELb0E19rocblas_complex_numIfES1_PKS1_PS1_Ev13rocblas_fill_18rocblas_operation_17rocblas_diagonal_iiT3_T4_lilT5_lili: ; @_ZL30rocblas_trsm_small_left_deviceILi4ELi4ELb0E19rocblas_complex_numIfES1_PKS1_PS1_Ev13rocblas_fill_18rocblas_operation_17rocblas_diagonal_iiT3_T4_lilT5_lili
; %bb.0:
	s_load_dwordx4 s[16:19], s[6:7], 0x4
	s_load_dwordx2 s[10:11], s[6:7], 0x14
	s_load_dwordx4 s[12:15], s[6:7], 0x38
	s_load_dwordx2 s[24:25], s[6:7], 0x48
	s_load_dword s41, s[6:7], 0x68
	v_and_b32_e32 v1, 0x3ff, v0
	s_waitcnt lgkmcnt(0)
	s_min_i32 s40, s18, 4
	s_mov_b32 s42, 0
	s_add_i32 s33, s40, -1
	v_cmp_gt_i32_e32 vcc, s40, v1
	s_and_saveexec_b64 s[26:27], vcc
	s_cbranch_execz .LBB134_35
; %bb.1:
	s_load_dword s28, s[6:7], 0x30
	s_load_dwordx4 s[20:23], s[6:7], 0x20
	s_mul_i32 s0, s9, s13
	s_mul_hi_u32 s1, s9, s12
	s_mul_i32 s12, s9, s12
	s_waitcnt lgkmcnt(0)
	s_ashr_i32 s29, s28, 31
	s_cmpk_lg_i32 s16, 0x71
	s_cselect_b64 s[30:31], -1, 0
	s_add_i32 s13, s1, s0
	v_cndmask_b32_e64 v2, 0, 1, s[30:31]
	s_cmp_lt_u32 s33, 3
	v_lshlrev_b32_e32 v8, 3, v1
	v_cmp_ne_u32_e64 s[0:1], 1, v2
	s_cbranch_scc1 .LBB134_20
; %bb.2:
	s_lshl_b64 s[2:3], s[12:13], 3
	s_add_u32 s18, s20, s2
	s_addc_u32 s34, s21, s3
	s_lshl_b64 s[2:3], s[22:23], 3
	s_add_u32 s2, s18, s2
	s_addc_u32 s3, s34, s3
	v_mov_b32_e32 v3, s3
	v_add_co_u32_e32 v2, vcc, s2, v8
	s_mul_hi_i32 s2, s28, 24
	s_lshl_b64 s[34:35], s[28:29], 5
	s_lshl_b64 s[36:37], s[28:29], 4
	;; [unrolled: 1-line block ×3, first 2 shown]
	v_addc_co_u32_e32 v3, vcc, 0, v3, vcc
	s_and_b32 s42, s40, -4
	s_mul_i32 s18, s28, 24
	s_mov_b32 s43, 0
	v_mov_b32_e32 v9, s39
	v_mov_b32_e32 v10, s37
	v_mov_b32_e32 v11, s2
	v_mov_b32_e32 v12, s35
	v_mov_b32_e32 v13, v8
	s_branch .LBB134_4
.LBB134_3:                              ;   in Loop: Header=BB134_4 Depth=1
	global_load_dword v4, v[6:7], off
	s_add_i32 s43, s43, 4
	v_add_co_u32_e32 v2, vcc, s34, v2
	v_addc_co_u32_e32 v3, vcc, v3, v12, vcc
	s_cmp_eq_u32 s42, s43
	s_waitcnt vmcnt(0)
	ds_write_b64 v13, v[4:5] offset:96
	v_add_u32_e32 v13, 0x80, v13
	s_cbranch_scc1 .LBB134_20
.LBB134_4:                              ; =>This Inner Loop Header: Depth=1
	s_and_b64 vcc, exec, s[30:31]
	s_cbranch_vccz .LBB134_6
; %bb.5:                                ;   in Loop: Header=BB134_4 Depth=1
	global_load_dword v5, v[2:3], off offset:4
	s_cbranch_execz .LBB134_7
	s_branch .LBB134_8
.LBB134_6:                              ;   in Loop: Header=BB134_4 Depth=1
                                        ; implicit-def: $vgpr5
.LBB134_7:                              ;   in Loop: Header=BB134_4 Depth=1
	global_load_dword v4, v[2:3], off offset:4
	s_waitcnt vmcnt(0)
	v_xor_b32_e32 v5, 0x80000000, v4
.LBB134_8:                              ;   in Loop: Header=BB134_4 Depth=1
	global_load_dword v4, v[2:3], off
	v_add_co_u32_e64 v6, s[2:3], s38, v2
	s_and_b64 vcc, exec, s[0:1]
	v_addc_co_u32_e64 v7, s[2:3], v3, v9, s[2:3]
	s_waitcnt vmcnt(0)
	ds_write_b64 v13, v[4:5]
	s_cbranch_vccnz .LBB134_10
; %bb.9:                                ;   in Loop: Header=BB134_4 Depth=1
	global_load_dword v5, v[6:7], off offset:4
	s_cbranch_execz .LBB134_11
	s_branch .LBB134_12
.LBB134_10:                             ;   in Loop: Header=BB134_4 Depth=1
                                        ; implicit-def: $vgpr5
.LBB134_11:                             ;   in Loop: Header=BB134_4 Depth=1
	global_load_dword v4, v[6:7], off offset:4
	s_waitcnt vmcnt(0)
	v_xor_b32_e32 v5, 0x80000000, v4
.LBB134_12:                             ;   in Loop: Header=BB134_4 Depth=1
	global_load_dword v4, v[6:7], off
	v_add_co_u32_e64 v6, s[2:3], s36, v2
	s_and_b64 vcc, exec, s[0:1]
	v_addc_co_u32_e64 v7, s[2:3], v3, v10, s[2:3]
	s_waitcnt vmcnt(0)
	ds_write_b64 v13, v[4:5] offset:32
	s_cbranch_vccnz .LBB134_14
; %bb.13:                               ;   in Loop: Header=BB134_4 Depth=1
	global_load_dword v5, v[6:7], off offset:4
	s_cbranch_execz .LBB134_15
	s_branch .LBB134_16
.LBB134_14:                             ;   in Loop: Header=BB134_4 Depth=1
                                        ; implicit-def: $vgpr5
.LBB134_15:                             ;   in Loop: Header=BB134_4 Depth=1
	global_load_dword v4, v[6:7], off offset:4
	s_waitcnt vmcnt(0)
	v_xor_b32_e32 v5, 0x80000000, v4
.LBB134_16:                             ;   in Loop: Header=BB134_4 Depth=1
	global_load_dword v4, v[6:7], off
	v_add_co_u32_e64 v6, s[2:3], s18, v2
	s_and_b64 vcc, exec, s[0:1]
	v_addc_co_u32_e64 v7, s[2:3], v3, v11, s[2:3]
	s_waitcnt vmcnt(0)
	ds_write_b64 v13, v[4:5] offset:64
	s_cbranch_vccnz .LBB134_18
; %bb.17:                               ;   in Loop: Header=BB134_4 Depth=1
	global_load_dword v5, v[6:7], off offset:4
	s_cbranch_execnz .LBB134_3
	s_branch .LBB134_19
.LBB134_18:                             ;   in Loop: Header=BB134_4 Depth=1
                                        ; implicit-def: $vgpr5
.LBB134_19:                             ;   in Loop: Header=BB134_4 Depth=1
	global_load_dword v4, v[6:7], off offset:4
	s_waitcnt vmcnt(0)
	v_xor_b32_e32 v5, 0x80000000, v4
	s_branch .LBB134_3
.LBB134_20:
	s_and_b32 s18, s40, 3
	s_cmp_eq_u32 s18, 0
	s_cbranch_scc1 .LBB134_27
; %bb.21:
	s_lshl_b64 s[2:3], s[12:13], 3
	s_mul_i32 s12, s29, s42
	s_mul_hi_u32 s13, s28, s42
	s_add_i32 s13, s13, s12
	s_mul_i32 s12, s28, s42
	s_lshl_b64 s[12:13], s[12:13], 3
	s_add_u32 s12, s2, s12
	s_addc_u32 s13, s3, s13
	s_lshl_b64 s[2:3], s[22:23], 3
	s_add_u32 s2, s12, s2
	s_addc_u32 s3, s13, s3
	s_add_u32 s2, s20, s2
	s_addc_u32 s3, s21, s3
	v_mov_b32_e32 v2, s3
	v_add_co_u32_e32 v3, vcc, s2, v8
	v_addc_co_u32_e32 v4, vcc, 0, v2, vcc
	v_add_co_u32_e32 v2, vcc, 4, v3
	s_lshl_b64 s[2:3], s[28:29], 3
	v_lshl_or_b32 v6, s42, 5, v8
	v_addc_co_u32_e32 v3, vcc, 0, v4, vcc
	v_mov_b32_e32 v7, s3
	s_branch .LBB134_23
.LBB134_22:                             ;   in Loop: Header=BB134_23 Depth=1
	global_load_dword v4, v[2:3], off offset:-4
	s_add_i32 s18, s18, -1
	v_add_co_u32_e32 v2, vcc, s2, v2
	s_cmp_lg_u32 s18, 0
	v_addc_co_u32_e32 v3, vcc, v3, v7, vcc
	s_waitcnt vmcnt(0)
	ds_write_b64 v6, v[4:5]
	v_add_u32_e32 v6, 32, v6
	s_cbranch_scc0 .LBB134_27
.LBB134_23:                             ; =>This Inner Loop Header: Depth=1
	s_and_b64 vcc, exec, s[0:1]
	s_cbranch_vccnz .LBB134_25
; %bb.24:                               ;   in Loop: Header=BB134_23 Depth=1
	global_load_dword v5, v[2:3], off
	s_cbranch_execnz .LBB134_22
	s_branch .LBB134_26
.LBB134_25:                             ;   in Loop: Header=BB134_23 Depth=1
                                        ; implicit-def: $vgpr5
.LBB134_26:                             ;   in Loop: Header=BB134_23 Depth=1
	global_load_dword v4, v[2:3], off
	s_waitcnt vmcnt(0)
	v_xor_b32_e32 v5, 0x80000000, v4
	s_branch .LBB134_22
.LBB134_27:
	v_mul_u32_u24_e32 v2, 5, v1
	s_cmpk_lg_i32 s17, 0x84
	v_lshlrev_b32_e32 v6, 3, v2
	s_mov_b64 s[0:1], -1
	s_cbranch_scc0 .LBB134_33
; %bb.28:
	ds_read_b64 v[2:3], v6
	s_mov_b32 s0, 0
	s_waitcnt lgkmcnt(0)
	v_cmp_gt_f32_e32 vcc, 0, v3
	v_cndmask_b32_e64 v4, v3, -v3, vcc
	v_cmp_gt_f32_e32 vcc, 0, v2
	v_cndmask_b32_e64 v5, v2, -v2, vcc
	v_cmp_ngt_f32_e32 vcc, v5, v4
                                        ; implicit-def: $vgpr4_vgpr5
	s_and_saveexec_b64 s[2:3], vcc
	s_xor_b64 s[2:3], exec, s[2:3]
	s_cbranch_execz .LBB134_30
; %bb.29:
	v_div_scale_f32 v4, s[12:13], v3, v3, v2
	v_rcp_f32_e32 v5, v4
	v_div_scale_f32 v7, vcc, v2, v3, v2
	s_mov_b32 s1, -1.0
	v_fma_f32 v8, -v4, v5, 1.0
	v_fmac_f32_e32 v5, v8, v5
	v_mul_f32_e32 v8, v7, v5
	v_fma_f32 v9, -v4, v8, v7
	v_fmac_f32_e32 v8, v9, v5
	v_fma_f32 v4, -v4, v8, v7
	v_div_fmas_f32 v4, v4, v5, v8
	v_div_fixup_f32 v4, v4, v3, v2
	v_fmac_f32_e32 v3, v2, v4
	v_div_scale_f32 v2, s[12:13], v3, v3, 1.0
	v_rcp_f32_e32 v5, v2
	v_fma_f32 v7, -v2, v5, 1.0
	v_fmac_f32_e32 v5, v7, v5
	v_div_scale_f32 v7, vcc, 1.0, v3, 1.0
	v_mul_f32_e32 v8, v7, v5
	v_fma_f32 v9, -v2, v8, v7
	v_fmac_f32_e32 v8, v9, v5
	v_fma_f32 v2, -v2, v8, v7
	v_div_fmas_f32 v2, v2, v5, v8
	v_mul_f32_e32 v5, 0, v4
	v_div_fixup_f32 v2, v2, v3, 1.0
	v_pk_add_f32 v[4:5], v[4:5], s[0:1]
	v_pk_mul_f32 v[4:5], v[4:5], v[2:3] op_sel_hi:[1,0]
                                        ; implicit-def: $vgpr2_vgpr3
.LBB134_30:
	s_andn2_saveexec_b64 s[0:1], s[2:3]
	s_cbranch_execz .LBB134_32
; %bb.31:
	v_div_scale_f32 v4, s[2:3], v2, v2, v3
	v_rcp_f32_e32 v5, v4
	v_div_scale_f32 v7, vcc, v3, v2, v3
	v_fma_f32 v8, -v4, v5, 1.0
	v_fmac_f32_e32 v5, v8, v5
	v_mul_f32_e32 v8, v7, v5
	v_fma_f32 v9, -v4, v8, v7
	v_fmac_f32_e32 v8, v9, v5
	v_fma_f32 v4, -v4, v8, v7
	v_div_fmas_f32 v4, v4, v5, v8
	v_div_fixup_f32 v5, v4, v2, v3
	v_fmac_f32_e32 v2, v3, v5
	v_div_scale_f32 v3, s[2:3], v2, v2, 1.0
	v_rcp_f32_e32 v4, v3
	s_mov_b32 s2, 1.0
	s_mov_b32 s3, 0
	v_fma_f32 v7, -v3, v4, 1.0
	v_fmac_f32_e32 v4, v7, v4
	v_div_scale_f32 v7, vcc, 1.0, v2, 1.0
	v_mul_f32_e32 v8, v7, v4
	v_fma_f32 v9, -v3, v8, v7
	v_fmac_f32_e32 v8, v9, v4
	v_fma_f32 v3, -v3, v8, v7
	v_div_fmas_f32 v3, v3, v4, v8
	v_mul_f32_e32 v4, 0, v5
	v_pk_add_f32 v[8:9], v[4:5], s[2:3]
	v_pk_add_f32 v[4:5], v[4:5], s[2:3] neg_lo:[1,0] neg_hi:[1,0]
	v_div_fixup_f32 v2, v3, v2, 1.0
	v_mov_b32_e32 v9, v5
	v_pk_mul_f32 v[4:5], v[8:9], v[2:3] op_sel_hi:[1,0]
.LBB134_32:
	s_or_b64 exec, exec, s[0:1]
	s_mov_b64 s[0:1], 0
	ds_write_b64 v6, v[4:5]
.LBB134_33:
	s_and_b64 vcc, exec, s[0:1]
	s_cbranch_vccz .LBB134_35
; %bb.34:
	v_mov_b32_e32 v2, 1.0
	v_mov_b32_e32 v3, 0
	ds_write_b64 v6, v[2:3]
.LBB134_35:
	s_or_b64 exec, exec, s[26:27]
	s_lshl_b32 s0, s8, 2
	s_add_i32 s41, s41, -1
	s_sub_i32 s1, s19, s0
	s_cmp_ge_u32 s8, s41
	s_cselect_b32 s1, s1, 4
	v_cmp_gt_i32_e32 vcc, s1, v1
	s_waitcnt lgkmcnt(0)
	; wave barrier
	s_waitcnt lgkmcnt(0)
	s_and_saveexec_b64 s[2:3], vcc
	s_cbranch_execz .LBB134_102
; %bb.36:
	s_load_dwordx2 s[2:3], s[4:5], 0x4
	s_load_dword s1, s[6:7], 0x50
	s_load_dwordx2 s[12:13], s[6:7], 0x58
	v_bfe_u32 v2, v0, 10, 10
	v_bfe_u32 v0, v0, 20, 10
	s_waitcnt lgkmcnt(0)
	s_lshr_b32 s2, s2, 16
	s_mul_i32 s2, s2, s3
	v_mul_u32_u24_e32 v2, s3, v2
	v_mul_u32_u24_e32 v3, s2, v1
	s_mul_i32 s2, s9, s13
	s_mul_hi_u32 s3, s9, s12
	s_add_i32 s3, s3, s2
	s_mul_i32 s2, s9, s12
	s_lshl_b64 s[2:3], s[2:3], 3
	s_add_u32 s6, s14, s2
	v_add3_u32 v13, v3, v2, v0
	s_addc_u32 s7, s15, s3
	s_lshl_b64 s[4:5], s[24:25], 3
	v_add_u32_e32 v0, s0, v1
	s_add_u32 s6, s6, s4
	v_mad_i64_i32 v[0:1], s[0:1], s1, v0, 0
	s_addc_u32 s7, s7, s5
	v_lshlrev_b64 v[0:1], 3, v[0:1]
	v_mov_b32_e32 v2, 0x80
	v_mov_b32_e32 v3, s7
	v_add_co_u32_e32 v11, vcc, s6, v0
	v_lshl_add_u32 v10, v13, 5, v2
	v_addc_co_u32_e32 v12, vcc, v3, v1, vcc
	s_cmpk_eq_i32 s16, 0x6f
	s_mov_b64 s[0:1], -1
	s_cbranch_scc1 .LBB134_70
; %bb.37:
	s_add_u32 s0, s14, s4
	s_addc_u32 s1, s15, s5
	s_add_u32 s0, s0, s2
	s_addc_u32 s1, s1, s3
	v_mov_b32_e32 v3, s1
	v_add_co_u32_e32 v4, vcc, s0, v0
	v_addc_co_u32_e32 v3, vcc, v3, v1, vcc
	v_add_co_u32_e32 v14, vcc, 4, v4
	s_mov_b32 s13, 0
	s_mov_b32 s6, s10
	;; [unrolled: 1-line block ×5, first 2 shown]
	v_addc_co_u32_e32 v15, vcc, 0, v3, vcc
	v_lshl_add_u32 v16, v13, 5, v2
	s_mov_b32 s12, s13
	s_mov_b32 s24, s13
	s_branch .LBB134_39
.LBB134_38:                             ;   in Loop: Header=BB134_39 Depth=1
	s_cmp_ge_i32 s24, s40
	s_cselect_b64 s[0:1], -1, 0
	s_add_i32 s12, s12, 1
	s_cmp_eq_u32 s12, 3
	s_cselect_b64 s[16:17], -1, 0
	s_or_b64 s[0:1], s[0:1], s[16:17]
	s_andn2_b64 vcc, exec, s[0:1]
	s_cbranch_vccz .LBB134_69
.LBB134_39:                             ; =>This Loop Header: Depth=1
                                        ;     Child Loop BB134_42 Depth 2
                                        ;       Child Loop BB134_44 Depth 3
                                        ;       Child Loop BB134_48 Depth 3
	;; [unrolled: 1-line block ×3, first 2 shown]
                                        ;         Child Loop BB134_54 Depth 4
                                        ;         Child Loop BB134_60 Depth 4
                                        ;       Child Loop BB134_63 Depth 3
                                        ;         Child Loop BB134_65 Depth 4
	s_lshl_b64 s[0:1], s[12:13], 2
	s_getpc_b64 s[16:17]
	s_add_u32 s16, s16, __const._ZL30rocblas_trsm_small_left_deviceILi4ELi4ELb0E19rocblas_complex_numIfES1_PKS1_PS1_Ev13rocblas_fill_18rocblas_operation_17rocblas_diagonal_iiT3_T4_lilT5_lili.step_sizes@rel32@lo+4
	s_addc_u32 s17, s17, __const._ZL30rocblas_trsm_small_left_deviceILi4ELi4ELb0E19rocblas_complex_numIfES1_PKS1_PS1_Ev13rocblas_fill_18rocblas_operation_17rocblas_diagonal_iiT3_T4_lilT5_lili.step_sizes@rel32@hi+12
	s_add_u32 s0, s0, s16
	s_addc_u32 s1, s1, s17
	s_load_dword s25, s[0:1], 0x0
	s_waitcnt lgkmcnt(0)
	s_add_i32 s26, s25, -1
	s_add_i32 s0, s26, s24
	s_cmp_ge_i32 s0, s40
	s_cbranch_scc1 .LBB134_38
; %bb.40:                               ;   in Loop: Header=BB134_39 Depth=1
	s_max_i32 s27, s25, 1
	s_add_i32 s0, s12, -1
	s_cmp_gt_u32 s0, 1
	s_cselect_b64 s[16:17], -1, 0
	s_and_b32 s28, s27, 0x7ffffffe
	s_cmp_lg_u32 s27, s28
	s_cselect_b64 s[18:19], -1, 0
	s_ashr_i32 s29, s24, 31
	s_ashr_i32 s30, s25, 31
	s_mul_i32 s31, s24, 40
	s_mul_i32 s34, s25, 40
	s_branch .LBB134_42
.LBB134_41:                             ;   in Loop: Header=BB134_42 Depth=2
	s_add_u32 s24, s24, s25
	s_addc_u32 s29, s29, s30
	s_add_i32 s0, s26, s24
	s_add_i32 s31, s31, s34
	s_cmp_ge_i32 s0, s40
	s_cbranch_scc1 .LBB134_38
.LBB134_42:                             ;   Parent Loop BB134_39 Depth=1
                                        ; =>  This Loop Header: Depth=2
                                        ;       Child Loop BB134_44 Depth 3
                                        ;       Child Loop BB134_48 Depth 3
	;; [unrolled: 1-line block ×3, first 2 shown]
                                        ;         Child Loop BB134_54 Depth 4
                                        ;         Child Loop BB134_60 Depth 4
                                        ;       Child Loop BB134_63 Depth 3
                                        ;         Child Loop BB134_65 Depth 4
	s_and_b64 vcc, exec, s[16:17]
	s_cbranch_vccz .LBB134_46
; %bb.43:                               ;   in Loop: Header=BB134_42 Depth=2
	s_mov_b32 s20, s24
	s_mov_b32 s21, s24
	;; [unrolled: 1-line block ×5, first 2 shown]
	v_mov_b32_e32 v2, v10
.LBB134_44:                             ;   Parent Loop BB134_39 Depth=1
                                        ;     Parent Loop BB134_42 Depth=2
                                        ; =>    This Inner Loop Header: Depth=3
	s_add_i32 s0, s23, s20
	s_add_i32 s36, s22, s21
	s_ashr_i32 s1, s0, 31
	s_ashr_i32 s37, s36, 31
	s_lshl_b64 s[0:1], s[0:1], 3
	s_lshl_b64 s[36:37], s[36:37], 3
	v_mov_b32_e32 v3, s1
	v_add_co_u32_e64 v6, s[0:1], s0, v11
	v_mov_b32_e32 v5, s37
	v_add_co_u32_e32 v4, vcc, s36, v11
	v_addc_co_u32_e64 v7, s[0:1], v12, v3, s[0:1]
	v_addc_co_u32_e32 v5, vcc, v12, v5, vcc
	global_load_dwordx2 v[8:9], v[6:7], off
	global_load_dwordx2 v[18:19], v[4:5], off
	s_add_i32 s23, s23, 2
	s_add_i32 s22, s22, 2
	s_add_i32 s35, s35, -2
	s_mov_b32 s36, s28
	s_mov_b64 s[0:1], s[18:19]
	s_cmp_lg_u32 s35, 0
	s_waitcnt vmcnt(1)
	v_mov_b32_e32 v4, v8
	s_waitcnt vmcnt(0)
	v_mov_b32_e32 v5, v18
	v_mov_b32_e32 v18, v9
	v_pk_mul_f32 v[6:7], v[18:19], s[8:9]
	v_pk_mul_f32 v[8:9], v[18:19], s[6:7]
	v_pk_fma_f32 v[18:19], v[4:5], s[6:7], v[6:7] neg_lo:[0,0,1] neg_hi:[0,0,1]
	v_pk_fma_f32 v[6:7], v[4:5], s[8:9], v[8:9]
	v_mov_b32_e32 v4, v18
	v_mov_b32_e32 v5, v6
	;; [unrolled: 1-line block ×3, first 2 shown]
	ds_write_b128 v2, v[4:7]
	v_add_u32_e32 v2, 16, v2
	s_cbranch_scc1 .LBB134_44
; %bb.45:                               ;   in Loop: Header=BB134_42 Depth=2
	s_and_b64 vcc, exec, s[0:1]
	s_cbranch_vccnz .LBB134_47
	s_branch .LBB134_49
.LBB134_46:                             ;   in Loop: Header=BB134_42 Depth=2
	s_mov_b32 s36, 0
	s_cbranch_execz .LBB134_49
.LBB134_47:                             ;   in Loop: Header=BB134_42 Depth=2
	s_sub_i32 s0, s27, s36
	s_add_u32 s20, s24, s36
	s_addc_u32 s21, s29, 0
	s_lshl_b64 s[20:21], s[20:21], 3
	v_mov_b32_e32 v3, s21
	v_add_co_u32_e32 v2, vcc, s20, v14
	v_addc_co_u32_e32 v3, vcc, v15, v3, vcc
	v_lshl_add_u32 v4, s36, 3, v16
.LBB134_48:                             ;   Parent Loop BB134_39 Depth=1
                                        ;     Parent Loop BB134_42 Depth=2
                                        ; =>    This Inner Loop Header: Depth=3
	global_load_dwordx2 v[6:7], v[2:3], off offset:-4
	s_add_i32 s0, s0, -1
	v_add_co_u32_e32 v2, vcc, 8, v2
	v_addc_co_u32_e32 v3, vcc, 0, v3, vcc
	s_cmp_eq_u32 s0, 0
	s_waitcnt vmcnt(0)
	v_mul_f32_e32 v5, s11, v7
	v_mul_f32_e32 v9, s10, v7
	v_fma_f32 v8, v6, s10, -v5
	v_fmac_f32_e32 v9, s11, v6
	ds_write_b64 v4, v[8:9]
	v_add_u32_e32 v4, 8, v4
	s_cbranch_scc0 .LBB134_48
.LBB134_49:                             ;   in Loop: Header=BB134_42 Depth=2
	s_cmp_lt_i32 s24, 1
	s_cbranch_scc1 .LBB134_61
; %bb.50:                               ;   in Loop: Header=BB134_42 Depth=2
	s_mov_b32 s35, s24
	s_mov_b32 s36, s24
	;; [unrolled: 1-line block ×4, first 2 shown]
	s_branch .LBB134_52
.LBB134_51:                             ;   in Loop: Header=BB134_52 Depth=3
	s_add_i32 s0, s0, 1
	s_add_i32 s37, s37, 8
	s_cmp_ge_i32 s0, s24
	s_cbranch_scc1 .LBB134_61
.LBB134_52:                             ;   Parent Loop BB134_39 Depth=1
                                        ;     Parent Loop BB134_42 Depth=2
                                        ; =>    This Loop Header: Depth=3
                                        ;         Child Loop BB134_54 Depth 4
                                        ;         Child Loop BB134_60 Depth 4
	s_mov_b32 s1, s13
	s_lshl_b64 s[20:21], s[0:1], 3
	s_waitcnt vmcnt(0)
	v_mov_b32_e32 v3, s21
	v_add_co_u32_e32 v2, vcc, s20, v11
	v_addc_co_u32_e32 v3, vcc, v12, v3, vcc
	global_load_dwordx2 v[2:3], v[2:3], off
	s_and_b64 vcc, exec, s[16:17]
	s_cbranch_vccz .LBB134_56
; %bb.53:                               ;   in Loop: Header=BB134_52 Depth=3
	s_mov_b32 s1, s0
	s_waitcnt vmcnt(0)
	v_mov_b32_e32 v6, v2
	v_mov_b32_e32 v7, v2
	;; [unrolled: 1-line block ×5, first 2 shown]
	s_mov_b32 s20, 1
	s_mov_b32 s21, 0
	;; [unrolled: 1-line block ×3, first 2 shown]
	v_mov_b32_e32 v5, v10
.LBB134_54:                             ;   Parent Loop BB134_39 Depth=1
                                        ;     Parent Loop BB134_42 Depth=2
                                        ;       Parent Loop BB134_52 Depth=3
                                        ; =>      This Inner Loop Header: Depth=4
	s_add_i32 s23, s20, s36
	s_add_i32 s38, s21, s35
	s_lshl_b32 s38, s38, 2
	s_lshl_b32 s23, s23, 2
	s_add_i32 s23, s23, s1
	s_add_i32 s38, s38, s0
	s_lshl_b32 s38, s38, 3
	s_lshl_b32 s23, s23, 3
	v_mov_b32_e32 v17, s38
	v_mov_b32_e32 v24, s23
	ds_read_b128 v[18:21], v5
	ds_read_b64 v[22:23], v17
	ds_read_b64 v[24:25], v24
	s_add_i32 s21, s21, 2
	s_add_i32 s20, s20, 2
	s_add_i32 s22, s22, -2
	s_waitcnt lgkmcnt(2)
	v_mov_b32_e32 v27, v20
	v_mov_b32_e32 v20, v19
	s_waitcnt lgkmcnt(0)
	v_mov_b32_e32 v19, v24
	v_mov_b32_e32 v24, v23
	v_mov_b32_e32 v26, v18
	v_mov_b32_e32 v18, v22
	v_pk_mul_f32 v[22:23], v[24:25], v[8:9]
	v_pk_mul_f32 v[24:25], v[24:25], v[6:7]
	v_pk_fma_f32 v[22:23], v[18:19], v[6:7], v[22:23] neg_lo:[0,0,1] neg_hi:[0,0,1]
	v_pk_fma_f32 v[18:19], v[18:19], v[8:9], v[24:25]
	v_pk_add_f32 v[22:23], v[26:27], v[22:23] neg_lo:[0,1] neg_hi:[0,1]
	v_pk_add_f32 v[20:21], v[20:21], v[18:19] neg_lo:[0,1] neg_hi:[0,1]
	v_mov_b32_e32 v18, v22
	v_mov_b32_e32 v19, v20
	v_mov_b32_e32 v20, v23
	s_cmp_lg_u32 s22, 0
	ds_write_b128 v5, v[18:21]
	v_add_u32_e32 v5, 16, v5
	s_cbranch_scc1 .LBB134_54
; %bb.55:                               ;   in Loop: Header=BB134_52 Depth=3
	s_mov_b64 s[20:21], s[18:19]
	s_mov_b32 s22, s28
	s_branch .LBB134_58
.LBB134_56:                             ;   in Loop: Header=BB134_52 Depth=3
	s_mov_b64 s[20:21], 0
                                        ; implicit-def: $vgpr4_vgpr5
	s_mov_b32 s22, s28
	s_cbranch_execz .LBB134_58
; %bb.57:                               ;   in Loop: Header=BB134_52 Depth=3
	s_waitcnt vmcnt(0)
	v_mov_b32_e32 v4, v3
	s_mov_b64 s[20:21], -1
	s_mov_b32 s22, 0
.LBB134_58:                             ;   in Loop: Header=BB134_52 Depth=3
	s_andn2_b64 vcc, exec, s[20:21]
	s_cbranch_vccnz .LBB134_51
; %bb.59:                               ;   in Loop: Header=BB134_52 Depth=3
	s_add_i32 s20, s24, s22
	s_lshl_b32 s20, s20, 5
	s_waitcnt vmcnt(0)
	v_mov_b32_e32 v5, v3
	v_mov_b32_e32 v3, v2
	s_sub_i32 s1, s27, s22
	s_add_i32 s20, s37, s20
	v_lshl_add_u32 v6, s22, 3, v16
.LBB134_60:                             ;   Parent Loop BB134_39 Depth=1
                                        ;     Parent Loop BB134_42 Depth=2
                                        ;       Parent Loop BB134_52 Depth=3
                                        ; =>      This Inner Loop Header: Depth=4
	v_mov_b32_e32 v7, s20
	ds_read_b64 v[18:19], v7
	ds_read_b64 v[8:9], v6
	s_add_i32 s1, s1, -1
	s_add_i32 s20, s20, 32
	s_cmp_eq_u32 s1, 0
	s_waitcnt lgkmcnt(1)
	v_pk_mul_f32 v[20:21], v[18:19], v[4:5]
	v_pk_fma_f32 v[22:23], v[18:19], v[2:3], v[20:21] op_sel:[0,0,1] op_sel_hi:[1,1,0] neg_lo:[0,0,1] neg_hi:[0,0,1]
	v_pk_fma_f32 v[18:19], v[18:19], v[2:3], v[20:21] op_sel:[0,0,1] op_sel_hi:[1,1,0]
	v_mov_b32_e32 v23, v19
	s_waitcnt lgkmcnt(0)
	v_pk_add_f32 v[8:9], v[8:9], v[22:23] neg_lo:[0,1] neg_hi:[0,1]
	ds_write_b64 v6, v[8:9]
	v_add_u32_e32 v6, 8, v6
	s_cbranch_scc0 .LBB134_60
	s_branch .LBB134_51
.LBB134_61:                             ;   in Loop: Header=BB134_42 Depth=2
	s_mov_b32 s22, 0
	s_mov_b32 s23, s31
	s_waitcnt vmcnt(0)
	s_branch .LBB134_63
.LBB134_62:                             ;   in Loop: Header=BB134_63 Depth=3
	s_mul_i32 s1, s0, 40
	v_mov_b32_e32 v5, s1
	ds_read_b64 v[6:7], v5
	s_ashr_i32 s1, s0, 31
	s_lshl_b64 s[0:1], s[0:1], 3
	s_add_i32 s22, s22, 1
	s_add_i32 s23, s23, 32
	s_waitcnt lgkmcnt(0)
	v_mul_f32_e32 v5, v7, v3
	v_mul_f32_e32 v9, v6, v3
	v_fma_f32 v8, v6, v2, -v5
	v_fmac_f32_e32 v9, v7, v2
	v_mov_b32_e32 v3, s1
	v_add_co_u32_e32 v2, vcc, s0, v11
	v_addc_co_u32_e32 v3, vcc, v12, v3, vcc
	s_cmp_eq_u32 s22, s27
	ds_write_b64 v4, v[8:9]
	global_store_dwordx2 v[2:3], v[8:9], off
	s_cbranch_scc1 .LBB134_41
.LBB134_63:                             ;   Parent Loop BB134_39 Depth=1
                                        ;     Parent Loop BB134_42 Depth=2
                                        ; =>    This Loop Header: Depth=3
                                        ;         Child Loop BB134_65 Depth 4
	s_cmp_lg_u32 s22, 0
	v_lshl_add_u32 v4, s22, 3, v10
	s_cbranch_scc0 .LBB134_67
; %bb.64:                               ;   in Loop: Header=BB134_63 Depth=3
	ds_read_b64 v[2:3], v4
	s_mov_b32 s0, 0
	s_mov_b32 s1, s23
	v_mov_b32_e32 v5, v10
.LBB134_65:                             ;   Parent Loop BB134_39 Depth=1
                                        ;     Parent Loop BB134_42 Depth=2
                                        ;       Parent Loop BB134_63 Depth=3
                                        ; =>      This Inner Loop Header: Depth=4
	v_mov_b32_e32 v8, s1
	ds_read_b64 v[6:7], v5
	ds_read_b64 v[8:9], v8
	s_add_i32 s0, s0, 1
	s_add_i32 s1, s1, 8
	v_add_u32_e32 v5, 8, v5
	s_cmp_ge_u32 s0, s22
	s_waitcnt lgkmcnt(0)
	v_pk_mul_f32 v[18:19], v[8:9], v[6:7] op_sel:[0,1]
	v_pk_fma_f32 v[20:21], v[8:9], v[6:7], v[18:19] op_sel:[0,0,1] op_sel_hi:[1,1,0] neg_lo:[0,0,1] neg_hi:[0,0,1]
	v_pk_fma_f32 v[6:7], v[8:9], v[6:7], v[18:19] op_sel:[0,0,1] op_sel_hi:[1,0,0]
	v_mov_b32_e32 v21, v7
	v_pk_add_f32 v[2:3], v[2:3], v[20:21] neg_lo:[0,1] neg_hi:[0,1]
	ds_write_b64 v4, v[2:3]
	s_cbranch_scc0 .LBB134_65
; %bb.66:                               ;   in Loop: Header=BB134_63 Depth=3
	s_add_i32 s0, s22, s24
	s_branch .LBB134_62
.LBB134_67:                             ;   in Loop: Header=BB134_63 Depth=3
                                        ; implicit-def: $vgpr2
                                        ; implicit-def: $sgpr0
	s_cbranch_execz .LBB134_62
; %bb.68:                               ;   in Loop: Header=BB134_63 Depth=3
	ds_read_b64 v[2:3], v10
	s_mov_b32 s0, s24
	s_branch .LBB134_62
.LBB134_69:
	s_mov_b64 s[0:1], 0
.LBB134_70:
	s_and_b64 vcc, exec, s[0:1]
	s_cbranch_vccz .LBB134_102
; %bb.71:
	s_add_u32 s0, s14, s4
	s_addc_u32 s1, s15, s5
	s_add_u32 s0, s0, s2
	s_addc_u32 s1, s1, s3
	v_mov_b32_e32 v2, s1
	v_add_co_u32_e32 v0, vcc, s0, v0
	v_addc_co_u32_e32 v1, vcc, v2, v1, vcc
	v_add_co_u32_e32 v8, vcc, 4, v0
	v_mov_b32_e32 v0, 0x80
	s_lshl_b32 s0, s40, 5
	s_mov_b32 s3, 0
	s_mov_b32 s6, s10
	;; [unrolled: 1-line block ×5, first 2 shown]
	v_addc_co_u32_e32 v9, vcc, 0, v1, vcc
	v_lshl_add_u32 v13, v13, 5, v0
	s_sub_i32 s22, s0, 32
	s_mov_b32 s4, s33
	s_mov_b32 s12, s3
	s_branch .LBB134_73
.LBB134_72:                             ;   in Loop: Header=BB134_73 Depth=1
	s_cmp_lt_i32 s4, 0
	s_cselect_b64 s[0:1], -1, 0
	s_add_i32 s12, s12, 1
	s_cmp_eq_u32 s12, 3
	s_cselect_b64 s[14:15], -1, 0
	s_or_b64 s[0:1], s[0:1], s[14:15]
	s_and_b64 vcc, exec, s[0:1]
	s_cbranch_vccnz .LBB134_102
.LBB134_73:                             ; =>This Loop Header: Depth=1
                                        ;     Child Loop BB134_76 Depth 2
                                        ;       Child Loop BB134_78 Depth 3
                                        ;       Child Loop BB134_82 Depth 3
	;; [unrolled: 1-line block ×3, first 2 shown]
                                        ;         Child Loop BB134_95 Depth 4
                                        ;         Child Loop BB134_101 Depth 4
                                        ;       Child Loop BB134_86 Depth 3
                                        ;         Child Loop BB134_88 Depth 4
	s_mov_b32 s13, s3
	s_lshl_b64 s[0:1], s[12:13], 2
	s_getpc_b64 s[14:15]
	s_add_u32 s14, s14, __const._ZL30rocblas_trsm_small_left_deviceILi4ELi4ELb0E19rocblas_complex_numIfES1_PKS1_PS1_Ev13rocblas_fill_18rocblas_operation_17rocblas_diagonal_iiT3_T4_lilT5_lili.step_sizes@rel32@lo+4
	s_addc_u32 s15, s15, __const._ZL30rocblas_trsm_small_left_deviceILi4ELi4ELb0E19rocblas_complex_numIfES1_PKS1_PS1_Ev13rocblas_fill_18rocblas_operation_17rocblas_diagonal_iiT3_T4_lilT5_lili.step_sizes@rel32@hi+12
	s_add_u32 s0, s0, s14
	s_addc_u32 s1, s1, s15
	s_load_dword s13, s[0:1], 0x0
	s_waitcnt lgkmcnt(0)
	s_add_i32 s23, s13, -1
	s_cmp_lt_i32 s4, s23
	s_cbranch_scc1 .LBB134_72
; %bb.74:                               ;   in Loop: Header=BB134_73 Depth=1
	s_max_i32 s24, s13, 1
	s_add_i32 s0, s12, -1
	s_cmp_gt_u32 s0, 1
	s_cselect_b64 s[14:15], -1, 0
	s_and_b32 s25, s24, 0x7ffffffe
	s_cmp_lg_u32 s24, s25
	s_cselect_b64 s[16:17], -1, 0
	s_lshl_b32 s0, s4, 3
	s_add_i32 s26, s22, s0
	s_lshl_b32 s0, s13, 3
	s_sub_i32 s27, 0, s0
	s_mul_i32 s28, s4, 40
	s_mul_i32 s29, s13, 0xffffffd8
	s_branch .LBB134_76
.LBB134_75:                             ;   in Loop: Header=BB134_76 Depth=2
	s_sub_i32 s4, s4, s13
	s_add_i32 s26, s26, s27
	s_add_i32 s28, s28, s29
	s_cmp_lt_i32 s4, s23
	s_cbranch_scc1 .LBB134_72
.LBB134_76:                             ;   Parent Loop BB134_73 Depth=1
                                        ; =>  This Loop Header: Depth=2
                                        ;       Child Loop BB134_78 Depth 3
                                        ;       Child Loop BB134_82 Depth 3
                                        ;       Child Loop BB134_93 Depth 3
                                        ;         Child Loop BB134_95 Depth 4
                                        ;         Child Loop BB134_101 Depth 4
                                        ;       Child Loop BB134_86 Depth 3
                                        ;         Child Loop BB134_88 Depth 4
	s_and_b64 vcc, exec, s[14:15]
	s_cbranch_vccz .LBB134_80
; %bb.77:                               ;   in Loop: Header=BB134_76 Depth=2
	s_mov_b32 s5, s4
	s_mov_b32 s18, 1
	s_mov_b32 s19, 0
	s_mov_b32 s20, s25
	v_mov_b32_e32 v0, v10
.LBB134_78:                             ;   Parent Loop BB134_73 Depth=1
                                        ;     Parent Loop BB134_76 Depth=2
                                        ; =>    This Inner Loop Header: Depth=3
	s_sub_i32 s0, s4, s19
	s_sub_i32 s30, s5, s18
	s_ashr_i32 s1, s0, 31
	s_ashr_i32 s31, s30, 31
	s_lshl_b64 s[0:1], s[0:1], 3
	s_lshl_b64 s[30:31], s[30:31], 3
	v_mov_b32_e32 v1, s1
	v_add_co_u32_e64 v4, s[0:1], s0, v11
	v_mov_b32_e32 v3, s31
	v_add_co_u32_e32 v2, vcc, s30, v11
	v_addc_co_u32_e64 v5, s[0:1], v12, v1, s[0:1]
	v_addc_co_u32_e32 v3, vcc, v12, v3, vcc
	global_load_dwordx2 v[6:7], v[4:5], off
	global_load_dwordx2 v[14:15], v[2:3], off
	s_add_i32 s19, s19, 2
	s_add_i32 s18, s18, 2
	s_add_i32 s20, s20, -2
	s_mov_b32 s2, s25
	s_mov_b64 s[0:1], s[16:17]
	s_cmp_lg_u32 s20, 0
	s_waitcnt vmcnt(1)
	v_mov_b32_e32 v2, v6
	s_waitcnt vmcnt(0)
	v_mov_b32_e32 v3, v14
	v_mov_b32_e32 v14, v7
	v_pk_mul_f32 v[4:5], v[14:15], s[8:9]
	v_pk_mul_f32 v[6:7], v[14:15], s[6:7]
	v_pk_fma_f32 v[14:15], v[2:3], s[6:7], v[4:5] neg_lo:[0,0,1] neg_hi:[0,0,1]
	v_pk_fma_f32 v[4:5], v[2:3], s[8:9], v[6:7]
	v_mov_b32_e32 v2, v14
	v_mov_b32_e32 v3, v4
	;; [unrolled: 1-line block ×3, first 2 shown]
	ds_write_b128 v0, v[2:5]
	v_add_u32_e32 v0, 16, v0
	s_cbranch_scc1 .LBB134_78
; %bb.79:                               ;   in Loop: Header=BB134_76 Depth=2
	s_ashr_i32 s5, s4, 31
	s_and_b64 vcc, exec, s[0:1]
	s_cbranch_vccnz .LBB134_81
	s_branch .LBB134_83
.LBB134_80:                             ;   in Loop: Header=BB134_76 Depth=2
	s_mov_b32 s2, 0
	s_ashr_i32 s5, s4, 31
	s_cbranch_execz .LBB134_83
.LBB134_81:                             ;   in Loop: Header=BB134_76 Depth=2
	s_lshl_b64 s[18:19], s[4:5], 3
	s_sub_i32 s0, s24, s2
	s_lshl_b64 s[20:21], s[2:3], 3
	s_sub_u32 s1, s18, s20
	s_subb_u32 s18, s19, s21
	v_mov_b32_e32 v1, s18
	v_add_co_u32_e32 v0, vcc, s1, v8
	v_addc_co_u32_e32 v1, vcc, v9, v1, vcc
	v_lshl_add_u32 v2, s2, 3, v13
.LBB134_82:                             ;   Parent Loop BB134_73 Depth=1
                                        ;     Parent Loop BB134_76 Depth=2
                                        ; =>    This Inner Loop Header: Depth=3
	global_load_dwordx2 v[4:5], v[0:1], off offset:-4
	s_add_i32 s0, s0, -1
	v_add_co_u32_e32 v0, vcc, -8, v0
	v_addc_co_u32_e32 v1, vcc, -1, v1, vcc
	s_cmp_eq_u32 s0, 0
	s_waitcnt vmcnt(0)
	v_mul_f32_e32 v3, s11, v5
	v_mul_f32_e32 v7, s10, v5
	v_fma_f32 v6, v4, s10, -v3
	v_fmac_f32_e32 v7, s11, v4
	ds_write_b64 v2, v[6:7]
	v_add_u32_e32 v2, 8, v2
	s_cbranch_scc0 .LBB134_82
.LBB134_83:                             ;   in Loop: Header=BB134_76 Depth=2
	s_cmp_le_i32 s33, s4
	s_mov_b32 s2, s26
	s_mov_b32 s0, s33
	s_cbranch_scc0 .LBB134_93
.LBB134_84:                             ;   in Loop: Header=BB134_76 Depth=2
	s_mov_b32 s2, 0
	s_mov_b32 s30, s28
	s_waitcnt vmcnt(0)
	s_branch .LBB134_86
.LBB134_85:                             ;   in Loop: Header=BB134_86 Depth=3
	s_mul_i32 s18, s18, 40
	v_mov_b32_e32 v3, s18
	ds_read_b64 v[4:5], v3
	s_lshl_b64 s[0:1], s[0:1], 3
	v_mov_b32_e32 v3, s1
	s_add_i32 s2, s2, 1
	s_add_i32 s30, s30, -8
	s_waitcnt lgkmcnt(0)
	v_mul_f32_e32 v6, v5, v1
	v_mul_f32_e32 v7, v4, v1
	v_fma_f32 v6, v4, v0, -v6
	v_fmac_f32_e32 v7, v5, v0
	v_add_co_u32_e32 v0, vcc, s0, v11
	v_addc_co_u32_e32 v1, vcc, v12, v3, vcc
	s_cmp_eq_u32 s2, s24
	ds_write_b64 v2, v[6:7]
	global_store_dwordx2 v[0:1], v[6:7], off
	s_cbranch_scc1 .LBB134_75
.LBB134_86:                             ;   Parent Loop BB134_73 Depth=1
                                        ;     Parent Loop BB134_76 Depth=2
                                        ; =>    This Loop Header: Depth=3
                                        ;         Child Loop BB134_88 Depth 4
	s_cmp_lg_u32 s2, 0
	v_lshl_add_u32 v2, s2, 3, v10
	s_cbranch_scc0 .LBB134_90
; %bb.87:                               ;   in Loop: Header=BB134_86 Depth=3
	ds_read_b64 v[0:1], v2
	s_mov_b32 s0, 0
	v_mov_b32_e32 v3, v10
	s_mov_b32 s1, s30
.LBB134_88:                             ;   Parent Loop BB134_73 Depth=1
                                        ;     Parent Loop BB134_76 Depth=2
                                        ;       Parent Loop BB134_86 Depth=3
                                        ; =>      This Inner Loop Header: Depth=4
	v_mov_b32_e32 v6, s1
	ds_read_b64 v[4:5], v3
	ds_read_b64 v[6:7], v6
	s_add_i32 s0, s0, 1
	s_sub_i32 s1, s1, 32
	v_add_u32_e32 v3, 8, v3
	s_cmp_ge_u32 s0, s2
	s_waitcnt lgkmcnt(0)
	v_pk_mul_f32 v[14:15], v[6:7], v[4:5] op_sel:[0,1]
	v_pk_fma_f32 v[16:17], v[6:7], v[4:5], v[14:15] op_sel:[0,0,1] op_sel_hi:[1,1,0] neg_lo:[0,0,1] neg_hi:[0,0,1]
	v_pk_fma_f32 v[4:5], v[6:7], v[4:5], v[14:15] op_sel:[0,0,1] op_sel_hi:[1,0,0]
	v_mov_b32_e32 v17, v5
	v_pk_add_f32 v[0:1], v[0:1], v[16:17] neg_lo:[0,1] neg_hi:[0,1]
	ds_write_b64 v2, v[0:1]
	s_cbranch_scc0 .LBB134_88
; %bb.89:                               ;   in Loop: Header=BB134_86 Depth=3
	s_sub_i32 s18, s4, s2
	s_ashr_i32 s19, s18, 31
	s_mov_b64 s[0:1], s[18:19]
	s_branch .LBB134_85
.LBB134_90:                             ;   in Loop: Header=BB134_86 Depth=3
                                        ; implicit-def: $vgpr0
                                        ; implicit-def: $sgpr18
                                        ; implicit-def: $sgpr0_sgpr1
	s_cbranch_execz .LBB134_85
; %bb.91:                               ;   in Loop: Header=BB134_86 Depth=3
	ds_read_b64 v[0:1], v10
	s_mov_b64 s[0:1], s[4:5]
	s_mov_b32 s18, s4
	s_branch .LBB134_85
.LBB134_92:                             ;   in Loop: Header=BB134_93 Depth=3
	s_add_i32 s0, s0, -1
	s_sub_i32 s2, s2, 32
	s_cmp_le_i32 s0, s4
	s_cbranch_scc1 .LBB134_84
.LBB134_93:                             ;   Parent Loop BB134_73 Depth=1
                                        ;     Parent Loop BB134_76 Depth=2
                                        ; =>    This Loop Header: Depth=3
                                        ;         Child Loop BB134_95 Depth 4
                                        ;         Child Loop BB134_101 Depth 4
	s_ashr_i32 s1, s0, 31
	s_lshl_b64 s[18:19], s[0:1], 3
	s_waitcnt vmcnt(0)
	v_mov_b32_e32 v1, s19
	v_add_co_u32_e32 v0, vcc, s18, v11
	v_addc_co_u32_e32 v1, vcc, v12, v1, vcc
	global_load_dwordx2 v[0:1], v[0:1], off
	s_and_b64 vcc, exec, s[14:15]
	s_cbranch_vccz .LBB134_97
; %bb.94:                               ;   in Loop: Header=BB134_93 Depth=3
	s_lshl_b32 s1, s0, 2
	s_add_i32 s1, s1, s4
	s_mov_b32 s18, s1
	s_waitcnt vmcnt(0)
	v_mov_b32_e32 v4, v0
	v_mov_b32_e32 v5, v0
	;; [unrolled: 1-line block ×5, first 2 shown]
	s_mov_b32 s19, 1
	s_mov_b32 s20, 0
	;; [unrolled: 1-line block ×3, first 2 shown]
	v_mov_b32_e32 v3, v10
.LBB134_95:                             ;   Parent Loop BB134_73 Depth=1
                                        ;     Parent Loop BB134_76 Depth=2
                                        ;       Parent Loop BB134_93 Depth=3
                                        ; =>      This Inner Loop Header: Depth=4
	s_sub_i32 s30, s18, s19
	s_sub_i32 s31, s1, s20
	s_lshl_b32 s31, s31, 3
	s_lshl_b32 s30, s30, 3
	v_mov_b32_e32 v18, s31
	v_mov_b32_e32 v20, s30
	ds_read_b128 v[14:17], v3
	ds_read_b64 v[18:19], v18
	ds_read_b64 v[20:21], v20
	s_add_i32 s20, s20, 2
	s_add_i32 s19, s19, 2
	s_add_i32 s21, s21, -2
	s_waitcnt lgkmcnt(2)
	v_mov_b32_e32 v23, v16
	v_mov_b32_e32 v16, v15
	s_waitcnt lgkmcnt(0)
	v_mov_b32_e32 v15, v20
	v_mov_b32_e32 v20, v19
	;; [unrolled: 1-line block ×4, first 2 shown]
	v_pk_mul_f32 v[18:19], v[20:21], v[6:7]
	v_pk_mul_f32 v[20:21], v[20:21], v[4:5]
	v_pk_fma_f32 v[18:19], v[14:15], v[4:5], v[18:19] neg_lo:[0,0,1] neg_hi:[0,0,1]
	v_pk_fma_f32 v[14:15], v[14:15], v[6:7], v[20:21]
	v_pk_add_f32 v[18:19], v[22:23], v[18:19] neg_lo:[0,1] neg_hi:[0,1]
	v_pk_add_f32 v[16:17], v[16:17], v[14:15] neg_lo:[0,1] neg_hi:[0,1]
	v_mov_b32_e32 v14, v18
	v_mov_b32_e32 v15, v16
	v_mov_b32_e32 v16, v19
	s_cmp_lg_u32 s21, 0
	ds_write_b128 v3, v[14:17]
	v_add_u32_e32 v3, 16, v3
	s_cbranch_scc1 .LBB134_95
; %bb.96:                               ;   in Loop: Header=BB134_93 Depth=3
	s_mov_b64 s[18:19], s[16:17]
	s_mov_b32 s20, s25
	s_branch .LBB134_99
.LBB134_97:                             ;   in Loop: Header=BB134_93 Depth=3
	s_mov_b64 s[18:19], 0
                                        ; implicit-def: $vgpr2_vgpr3
	s_mov_b32 s20, s25
	s_cbranch_execz .LBB134_99
; %bb.98:                               ;   in Loop: Header=BB134_93 Depth=3
	s_waitcnt vmcnt(0)
	v_mov_b32_e32 v2, v1
	s_mov_b64 s[18:19], -1
	s_mov_b32 s20, 0
.LBB134_99:                             ;   in Loop: Header=BB134_93 Depth=3
	s_andn2_b64 vcc, exec, s[18:19]
	s_cbranch_vccnz .LBB134_92
; %bb.100:                              ;   in Loop: Header=BB134_93 Depth=3
	s_lshl_b32 s19, s20, 3
	s_waitcnt vmcnt(0)
	v_mov_b32_e32 v3, v1
	v_mov_b32_e32 v1, v0
	s_sub_i32 s1, s2, s19
	s_sub_i32 s18, s24, s20
	v_add_u32_e32 v4, s19, v13
.LBB134_101:                            ;   Parent Loop BB134_73 Depth=1
                                        ;     Parent Loop BB134_76 Depth=2
                                        ;       Parent Loop BB134_93 Depth=3
                                        ; =>      This Inner Loop Header: Depth=4
	v_mov_b32_e32 v5, s1
	ds_read_b64 v[14:15], v5
	ds_read_b64 v[6:7], v4
	s_add_i32 s1, s1, -8
	s_add_i32 s18, s18, -1
	s_cmp_eq_u32 s18, 0
	s_waitcnt lgkmcnt(1)
	v_pk_mul_f32 v[16:17], v[14:15], v[2:3]
	v_pk_fma_f32 v[18:19], v[14:15], v[0:1], v[16:17] op_sel:[0,0,1] op_sel_hi:[1,1,0] neg_lo:[0,0,1] neg_hi:[0,0,1]
	v_pk_fma_f32 v[14:15], v[14:15], v[0:1], v[16:17] op_sel:[0,0,1] op_sel_hi:[1,1,0]
	v_mov_b32_e32 v19, v15
	s_waitcnt lgkmcnt(0)
	v_pk_add_f32 v[6:7], v[6:7], v[18:19] neg_lo:[0,1] neg_hi:[0,1]
	ds_write_b64 v4, v[6:7]
	v_add_u32_e32 v4, 8, v4
	s_cbranch_scc0 .LBB134_101
	s_branch .LBB134_92
.LBB134_102:
	s_endpgm
	.section	.rodata,"a",@progbits
	.p2align	6, 0x0
	.amdhsa_kernel _ZL30rocblas_trsm_small_left_deviceILi4ELi4ELb0E19rocblas_complex_numIfES1_PKS1_PS1_Ev13rocblas_fill_18rocblas_operation_17rocblas_diagonal_iiT3_T4_lilT5_lili
		.amdhsa_group_segment_fixed_size 256
		.amdhsa_private_segment_fixed_size 0
		.amdhsa_kernarg_size 360
		.amdhsa_user_sgpr_count 8
		.amdhsa_user_sgpr_private_segment_buffer 1
		.amdhsa_user_sgpr_dispatch_ptr 1
		.amdhsa_user_sgpr_queue_ptr 0
		.amdhsa_user_sgpr_kernarg_segment_ptr 1
		.amdhsa_user_sgpr_dispatch_id 0
		.amdhsa_user_sgpr_flat_scratch_init 0
		.amdhsa_user_sgpr_kernarg_preload_length 0
		.amdhsa_user_sgpr_kernarg_preload_offset 0
		.amdhsa_user_sgpr_private_segment_size 0
		.amdhsa_uses_dynamic_stack 0
		.amdhsa_system_sgpr_private_segment_wavefront_offset 0
		.amdhsa_system_sgpr_workgroup_id_x 1
		.amdhsa_system_sgpr_workgroup_id_y 0
		.amdhsa_system_sgpr_workgroup_id_z 1
		.amdhsa_system_sgpr_workgroup_info 0
		.amdhsa_system_vgpr_workitem_id 2
		.amdhsa_next_free_vgpr 28
		.amdhsa_next_free_sgpr 44
		.amdhsa_accum_offset 28
		.amdhsa_reserve_vcc 1
		.amdhsa_reserve_flat_scratch 0
		.amdhsa_float_round_mode_32 0
		.amdhsa_float_round_mode_16_64 0
		.amdhsa_float_denorm_mode_32 3
		.amdhsa_float_denorm_mode_16_64 3
		.amdhsa_dx10_clamp 1
		.amdhsa_ieee_mode 1
		.amdhsa_fp16_overflow 0
		.amdhsa_tg_split 0
		.amdhsa_exception_fp_ieee_invalid_op 0
		.amdhsa_exception_fp_denorm_src 0
		.amdhsa_exception_fp_ieee_div_zero 0
		.amdhsa_exception_fp_ieee_overflow 0
		.amdhsa_exception_fp_ieee_underflow 0
		.amdhsa_exception_fp_ieee_inexact 0
		.amdhsa_exception_int_div_zero 0
	.end_amdhsa_kernel
	.section	.text._ZL30rocblas_trsm_small_left_deviceILi4ELi4ELb0E19rocblas_complex_numIfES1_PKS1_PS1_Ev13rocblas_fill_18rocblas_operation_17rocblas_diagonal_iiT3_T4_lilT5_lili,"axG",@progbits,_ZL30rocblas_trsm_small_left_deviceILi4ELi4ELb0E19rocblas_complex_numIfES1_PKS1_PS1_Ev13rocblas_fill_18rocblas_operation_17rocblas_diagonal_iiT3_T4_lilT5_lili,comdat
.Lfunc_end134:
	.size	_ZL30rocblas_trsm_small_left_deviceILi4ELi4ELb0E19rocblas_complex_numIfES1_PKS1_PS1_Ev13rocblas_fill_18rocblas_operation_17rocblas_diagonal_iiT3_T4_lilT5_lili, .Lfunc_end134-_ZL30rocblas_trsm_small_left_deviceILi4ELi4ELb0E19rocblas_complex_numIfES1_PKS1_PS1_Ev13rocblas_fill_18rocblas_operation_17rocblas_diagonal_iiT3_T4_lilT5_lili
                                        ; -- End function
	.section	.AMDGPU.csdata,"",@progbits
; Kernel info:
; codeLenInByte = 4152
; NumSgprs: 48
; NumVgprs: 28
; NumAgprs: 0
; TotalNumVgprs: 28
; ScratchSize: 0
; MemoryBound: 0
; FloatMode: 240
; IeeeMode: 1
; LDSByteSize: 256 bytes/workgroup (compile time only)
; SGPRBlocks: 5
; VGPRBlocks: 3
; NumSGPRsForWavesPerEU: 48
; NumVGPRsForWavesPerEU: 28
; AccumOffset: 28
; Occupancy: 8
; WaveLimiterHint : 0
; COMPUTE_PGM_RSRC2:SCRATCH_EN: 0
; COMPUTE_PGM_RSRC2:USER_SGPR: 8
; COMPUTE_PGM_RSRC2:TRAP_HANDLER: 0
; COMPUTE_PGM_RSRC2:TGID_X_EN: 1
; COMPUTE_PGM_RSRC2:TGID_Y_EN: 0
; COMPUTE_PGM_RSRC2:TGID_Z_EN: 1
; COMPUTE_PGM_RSRC2:TIDIG_COMP_CNT: 2
; COMPUTE_PGM_RSRC3_GFX90A:ACCUM_OFFSET: 6
; COMPUTE_PGM_RSRC3_GFX90A:TG_SPLIT: 0
	.section	.text._ZL38rocblas_trsm_small_left_device_sharedBILi4ELi4ELb1E19rocblas_complex_numIfES1_PKS1_PS1_Ev13rocblas_fill_18rocblas_operation_17rocblas_diagonal_iiT3_T4_lilT5_lili,"axG",@progbits,_ZL38rocblas_trsm_small_left_device_sharedBILi4ELi4ELb1E19rocblas_complex_numIfES1_PKS1_PS1_Ev13rocblas_fill_18rocblas_operation_17rocblas_diagonal_iiT3_T4_lilT5_lili,comdat
	.globl	_ZL38rocblas_trsm_small_left_device_sharedBILi4ELi4ELb1E19rocblas_complex_numIfES1_PKS1_PS1_Ev13rocblas_fill_18rocblas_operation_17rocblas_diagonal_iiT3_T4_lilT5_lili ; -- Begin function _ZL38rocblas_trsm_small_left_device_sharedBILi4ELi4ELb1E19rocblas_complex_numIfES1_PKS1_PS1_Ev13rocblas_fill_18rocblas_operation_17rocblas_diagonal_iiT3_T4_lilT5_lili
	.p2align	8
	.type	_ZL38rocblas_trsm_small_left_device_sharedBILi4ELi4ELb1E19rocblas_complex_numIfES1_PKS1_PS1_Ev13rocblas_fill_18rocblas_operation_17rocblas_diagonal_iiT3_T4_lilT5_lili,@function
_ZL38rocblas_trsm_small_left_device_sharedBILi4ELi4ELb1E19rocblas_complex_numIfES1_PKS1_PS1_Ev13rocblas_fill_18rocblas_operation_17rocblas_diagonal_iiT3_T4_lilT5_lili: ; @_ZL38rocblas_trsm_small_left_device_sharedBILi4ELi4ELb1E19rocblas_complex_numIfES1_PKS1_PS1_Ev13rocblas_fill_18rocblas_operation_17rocblas_diagonal_iiT3_T4_lilT5_lili
; %bb.0:
	s_load_dwordx4 s[16:19], s[6:7], 0x4
	s_load_dwordx2 s[24:25], s[6:7], 0x14
	s_load_dwordx4 s[12:15], s[6:7], 0x38
	s_load_dwordx2 s[10:11], s[6:7], 0x48
	s_load_dword s41, s[6:7], 0x68
	v_and_b32_e32 v8, 0x3ff, v0
	s_waitcnt lgkmcnt(0)
	s_min_i32 s33, s18, 4
	s_mov_b32 s42, 0
	s_add_i32 s40, s33, -1
	v_cmp_gt_i32_e32 vcc, s33, v8
	s_and_saveexec_b64 s[26:27], vcc
	s_cbranch_execz .LBB135_35
; %bb.1:
	s_load_dword s28, s[6:7], 0x30
	s_load_dwordx4 s[20:23], s[6:7], 0x20
	s_mul_i32 s0, s9, s13
	s_mul_hi_u32 s1, s9, s12
	s_mul_i32 s12, s9, s12
	s_waitcnt lgkmcnt(0)
	s_ashr_i32 s29, s28, 31
	s_cmpk_lg_i32 s16, 0x71
	s_cselect_b64 s[30:31], -1, 0
	s_add_i32 s13, s1, s0
	v_cndmask_b32_e64 v1, 0, 1, s[30:31]
	s_cmp_lt_u32 s40, 3
	v_cmp_ne_u32_e64 s[0:1], 1, v1
	s_cbranch_scc1 .LBB135_20
; %bb.2:
	s_lshl_b64 s[2:3], s[12:13], 3
	s_add_u32 s34, s20, s2
	s_addc_u32 s35, s21, s3
	s_lshl_b64 s[2:3], s[22:23], 3
	s_add_u32 s2, s34, s2
	s_addc_u32 s3, s35, s3
	v_lshlrev_b32_e32 v1, 3, v8
	v_mov_b32_e32 v3, s3
	v_add_co_u32_e32 v2, vcc, s2, v1
	s_mul_hi_i32 s2, s28, 24
	s_lshl_b64 s[34:35], s[28:29], 5
	s_lshl_b64 s[36:37], s[28:29], 4
	;; [unrolled: 1-line block ×3, first 2 shown]
	v_addc_co_u32_e32 v3, vcc, 0, v3, vcc
	s_and_b32 s42, s33, -4
	s_mul_i32 s43, s28, 24
	s_mov_b32 s44, 0
	v_mov_b32_e32 v9, s39
	v_mov_b32_e32 v10, s37
	;; [unrolled: 1-line block ×4, first 2 shown]
	s_branch .LBB135_4
.LBB135_3:                              ;   in Loop: Header=BB135_4 Depth=1
	global_load_dword v4, v[6:7], off
	s_add_i32 s44, s44, 4
	v_add_co_u32_e32 v2, vcc, s34, v2
	v_addc_co_u32_e32 v3, vcc, v3, v12, vcc
	s_cmp_eq_u32 s42, s44
	s_waitcnt vmcnt(0)
	ds_write_b64 v1, v[4:5] offset:96
	v_add_u32_e32 v1, 0x80, v1
	s_cbranch_scc1 .LBB135_20
.LBB135_4:                              ; =>This Inner Loop Header: Depth=1
	s_and_b64 vcc, exec, s[30:31]
	s_cbranch_vccz .LBB135_6
; %bb.5:                                ;   in Loop: Header=BB135_4 Depth=1
	global_load_dword v5, v[2:3], off offset:4
	s_cbranch_execz .LBB135_7
	s_branch .LBB135_8
.LBB135_6:                              ;   in Loop: Header=BB135_4 Depth=1
                                        ; implicit-def: $vgpr5
.LBB135_7:                              ;   in Loop: Header=BB135_4 Depth=1
	global_load_dword v4, v[2:3], off offset:4
	s_waitcnt vmcnt(0)
	v_xor_b32_e32 v5, 0x80000000, v4
.LBB135_8:                              ;   in Loop: Header=BB135_4 Depth=1
	global_load_dword v4, v[2:3], off
	v_add_co_u32_e64 v6, s[2:3], s38, v2
	s_and_b64 vcc, exec, s[0:1]
	v_addc_co_u32_e64 v7, s[2:3], v3, v9, s[2:3]
	s_waitcnt vmcnt(0)
	ds_write_b64 v1, v[4:5]
	s_cbranch_vccnz .LBB135_10
; %bb.9:                                ;   in Loop: Header=BB135_4 Depth=1
	global_load_dword v5, v[6:7], off offset:4
	s_cbranch_execz .LBB135_11
	s_branch .LBB135_12
.LBB135_10:                             ;   in Loop: Header=BB135_4 Depth=1
                                        ; implicit-def: $vgpr5
.LBB135_11:                             ;   in Loop: Header=BB135_4 Depth=1
	global_load_dword v4, v[6:7], off offset:4
	s_waitcnt vmcnt(0)
	v_xor_b32_e32 v5, 0x80000000, v4
.LBB135_12:                             ;   in Loop: Header=BB135_4 Depth=1
	global_load_dword v4, v[6:7], off
	v_add_co_u32_e64 v6, s[2:3], s36, v2
	s_and_b64 vcc, exec, s[0:1]
	v_addc_co_u32_e64 v7, s[2:3], v3, v10, s[2:3]
	s_waitcnt vmcnt(0)
	ds_write_b64 v1, v[4:5] offset:32
	s_cbranch_vccnz .LBB135_14
; %bb.13:                               ;   in Loop: Header=BB135_4 Depth=1
	global_load_dword v5, v[6:7], off offset:4
	s_cbranch_execz .LBB135_15
	s_branch .LBB135_16
.LBB135_14:                             ;   in Loop: Header=BB135_4 Depth=1
                                        ; implicit-def: $vgpr5
.LBB135_15:                             ;   in Loop: Header=BB135_4 Depth=1
	global_load_dword v4, v[6:7], off offset:4
	s_waitcnt vmcnt(0)
	v_xor_b32_e32 v5, 0x80000000, v4
.LBB135_16:                             ;   in Loop: Header=BB135_4 Depth=1
	global_load_dword v4, v[6:7], off
	v_add_co_u32_e64 v6, s[2:3], s43, v2
	s_and_b64 vcc, exec, s[0:1]
	v_addc_co_u32_e64 v7, s[2:3], v3, v11, s[2:3]
	s_waitcnt vmcnt(0)
	ds_write_b64 v1, v[4:5] offset:64
	s_cbranch_vccnz .LBB135_18
; %bb.17:                               ;   in Loop: Header=BB135_4 Depth=1
	global_load_dword v5, v[6:7], off offset:4
	s_cbranch_execnz .LBB135_3
	s_branch .LBB135_19
.LBB135_18:                             ;   in Loop: Header=BB135_4 Depth=1
                                        ; implicit-def: $vgpr5
.LBB135_19:                             ;   in Loop: Header=BB135_4 Depth=1
	global_load_dword v4, v[6:7], off offset:4
	s_waitcnt vmcnt(0)
	v_xor_b32_e32 v5, 0x80000000, v4
	s_branch .LBB135_3
.LBB135_20:
	s_and_b32 s30, s33, 3
	s_cmp_eq_u32 s30, 0
	s_cbranch_scc1 .LBB135_27
; %bb.21:
	s_lshl_b64 s[2:3], s[12:13], 3
	s_mul_i32 s12, s29, s42
	s_mul_hi_u32 s13, s28, s42
	s_add_i32 s13, s13, s12
	s_mul_i32 s12, s28, s42
	s_lshl_b64 s[12:13], s[12:13], 3
	s_add_u32 s12, s2, s12
	s_addc_u32 s13, s3, s13
	s_lshl_b64 s[2:3], s[22:23], 3
	s_add_u32 s2, s12, s2
	s_addc_u32 s3, s13, s3
	s_add_u32 s2, s20, s2
	v_lshlrev_b32_e32 v2, 3, v8
	s_addc_u32 s3, s21, s3
	v_lshl_or_b32 v1, s42, 5, v2
	v_mov_b32_e32 v3, s3
	v_add_co_u32_e32 v2, vcc, s2, v2
	v_addc_co_u32_e32 v3, vcc, 0, v3, vcc
	v_add_co_u32_e32 v2, vcc, 4, v2
	s_lshl_b64 s[2:3], s[28:29], 3
	v_addc_co_u32_e32 v3, vcc, 0, v3, vcc
	v_mov_b32_e32 v6, s3
	s_branch .LBB135_23
.LBB135_22:                             ;   in Loop: Header=BB135_23 Depth=1
	global_load_dword v4, v[2:3], off offset:-4
	s_add_i32 s30, s30, -1
	v_add_co_u32_e32 v2, vcc, s2, v2
	s_cmp_lg_u32 s30, 0
	v_addc_co_u32_e32 v3, vcc, v3, v6, vcc
	s_waitcnt vmcnt(0)
	ds_write_b64 v1, v[4:5]
	v_add_u32_e32 v1, 32, v1
	s_cbranch_scc0 .LBB135_27
.LBB135_23:                             ; =>This Inner Loop Header: Depth=1
	s_and_b64 vcc, exec, s[0:1]
	s_cbranch_vccnz .LBB135_25
; %bb.24:                               ;   in Loop: Header=BB135_23 Depth=1
	global_load_dword v5, v[2:3], off
	s_cbranch_execnz .LBB135_22
	s_branch .LBB135_26
.LBB135_25:                             ;   in Loop: Header=BB135_23 Depth=1
                                        ; implicit-def: $vgpr5
.LBB135_26:                             ;   in Loop: Header=BB135_23 Depth=1
	global_load_dword v4, v[2:3], off
	s_waitcnt vmcnt(0)
	v_xor_b32_e32 v5, 0x80000000, v4
	s_branch .LBB135_22
.LBB135_27:
	v_mul_u32_u24_e32 v1, 5, v8
	s_cmpk_lg_i32 s17, 0x84
	v_lshlrev_b32_e32 v1, 3, v1
	s_mov_b64 s[0:1], -1
	s_cbranch_scc0 .LBB135_33
; %bb.28:
	ds_read_b64 v[2:3], v1
	s_mov_b32 s0, 0
	s_waitcnt lgkmcnt(0)
	v_cmp_gt_f32_e32 vcc, 0, v3
	v_cndmask_b32_e64 v4, v3, -v3, vcc
	v_cmp_gt_f32_e32 vcc, 0, v2
	v_cndmask_b32_e64 v5, v2, -v2, vcc
	v_cmp_ngt_f32_e32 vcc, v5, v4
                                        ; implicit-def: $vgpr4_vgpr5
	s_and_saveexec_b64 s[2:3], vcc
	s_xor_b64 s[2:3], exec, s[2:3]
	s_cbranch_execz .LBB135_30
; %bb.29:
	v_div_scale_f32 v4, s[12:13], v3, v3, v2
	v_rcp_f32_e32 v5, v4
	v_div_scale_f32 v6, vcc, v2, v3, v2
	s_mov_b32 s1, -1.0
	v_fma_f32 v7, -v4, v5, 1.0
	v_fmac_f32_e32 v5, v7, v5
	v_mul_f32_e32 v7, v6, v5
	v_fma_f32 v9, -v4, v7, v6
	v_fmac_f32_e32 v7, v9, v5
	v_fma_f32 v4, -v4, v7, v6
	v_div_fmas_f32 v4, v4, v5, v7
	v_div_fixup_f32 v4, v4, v3, v2
	v_fmac_f32_e32 v3, v2, v4
	v_div_scale_f32 v2, s[12:13], v3, v3, 1.0
	v_rcp_f32_e32 v5, v2
	v_fma_f32 v6, -v2, v5, 1.0
	v_fmac_f32_e32 v5, v6, v5
	v_div_scale_f32 v6, vcc, 1.0, v3, 1.0
	v_mul_f32_e32 v7, v6, v5
	v_fma_f32 v9, -v2, v7, v6
	v_fmac_f32_e32 v7, v9, v5
	v_fma_f32 v2, -v2, v7, v6
	v_div_fmas_f32 v2, v2, v5, v7
	v_mul_f32_e32 v5, 0, v4
	v_div_fixup_f32 v2, v2, v3, 1.0
	v_pk_add_f32 v[4:5], v[4:5], s[0:1]
	v_pk_mul_f32 v[4:5], v[4:5], v[2:3] op_sel_hi:[1,0]
                                        ; implicit-def: $vgpr2_vgpr3
.LBB135_30:
	s_andn2_saveexec_b64 s[0:1], s[2:3]
	s_cbranch_execz .LBB135_32
; %bb.31:
	v_div_scale_f32 v4, s[2:3], v2, v2, v3
	v_rcp_f32_e32 v5, v4
	v_div_scale_f32 v6, vcc, v3, v2, v3
	v_fma_f32 v7, -v4, v5, 1.0
	v_fmac_f32_e32 v5, v7, v5
	v_mul_f32_e32 v7, v6, v5
	v_fma_f32 v9, -v4, v7, v6
	v_fmac_f32_e32 v7, v9, v5
	v_fma_f32 v4, -v4, v7, v6
	v_div_fmas_f32 v4, v4, v5, v7
	v_div_fixup_f32 v5, v4, v2, v3
	v_fmac_f32_e32 v2, v3, v5
	v_div_scale_f32 v3, s[2:3], v2, v2, 1.0
	v_rcp_f32_e32 v4, v3
	s_mov_b32 s2, 1.0
	s_mov_b32 s3, 0
	v_fma_f32 v6, -v3, v4, 1.0
	v_fmac_f32_e32 v4, v6, v4
	v_div_scale_f32 v6, vcc, 1.0, v2, 1.0
	v_mul_f32_e32 v7, v6, v4
	v_fma_f32 v9, -v3, v7, v6
	v_fmac_f32_e32 v7, v9, v4
	v_fma_f32 v3, -v3, v7, v6
	v_div_fmas_f32 v3, v3, v4, v7
	v_mul_f32_e32 v4, 0, v5
	v_pk_add_f32 v[6:7], v[4:5], s[2:3]
	v_pk_add_f32 v[4:5], v[4:5], s[2:3] neg_lo:[1,0] neg_hi:[1,0]
	v_div_fixup_f32 v2, v3, v2, 1.0
	v_mov_b32_e32 v7, v5
	v_pk_mul_f32 v[4:5], v[6:7], v[2:3] op_sel_hi:[1,0]
.LBB135_32:
	s_or_b64 exec, exec, s[0:1]
	s_mov_b64 s[0:1], 0
	ds_write_b64 v1, v[4:5]
.LBB135_33:
	s_and_b64 vcc, exec, s[0:1]
	s_cbranch_vccz .LBB135_35
; %bb.34:
	v_mov_b32_e32 v2, 1.0
	v_mov_b32_e32 v3, 0
	ds_write_b64 v1, v[2:3]
.LBB135_35:
	s_or_b64 exec, exec, s[26:27]
	s_load_dword s20, s[6:7], 0x50
	s_load_dwordx2 s[0:1], s[6:7], 0x58
	s_add_i32 s41, s41, -1
	v_lshlrev_b32_e32 v9, 3, v8
	s_waitcnt lgkmcnt(0)
	s_ashr_i32 s12, s20, 31
	s_mul_i32 s1, s9, s1
	s_mul_hi_u32 s3, s9, s0
	s_mul_i32 s2, s9, s0
	s_lshl_b32 s0, s8, 2
	s_add_i32 s3, s3, s1
	s_sub_i32 s1, s19, s0
	s_cmp_ge_u32 s8, s41
	s_cselect_b32 s6, s1, 4
	s_ashr_i32 s1, s0, 31
	s_cmp_gt_i32 s18, 0
	v_cmp_gt_i32_e32 vcc, s6, v8
	s_cselect_b64 s[6:7], -1, 0
	s_and_b64 s[6:7], vcc, s[6:7]
	s_and_saveexec_b64 s[8:9], s[6:7]
	s_cbranch_execz .LBB135_38
; %bb.36:
	s_lshl_b64 s[22:23], s[0:1], 3
	s_lshl_b64 s[18:19], s[2:3], 3
	v_mov_b32_e32 v2, s23
	v_add_co_u32_e32 v4, vcc, s22, v9
	s_lshl_b64 s[22:23], s[10:11], 3
	s_add_u32 s1, s14, s22
	s_addc_u32 s13, s15, s23
	s_add_u32 s18, s1, s18
	s_addc_u32 s19, s13, s19
	v_addc_co_u32_e32 v5, vcc, 0, v2, vcc
	v_pk_mov_b32 v[2:3], s[18:19], s[18:19] op_sel:[0,1]
	v_mad_u64_u32 v[2:3], s[18:19], v4, s20, v[2:3]
	v_mul_lo_u32 v4, v4, s12
	v_mul_lo_u32 v5, v5, s20
	v_add3_u32 v3, v5, v3, v4
	v_add_co_u32_e32 v2, vcc, 4, v2
	v_or_b32_e32 v1, 0x80, v9
	v_addc_co_u32_e32 v3, vcc, 0, v3, vcc
	s_mov_b32 s1, s33
.LBB135_37:                             ; =>This Inner Loop Header: Depth=1
	global_load_dwordx2 v[4:5], v[2:3], off offset:-4
	s_add_i32 s1, s1, -1
	v_add_co_u32_e32 v2, vcc, 8, v2
	v_addc_co_u32_e32 v3, vcc, 0, v3, vcc
	s_cmp_lg_u32 s1, 0
	s_waitcnt vmcnt(0)
	v_mul_f32_e32 v6, s25, v5
	v_mul_f32_e32 v7, s24, v5
	v_fma_f32 v6, s24, v4, -v6
	v_fmac_f32_e32 v7, s25, v4
	ds_write_b64 v1, v[6:7]
	v_add_u32_e32 v1, 32, v1
	s_cbranch_scc1 .LBB135_37
.LBB135_38:
	s_or_b64 exec, exec, s[8:9]
	s_load_dwordx2 s[4:5], s[4:5], 0x4
	v_bfe_u32 v1, v0, 10, 10
	v_bfe_u32 v2, v0, 20, 10
	v_mov_b32_e32 v0, 0x100
	s_waitcnt lgkmcnt(0)
	s_lshr_b32 s1, s4, 16
	s_mul_i32 s1, s1, s5
	v_mul_u32_u24_e32 v1, s5, v1
	v_mul_u32_u24_e32 v3, s1, v8
	v_add3_u32 v11, v3, v1, v2
	v_lshl_add_u32 v10, v11, 5, v0
	s_cmpk_eq_i32 s16, 0x6f
	s_mov_b64 s[4:5], -1
	; wave barrier
	s_cbranch_scc1 .LBB135_67
; %bb.39:
	v_mov_b32_e32 v1, 0x80
	s_lshl_b32 s1, s33, 3
	s_mov_b32 s5, 0
	v_lshl_or_b32 v12, v8, 3, v1
	s_add_i32 s1, s1, -8
	v_lshl_add_u32 v13, v11, 5, v0
	s_mov_b32 s4, s5
	s_mov_b32 s21, s40
	s_branch .LBB135_41
.LBB135_40:                             ;   in Loop: Header=BB135_41 Depth=1
	s_cmp_lt_i32 s21, 0
	s_cselect_b64 s[8:9], -1, 0
	s_add_i32 s4, s4, 1
	s_cmp_eq_u32 s4, 3
	s_cselect_b64 s[12:13], -1, 0
	s_or_b64 s[8:9], s[8:9], s[12:13]
	s_andn2_b64 vcc, exec, s[8:9]
	s_cbranch_vccz .LBB135_66
.LBB135_41:                             ; =>This Loop Header: Depth=1
                                        ;     Child Loop BB135_44 Depth 2
                                        ;       Child Loop BB135_45 Depth 3
                                        ;       Child Loop BB135_49 Depth 3
                                        ;         Child Loop BB135_51 Depth 4
                                        ;         Child Loop BB135_57 Depth 4
                                        ;       Child Loop BB135_60 Depth 3
                                        ;         Child Loop BB135_62 Depth 4
	s_lshl_b64 s[8:9], s[4:5], 2
	s_getpc_b64 s[12:13]
	s_add_u32 s12, s12, __const._ZL38rocblas_trsm_small_left_device_sharedBILi4ELi4ELb1E19rocblas_complex_numIfES1_PKS1_PS1_Ev13rocblas_fill_18rocblas_operation_17rocblas_diagonal_iiT3_T4_lilT5_lili.step_sizes@rel32@lo+4
	s_addc_u32 s13, s13, __const._ZL38rocblas_trsm_small_left_device_sharedBILi4ELi4ELb1E19rocblas_complex_numIfES1_PKS1_PS1_Ev13rocblas_fill_18rocblas_operation_17rocblas_diagonal_iiT3_T4_lilT5_lili.step_sizes@rel32@hi+12
	s_add_u32 s8, s8, s12
	s_addc_u32 s9, s9, s13
	s_load_dword s22, s[8:9], 0x0
	s_waitcnt lgkmcnt(0)
	s_add_i32 s23, s22, -1
	s_cmp_lt_i32 s21, s23
	s_cbranch_scc1 .LBB135_40
; %bb.42:                               ;   in Loop: Header=BB135_41 Depth=1
	s_max_i32 s24, s22, 1
	s_add_i32 s8, s4, -1
	s_cmp_gt_u32 s8, 1
	s_cselect_b64 s[8:9], -1, 0
	s_and_b32 s25, s24, 0x7ffffffe
	s_cmp_lg_u32 s24, s25
	s_cselect_b64 s[12:13], -1, 0
	s_lshl_b32 s16, s21, 5
	s_lshl_b32 s17, s22, 5
	v_add_u32_e32 v14, s16, v12
	s_sub_i32 s26, 0, s17
	s_add_i32 s27, s1, s16
	s_mul_i32 s28, s21, 40
	s_mul_i32 s29, s22, 0xffffffd8
	s_branch .LBB135_44
.LBB135_43:                             ;   in Loop: Header=BB135_44 Depth=2
	s_sub_i32 s21, s21, s22
	s_add_i32 s27, s27, s26
	s_add_i32 s28, s28, s29
	s_cmp_lt_i32 s21, s23
	v_add_u32_e32 v14, s26, v14
	s_cbranch_scc1 .LBB135_40
.LBB135_44:                             ;   Parent Loop BB135_41 Depth=1
                                        ; =>  This Loop Header: Depth=2
                                        ;       Child Loop BB135_45 Depth 3
                                        ;       Child Loop BB135_49 Depth 3
                                        ;         Child Loop BB135_51 Depth 4
                                        ;         Child Loop BB135_57 Depth 4
                                        ;       Child Loop BB135_60 Depth 3
                                        ;         Child Loop BB135_62 Depth 4
	v_mov_b32_e32 v0, v10
	v_mov_b32_e32 v1, v14
	s_mov_b32 s16, s24
.LBB135_45:                             ;   Parent Loop BB135_41 Depth=1
                                        ;     Parent Loop BB135_44 Depth=2
                                        ; =>    This Inner Loop Header: Depth=3
	ds_read_b64 v[2:3], v1
	s_add_i32 s16, s16, -1
	v_subrev_u32_e32 v1, 32, v1
	s_cmp_eq_u32 s16, 0
	s_waitcnt lgkmcnt(0)
	ds_write_b64 v0, v[2:3]
	v_add_u32_e32 v0, 8, v0
	s_cbranch_scc0 .LBB135_45
; %bb.46:                               ;   in Loop: Header=BB135_44 Depth=2
	s_cmp_le_i32 s40, s21
	s_cbranch_scc1 .LBB135_58
; %bb.47:                               ;   in Loop: Header=BB135_44 Depth=2
	s_mov_b32 s30, s21
	s_mov_b32 s31, s27
	;; [unrolled: 1-line block ×3, first 2 shown]
	s_branch .LBB135_49
.LBB135_48:                             ;   in Loop: Header=BB135_49 Depth=3
	s_add_i32 s34, s34, -1
	s_add_i32 s31, s31, -8
	s_cmp_le_i32 s34, s21
	s_cbranch_scc1 .LBB135_58
.LBB135_49:                             ;   Parent Loop BB135_41 Depth=1
                                        ;     Parent Loop BB135_44 Depth=2
                                        ; =>    This Loop Header: Depth=3
                                        ;         Child Loop BB135_51 Depth 4
                                        ;         Child Loop BB135_57 Depth 4
	s_waitcnt lgkmcnt(0)
	v_lshl_or_b32 v0, s34, 5, v9
	ds_read_b64 v[0:1], v0 offset:128
	s_and_b64 vcc, exec, s[8:9]
	s_cbranch_vccz .LBB135_53
; %bb.50:                               ;   in Loop: Header=BB135_49 Depth=3
	s_mov_b32 s16, s34
	s_waitcnt lgkmcnt(0)
	v_mov_b32_e32 v4, v0
	v_mov_b32_e32 v5, v0
	v_mov_b32_e32 v2, v1
	v_mov_b32_e32 v6, v1
	v_mov_b32_e32 v7, v1
	s_mov_b32 s17, 1
	s_mov_b32 s18, 0
	;; [unrolled: 1-line block ×3, first 2 shown]
	v_mov_b32_e32 v3, v10
.LBB135_51:                             ;   Parent Loop BB135_41 Depth=1
                                        ;     Parent Loop BB135_44 Depth=2
                                        ;       Parent Loop BB135_49 Depth=3
                                        ; =>      This Inner Loop Header: Depth=4
	s_sub_i32 s35, s30, s17
	s_sub_i32 s36, s21, s18
	s_lshl_b32 s36, s36, 2
	s_lshl_b32 s35, s35, 2
	s_add_i32 s35, s35, s16
	s_add_i32 s36, s36, s34
	s_lshl_b32 s36, s36, 3
	s_lshl_b32 s35, s35, 3
	v_mov_b32_e32 v15, s36
	v_mov_b32_e32 v22, s35
	ds_read_b128 v[16:19], v3
	ds_read_b64 v[20:21], v15
	ds_read_b64 v[22:23], v22
	s_add_i32 s18, s18, 2
	s_add_i32 s17, s17, 2
	s_add_i32 s19, s19, -2
	s_waitcnt lgkmcnt(2)
	v_mov_b32_e32 v25, v18
	v_mov_b32_e32 v18, v17
	s_waitcnt lgkmcnt(0)
	v_mov_b32_e32 v17, v22
	v_mov_b32_e32 v22, v21
	;; [unrolled: 1-line block ×4, first 2 shown]
	v_pk_mul_f32 v[20:21], v[22:23], v[6:7]
	v_pk_mul_f32 v[22:23], v[22:23], v[4:5]
	v_pk_fma_f32 v[20:21], v[16:17], v[4:5], v[20:21] neg_lo:[0,0,1] neg_hi:[0,0,1]
	v_pk_fma_f32 v[16:17], v[16:17], v[6:7], v[22:23]
	v_pk_add_f32 v[20:21], v[24:25], v[20:21] neg_lo:[0,1] neg_hi:[0,1]
	v_pk_add_f32 v[18:19], v[18:19], v[16:17] neg_lo:[0,1] neg_hi:[0,1]
	v_mov_b32_e32 v16, v20
	v_mov_b32_e32 v17, v18
	;; [unrolled: 1-line block ×3, first 2 shown]
	s_cmp_lg_u32 s19, 0
	ds_write_b128 v3, v[16:19]
	v_add_u32_e32 v3, 16, v3
	s_cbranch_scc1 .LBB135_51
; %bb.52:                               ;   in Loop: Header=BB135_49 Depth=3
	s_mov_b64 s[16:17], s[12:13]
	s_mov_b32 s18, s25
	s_branch .LBB135_55
.LBB135_53:                             ;   in Loop: Header=BB135_49 Depth=3
	s_mov_b64 s[16:17], 0
                                        ; implicit-def: $vgpr2_vgpr3
	s_mov_b32 s18, s25
	s_cbranch_execz .LBB135_55
; %bb.54:                               ;   in Loop: Header=BB135_49 Depth=3
	s_waitcnt lgkmcnt(0)
	v_mov_b32_e32 v2, v1
	s_mov_b64 s[16:17], -1
	s_mov_b32 s18, 0
.LBB135_55:                             ;   in Loop: Header=BB135_49 Depth=3
	s_andn2_b64 vcc, exec, s[16:17]
	s_cbranch_vccnz .LBB135_48
; %bb.56:                               ;   in Loop: Header=BB135_49 Depth=3
	s_lshl_b32 s17, s18, 5
	s_waitcnt lgkmcnt(0)
	v_mov_b32_e32 v3, v1
	v_mov_b32_e32 v1, v0
	s_sub_i32 s16, s24, s18
	s_sub_i32 s17, s31, s17
	v_lshl_add_u32 v4, s18, 3, v13
.LBB135_57:                             ;   Parent Loop BB135_41 Depth=1
                                        ;     Parent Loop BB135_44 Depth=2
                                        ;       Parent Loop BB135_49 Depth=3
                                        ; =>      This Inner Loop Header: Depth=4
	v_mov_b32_e32 v5, s17
	ds_read_b64 v[16:17], v5
	ds_read_b64 v[6:7], v4
	s_add_i32 s16, s16, -1
	s_sub_i32 s17, s17, 32
	s_cmp_eq_u32 s16, 0
	s_waitcnt lgkmcnt(1)
	v_pk_mul_f32 v[18:19], v[16:17], v[2:3]
	v_pk_fma_f32 v[20:21], v[16:17], v[0:1], v[18:19] op_sel:[0,0,1] op_sel_hi:[1,1,0] neg_lo:[0,0,1] neg_hi:[0,0,1]
	v_pk_fma_f32 v[16:17], v[16:17], v[0:1], v[18:19] op_sel:[0,0,1] op_sel_hi:[1,1,0]
	v_mov_b32_e32 v21, v17
	s_waitcnt lgkmcnt(0)
	v_pk_add_f32 v[6:7], v[6:7], v[20:21] neg_lo:[0,1] neg_hi:[0,1]
	ds_write_b64 v4, v[6:7]
	v_add_u32_e32 v4, 8, v4
	s_cbranch_scc0 .LBB135_57
	s_branch .LBB135_48
.LBB135_58:                             ;   in Loop: Header=BB135_44 Depth=2
	s_lshl_b32 s18, s21, 2
	s_mov_b32 s19, 0
	s_mov_b32 s30, s28
	s_branch .LBB135_60
.LBB135_59:                             ;   in Loop: Header=BB135_60 Depth=3
	s_mul_i32 s16, s34, 40
	v_mov_b32_e32 v3, s16
	ds_read_b64 v[4:5], v3
	s_add_i32 s19, s19, 1
	s_sub_i32 s30, s30, 32
	v_add_lshl_u32 v3, s31, v8, 3
	s_cmp_eq_u32 s19, s24
	s_waitcnt lgkmcnt(0)
	v_mul_f32_e32 v6, v5, v1
	v_mul_f32_e32 v7, v4, v1
	v_fma_f32 v6, v4, v0, -v6
	v_fmac_f32_e32 v7, v5, v0
	ds_write_b64 v2, v[6:7]
	ds_write_b64 v3, v[6:7] offset:128
	s_cbranch_scc1 .LBB135_43
.LBB135_60:                             ;   Parent Loop BB135_41 Depth=1
                                        ;     Parent Loop BB135_44 Depth=2
                                        ; =>    This Loop Header: Depth=3
                                        ;         Child Loop BB135_62 Depth 4
	s_cmp_lg_u32 s19, 0
	v_lshl_add_u32 v2, s19, 3, v10
	s_cbranch_scc0 .LBB135_64
; %bb.61:                               ;   in Loop: Header=BB135_60 Depth=3
	s_waitcnt lgkmcnt(0)
	ds_read_b64 v[0:1], v2
	s_mov_b32 s16, 0
	v_mov_b32_e32 v3, v10
	s_mov_b32 s17, s30
.LBB135_62:                             ;   Parent Loop BB135_41 Depth=1
                                        ;     Parent Loop BB135_44 Depth=2
                                        ;       Parent Loop BB135_60 Depth=3
                                        ; =>      This Inner Loop Header: Depth=4
	v_mov_b32_e32 v6, s17
	ds_read_b64 v[4:5], v3
	ds_read_b64 v[6:7], v6
	s_add_i32 s16, s16, 1
	s_add_i32 s17, s17, -8
	v_add_u32_e32 v3, 8, v3
	s_cmp_ge_u32 s16, s19
	s_waitcnt lgkmcnt(0)
	v_pk_mul_f32 v[16:17], v[6:7], v[4:5] op_sel:[0,1]
	v_pk_fma_f32 v[18:19], v[6:7], v[4:5], v[16:17] op_sel:[0,0,1] op_sel_hi:[1,1,0] neg_lo:[0,0,1] neg_hi:[0,0,1]
	v_pk_fma_f32 v[4:5], v[6:7], v[4:5], v[16:17] op_sel:[0,0,1] op_sel_hi:[1,0,0]
	v_mov_b32_e32 v19, v5
	v_pk_add_f32 v[0:1], v[0:1], v[18:19] neg_lo:[0,1] neg_hi:[0,1]
	ds_write_b64 v2, v[0:1]
	s_cbranch_scc0 .LBB135_62
; %bb.63:                               ;   in Loop: Header=BB135_60 Depth=3
	s_sub_i32 s34, s21, s19
	s_lshl_b32 s31, s34, 2
	s_branch .LBB135_59
.LBB135_64:                             ;   in Loop: Header=BB135_60 Depth=3
                                        ; implicit-def: $vgpr0
                                        ; implicit-def: $sgpr34
                                        ; implicit-def: $sgpr31
	s_cbranch_execz .LBB135_59
; %bb.65:                               ;   in Loop: Header=BB135_60 Depth=3
	s_waitcnt lgkmcnt(0)
	ds_read_b64 v[0:1], v10
	s_mov_b32 s31, s18
	s_mov_b32 s34, s21
	s_branch .LBB135_59
.LBB135_66:
	s_mov_b64 s[4:5], 0
.LBB135_67:
	s_and_b64 vcc, exec, s[4:5]
	s_cbranch_vccz .LBB135_95
; %bb.68:
	v_mov_b32_e32 v0, 0x80
	v_lshl_or_b32 v12, v8, 3, v0
	v_mov_b32_e32 v0, 0x100
	s_mov_b32 s5, 0
	v_lshl_add_u32 v11, v11, 5, v0
	s_mov_b32 s4, s5
	s_mov_b32 s1, s5
	s_branch .LBB135_70
.LBB135_69:                             ;   in Loop: Header=BB135_70 Depth=1
	s_cmp_ge_i32 s1, s33
	s_cselect_b64 s[8:9], -1, 0
	s_add_i32 s4, s4, 1
	s_cmp_eq_u32 s4, 3
	s_cselect_b64 s[12:13], -1, 0
	s_or_b64 s[8:9], s[8:9], s[12:13]
	s_and_b64 vcc, exec, s[8:9]
	s_cbranch_vccnz .LBB135_95
.LBB135_70:                             ; =>This Loop Header: Depth=1
                                        ;     Child Loop BB135_73 Depth 2
                                        ;       Child Loop BB135_74 Depth 3
                                        ;       Child Loop BB135_78 Depth 3
                                        ;         Child Loop BB135_80 Depth 4
                                        ;         Child Loop BB135_86 Depth 4
                                        ;       Child Loop BB135_89 Depth 3
                                        ;         Child Loop BB135_91 Depth 4
	s_lshl_b64 s[8:9], s[4:5], 2
	s_getpc_b64 s[12:13]
	s_add_u32 s12, s12, __const._ZL38rocblas_trsm_small_left_device_sharedBILi4ELi4ELb1E19rocblas_complex_numIfES1_PKS1_PS1_Ev13rocblas_fill_18rocblas_operation_17rocblas_diagonal_iiT3_T4_lilT5_lili.step_sizes@rel32@lo+4
	s_addc_u32 s13, s13, __const._ZL38rocblas_trsm_small_left_device_sharedBILi4ELi4ELb1E19rocblas_complex_numIfES1_PKS1_PS1_Ev13rocblas_fill_18rocblas_operation_17rocblas_diagonal_iiT3_T4_lilT5_lili.step_sizes@rel32@hi+12
	s_add_u32 s8, s8, s12
	s_addc_u32 s9, s9, s13
	s_load_dword s21, s[8:9], 0x0
	s_waitcnt lgkmcnt(0)
	s_add_i32 s22, s21, -1
	s_add_i32 s8, s22, s1
	s_cmp_ge_i32 s8, s33
	s_cbranch_scc1 .LBB135_69
; %bb.71:                               ;   in Loop: Header=BB135_70 Depth=1
	s_max_i32 s23, s21, 1
	s_add_i32 s8, s4, -1
	s_cmp_gt_u32 s8, 1
	s_cselect_b64 s[8:9], -1, 0
	s_and_b32 s24, s23, 0x7ffffffe
	s_cmp_lg_u32 s23, s24
	s_cselect_b64 s[12:13], -1, 0
	v_lshl_add_u32 v13, s1, 5, v12
	s_lshl_b32 s25, s21, 5
	s_mul_i32 s26, s1, 40
	s_mul_i32 s27, s21, 40
	s_branch .LBB135_73
.LBB135_72:                             ;   in Loop: Header=BB135_73 Depth=2
	s_add_i32 s1, s1, s21
	s_add_i32 s16, s22, s1
	;; [unrolled: 1-line block ×3, first 2 shown]
	s_cmp_ge_i32 s16, s33
	v_add_u32_e32 v13, s25, v13
	s_cbranch_scc1 .LBB135_69
.LBB135_73:                             ;   Parent Loop BB135_70 Depth=1
                                        ; =>  This Loop Header: Depth=2
                                        ;       Child Loop BB135_74 Depth 3
                                        ;       Child Loop BB135_78 Depth 3
                                        ;         Child Loop BB135_80 Depth 4
                                        ;         Child Loop BB135_86 Depth 4
                                        ;       Child Loop BB135_89 Depth 3
                                        ;         Child Loop BB135_91 Depth 4
	v_mov_b32_e32 v0, v10
	v_mov_b32_e32 v1, v13
	s_mov_b32 s16, s23
.LBB135_74:                             ;   Parent Loop BB135_70 Depth=1
                                        ;     Parent Loop BB135_73 Depth=2
                                        ; =>    This Inner Loop Header: Depth=3
	ds_read_b64 v[2:3], v1
	s_add_i32 s16, s16, -1
	v_add_u32_e32 v1, 32, v1
	s_cmp_eq_u32 s16, 0
	s_waitcnt lgkmcnt(0)
	ds_write_b64 v0, v[2:3]
	v_add_u32_e32 v0, 8, v0
	s_cbranch_scc0 .LBB135_74
; %bb.75:                               ;   in Loop: Header=BB135_73 Depth=2
	s_cmp_lt_i32 s1, 1
	s_cbranch_scc1 .LBB135_87
; %bb.76:                               ;   in Loop: Header=BB135_73 Depth=2
	s_mov_b32 s28, 0
	s_mov_b32 s29, s1
	s_branch .LBB135_78
.LBB135_77:                             ;   in Loop: Header=BB135_78 Depth=3
	s_add_i32 s28, s28, 1
	s_add_i32 s29, s29, 4
	s_cmp_ge_i32 s28, s1
	s_cbranch_scc1 .LBB135_87
.LBB135_78:                             ;   Parent Loop BB135_70 Depth=1
                                        ;     Parent Loop BB135_73 Depth=2
                                        ; =>    This Loop Header: Depth=3
                                        ;         Child Loop BB135_80 Depth 4
                                        ;         Child Loop BB135_86 Depth 4
	s_lshl_b32 s16, s28, 2
	s_waitcnt lgkmcnt(0)
	v_or_b32_e32 v0, s16, v8
	v_lshlrev_b32_e32 v0, 3, v0
	ds_read_b64 v[0:1], v0 offset:128
	s_and_b64 vcc, exec, s[8:9]
	s_cbranch_vccz .LBB135_82
; %bb.79:                               ;   in Loop: Header=BB135_78 Depth=3
	s_add_i32 s16, s16, s1
	s_mov_b32 s17, s16
	s_waitcnt lgkmcnt(0)
	v_mov_b32_e32 v4, v0
	v_mov_b32_e32 v5, v0
	;; [unrolled: 1-line block ×5, first 2 shown]
	s_mov_b32 s18, 1
	s_mov_b32 s19, 0
	;; [unrolled: 1-line block ×3, first 2 shown]
	v_mov_b32_e32 v3, v10
.LBB135_80:                             ;   Parent Loop BB135_70 Depth=1
                                        ;     Parent Loop BB135_73 Depth=2
                                        ;       Parent Loop BB135_78 Depth=3
                                        ; =>      This Inner Loop Header: Depth=4
	s_add_i32 s31, s17, s18
	s_add_i32 s34, s16, s19
	s_lshl_b32 s34, s34, 3
	s_lshl_b32 s31, s31, 3
	v_mov_b32_e32 v18, s34
	v_mov_b32_e32 v20, s31
	ds_read_b128 v[14:17], v3
	ds_read_b64 v[18:19], v18
	ds_read_b64 v[20:21], v20
	s_add_i32 s19, s19, 2
	s_add_i32 s18, s18, 2
	s_add_i32 s30, s30, -2
	s_waitcnt lgkmcnt(2)
	v_mov_b32_e32 v23, v16
	v_mov_b32_e32 v16, v15
	s_waitcnt lgkmcnt(0)
	v_mov_b32_e32 v15, v20
	v_mov_b32_e32 v20, v19
	;; [unrolled: 1-line block ×4, first 2 shown]
	v_pk_mul_f32 v[18:19], v[20:21], v[6:7]
	v_pk_mul_f32 v[20:21], v[20:21], v[4:5]
	v_pk_fma_f32 v[18:19], v[14:15], v[4:5], v[18:19] neg_lo:[0,0,1] neg_hi:[0,0,1]
	v_pk_fma_f32 v[14:15], v[14:15], v[6:7], v[20:21]
	v_pk_add_f32 v[18:19], v[22:23], v[18:19] neg_lo:[0,1] neg_hi:[0,1]
	v_pk_add_f32 v[16:17], v[16:17], v[14:15] neg_lo:[0,1] neg_hi:[0,1]
	v_mov_b32_e32 v14, v18
	v_mov_b32_e32 v15, v16
	;; [unrolled: 1-line block ×3, first 2 shown]
	s_cmp_lg_u32 s30, 0
	ds_write_b128 v3, v[14:17]
	v_add_u32_e32 v3, 16, v3
	s_cbranch_scc1 .LBB135_80
; %bb.81:                               ;   in Loop: Header=BB135_78 Depth=3
	s_mov_b64 s[16:17], s[12:13]
	s_mov_b32 s18, s24
	s_branch .LBB135_84
.LBB135_82:                             ;   in Loop: Header=BB135_78 Depth=3
	s_mov_b64 s[16:17], 0
                                        ; implicit-def: $vgpr2_vgpr3
	s_mov_b32 s18, s24
	s_cbranch_execz .LBB135_84
; %bb.83:                               ;   in Loop: Header=BB135_78 Depth=3
	s_waitcnt lgkmcnt(0)
	v_mov_b32_e32 v2, v1
	s_mov_b64 s[16:17], -1
	s_mov_b32 s18, 0
.LBB135_84:                             ;   in Loop: Header=BB135_78 Depth=3
	s_andn2_b64 vcc, exec, s[16:17]
	s_cbranch_vccnz .LBB135_77
; %bb.85:                               ;   in Loop: Header=BB135_78 Depth=3
	s_add_i32 s17, s18, s29
	s_waitcnt lgkmcnt(0)
	v_mov_b32_e32 v3, v1
	v_mov_b32_e32 v1, v0
	s_sub_i32 s16, s23, s18
	s_lshl_b32 s17, s17, 3
	v_lshl_add_u32 v4, s18, 3, v11
.LBB135_86:                             ;   Parent Loop BB135_70 Depth=1
                                        ;     Parent Loop BB135_73 Depth=2
                                        ;       Parent Loop BB135_78 Depth=3
                                        ; =>      This Inner Loop Header: Depth=4
	v_mov_b32_e32 v5, s17
	ds_read_b64 v[14:15], v5
	ds_read_b64 v[6:7], v4
	s_add_i32 s16, s16, -1
	s_add_i32 s17, s17, 8
	s_cmp_eq_u32 s16, 0
	s_waitcnt lgkmcnt(1)
	v_pk_mul_f32 v[16:17], v[14:15], v[2:3]
	v_pk_fma_f32 v[18:19], v[14:15], v[0:1], v[16:17] op_sel:[0,0,1] op_sel_hi:[1,1,0] neg_lo:[0,0,1] neg_hi:[0,0,1]
	v_pk_fma_f32 v[14:15], v[14:15], v[0:1], v[16:17] op_sel:[0,0,1] op_sel_hi:[1,1,0]
	v_mov_b32_e32 v19, v15
	s_waitcnt lgkmcnt(0)
	v_pk_add_f32 v[6:7], v[6:7], v[18:19] neg_lo:[0,1] neg_hi:[0,1]
	ds_write_b64 v4, v[6:7]
	v_add_u32_e32 v4, 8, v4
	s_cbranch_scc0 .LBB135_86
	s_branch .LBB135_77
.LBB135_87:                             ;   in Loop: Header=BB135_73 Depth=2
	s_mov_b32 s18, 0
	s_mov_b32 s19, s26
	s_branch .LBB135_89
.LBB135_88:                             ;   in Loop: Header=BB135_89 Depth=3
	s_mul_i32 s16, s28, 40
	v_mov_b32_e32 v3, s16
	ds_read_b64 v[4:5], v3
	s_add_i32 s18, s18, 1
	s_add_i32 s19, s19, 8
	v_lshl_or_b32 v3, s28, 5, v9
	s_cmp_eq_u32 s18, s23
	s_waitcnt lgkmcnt(0)
	v_mul_f32_e32 v6, v5, v1
	v_mul_f32_e32 v7, v4, v1
	v_fma_f32 v6, v4, v0, -v6
	v_fmac_f32_e32 v7, v5, v0
	ds_write_b64 v2, v[6:7]
	ds_write_b64 v3, v[6:7] offset:128
	s_cbranch_scc1 .LBB135_72
.LBB135_89:                             ;   Parent Loop BB135_70 Depth=1
                                        ;     Parent Loop BB135_73 Depth=2
                                        ; =>    This Loop Header: Depth=3
                                        ;         Child Loop BB135_91 Depth 4
	s_cmp_lg_u32 s18, 0
	v_lshl_add_u32 v2, s18, 3, v10
	s_cbranch_scc0 .LBB135_93
; %bb.90:                               ;   in Loop: Header=BB135_89 Depth=3
	s_waitcnt lgkmcnt(0)
	ds_read_b64 v[0:1], v2
	s_mov_b32 s16, 0
	v_mov_b32_e32 v3, v10
	s_mov_b32 s17, s19
.LBB135_91:                             ;   Parent Loop BB135_70 Depth=1
                                        ;     Parent Loop BB135_73 Depth=2
                                        ;       Parent Loop BB135_89 Depth=3
                                        ; =>      This Inner Loop Header: Depth=4
	v_mov_b32_e32 v6, s17
	ds_read_b64 v[4:5], v3
	ds_read_b64 v[6:7], v6
	s_add_i32 s16, s16, 1
	s_add_i32 s17, s17, 32
	v_add_u32_e32 v3, 8, v3
	s_cmp_ge_u32 s16, s18
	s_waitcnt lgkmcnt(0)
	v_pk_mul_f32 v[14:15], v[6:7], v[4:5] op_sel:[0,1]
	v_pk_fma_f32 v[16:17], v[6:7], v[4:5], v[14:15] op_sel:[0,0,1] op_sel_hi:[1,1,0] neg_lo:[0,0,1] neg_hi:[0,0,1]
	v_pk_fma_f32 v[4:5], v[6:7], v[4:5], v[14:15] op_sel:[0,0,1] op_sel_hi:[1,0,0]
	v_mov_b32_e32 v17, v5
	v_pk_add_f32 v[0:1], v[0:1], v[16:17] neg_lo:[0,1] neg_hi:[0,1]
	ds_write_b64 v2, v[0:1]
	s_cbranch_scc0 .LBB135_91
; %bb.92:                               ;   in Loop: Header=BB135_89 Depth=3
	s_add_i32 s28, s18, s1
	s_branch .LBB135_88
.LBB135_93:                             ;   in Loop: Header=BB135_89 Depth=3
                                        ; implicit-def: $vgpr0
                                        ; implicit-def: $sgpr28
	s_cbranch_execz .LBB135_88
; %bb.94:                               ;   in Loop: Header=BB135_89 Depth=3
	s_waitcnt lgkmcnt(0)
	ds_read_b64 v[0:1], v10
	s_mov_b32 s28, s1
	s_branch .LBB135_88
.LBB135_95:
	s_waitcnt lgkmcnt(0)
	; wave barrier
	s_waitcnt lgkmcnt(0)
	s_and_saveexec_b64 s[4:5], s[6:7]
	s_cbranch_execz .LBB135_98
; %bb.96:
	s_lshl_b64 s[2:3], s[2:3], 3
	s_add_u32 s1, s14, s2
	s_addc_u32 s4, s15, s3
	s_lshl_b64 s[2:3], s[10:11], 3
	s_add_u32 s2, s1, s2
	s_mul_hi_i32 s1, s20, s0
	s_mul_i32 s0, s20, s0
	s_addc_u32 s3, s4, s3
	s_lshl_b64 s[0:1], s[0:1], 3
	s_add_u32 s2, s2, s0
	s_addc_u32 s3, s3, s1
	v_mad_i64_i32 v[0:1], s[0:1], s20, v8, 0
	v_lshlrev_b64 v[0:1], 3, v[0:1]
	v_mov_b32_e32 v2, s3
	v_add_co_u32_e32 v0, vcc, s2, v0
	v_addc_co_u32_e32 v1, vcc, v2, v1, vcc
	v_mov_b32_e32 v2, 0x80
	v_lshl_or_b32 v2, v8, 3, v2
.LBB135_97:                             ; =>This Inner Loop Header: Depth=1
	ds_read_b64 v[4:5], v2
	s_add_i32 s33, s33, -1
	v_add_u32_e32 v2, 32, v2
	s_cmp_lg_u32 s33, 0
	s_waitcnt lgkmcnt(0)
	global_store_dwordx2 v[0:1], v[4:5], off
	v_add_co_u32_e32 v0, vcc, 8, v0
	v_addc_co_u32_e32 v1, vcc, 0, v1, vcc
	s_cbranch_scc1 .LBB135_97
.LBB135_98:
	s_endpgm
	.section	.rodata,"a",@progbits
	.p2align	6, 0x0
	.amdhsa_kernel _ZL38rocblas_trsm_small_left_device_sharedBILi4ELi4ELb1E19rocblas_complex_numIfES1_PKS1_PS1_Ev13rocblas_fill_18rocblas_operation_17rocblas_diagonal_iiT3_T4_lilT5_lili
		.amdhsa_group_segment_fixed_size 384
		.amdhsa_private_segment_fixed_size 0
		.amdhsa_kernarg_size 360
		.amdhsa_user_sgpr_count 8
		.amdhsa_user_sgpr_private_segment_buffer 1
		.amdhsa_user_sgpr_dispatch_ptr 1
		.amdhsa_user_sgpr_queue_ptr 0
		.amdhsa_user_sgpr_kernarg_segment_ptr 1
		.amdhsa_user_sgpr_dispatch_id 0
		.amdhsa_user_sgpr_flat_scratch_init 0
		.amdhsa_user_sgpr_kernarg_preload_length 0
		.amdhsa_user_sgpr_kernarg_preload_offset 0
		.amdhsa_user_sgpr_private_segment_size 0
		.amdhsa_uses_dynamic_stack 0
		.amdhsa_system_sgpr_private_segment_wavefront_offset 0
		.amdhsa_system_sgpr_workgroup_id_x 1
		.amdhsa_system_sgpr_workgroup_id_y 0
		.amdhsa_system_sgpr_workgroup_id_z 1
		.amdhsa_system_sgpr_workgroup_info 0
		.amdhsa_system_vgpr_workitem_id 2
		.amdhsa_next_free_vgpr 26
		.amdhsa_next_free_sgpr 45
		.amdhsa_accum_offset 28
		.amdhsa_reserve_vcc 1
		.amdhsa_reserve_flat_scratch 0
		.amdhsa_float_round_mode_32 0
		.amdhsa_float_round_mode_16_64 0
		.amdhsa_float_denorm_mode_32 3
		.amdhsa_float_denorm_mode_16_64 3
		.amdhsa_dx10_clamp 1
		.amdhsa_ieee_mode 1
		.amdhsa_fp16_overflow 0
		.amdhsa_tg_split 0
		.amdhsa_exception_fp_ieee_invalid_op 0
		.amdhsa_exception_fp_denorm_src 0
		.amdhsa_exception_fp_ieee_div_zero 0
		.amdhsa_exception_fp_ieee_overflow 0
		.amdhsa_exception_fp_ieee_underflow 0
		.amdhsa_exception_fp_ieee_inexact 0
		.amdhsa_exception_int_div_zero 0
	.end_amdhsa_kernel
	.section	.text._ZL38rocblas_trsm_small_left_device_sharedBILi4ELi4ELb1E19rocblas_complex_numIfES1_PKS1_PS1_Ev13rocblas_fill_18rocblas_operation_17rocblas_diagonal_iiT3_T4_lilT5_lili,"axG",@progbits,_ZL38rocblas_trsm_small_left_device_sharedBILi4ELi4ELb1E19rocblas_complex_numIfES1_PKS1_PS1_Ev13rocblas_fill_18rocblas_operation_17rocblas_diagonal_iiT3_T4_lilT5_lili,comdat
.Lfunc_end135:
	.size	_ZL38rocblas_trsm_small_left_device_sharedBILi4ELi4ELb1E19rocblas_complex_numIfES1_PKS1_PS1_Ev13rocblas_fill_18rocblas_operation_17rocblas_diagonal_iiT3_T4_lilT5_lili, .Lfunc_end135-_ZL38rocblas_trsm_small_left_device_sharedBILi4ELi4ELb1E19rocblas_complex_numIfES1_PKS1_PS1_Ev13rocblas_fill_18rocblas_operation_17rocblas_diagonal_iiT3_T4_lilT5_lili
                                        ; -- End function
	.section	.AMDGPU.csdata,"",@progbits
; Kernel info:
; codeLenInByte = 3772
; NumSgprs: 49
; NumVgprs: 26
; NumAgprs: 0
; TotalNumVgprs: 26
; ScratchSize: 0
; MemoryBound: 0
; FloatMode: 240
; IeeeMode: 1
; LDSByteSize: 384 bytes/workgroup (compile time only)
; SGPRBlocks: 6
; VGPRBlocks: 3
; NumSGPRsForWavesPerEU: 49
; NumVGPRsForWavesPerEU: 26
; AccumOffset: 28
; Occupancy: 8
; WaveLimiterHint : 0
; COMPUTE_PGM_RSRC2:SCRATCH_EN: 0
; COMPUTE_PGM_RSRC2:USER_SGPR: 8
; COMPUTE_PGM_RSRC2:TRAP_HANDLER: 0
; COMPUTE_PGM_RSRC2:TGID_X_EN: 1
; COMPUTE_PGM_RSRC2:TGID_Y_EN: 0
; COMPUTE_PGM_RSRC2:TGID_Z_EN: 1
; COMPUTE_PGM_RSRC2:TIDIG_COMP_CNT: 2
; COMPUTE_PGM_RSRC3_GFX90A:ACCUM_OFFSET: 6
; COMPUTE_PGM_RSRC3_GFX90A:TG_SPLIT: 0
	.section	.text._ZL30rocblas_trsm_small_left_deviceILi4ELi4ELb1E19rocblas_complex_numIfES1_PKS1_PS1_Ev13rocblas_fill_18rocblas_operation_17rocblas_diagonal_iiT3_T4_lilT5_lili,"axG",@progbits,_ZL30rocblas_trsm_small_left_deviceILi4ELi4ELb1E19rocblas_complex_numIfES1_PKS1_PS1_Ev13rocblas_fill_18rocblas_operation_17rocblas_diagonal_iiT3_T4_lilT5_lili,comdat
	.globl	_ZL30rocblas_trsm_small_left_deviceILi4ELi4ELb1E19rocblas_complex_numIfES1_PKS1_PS1_Ev13rocblas_fill_18rocblas_operation_17rocblas_diagonal_iiT3_T4_lilT5_lili ; -- Begin function _ZL30rocblas_trsm_small_left_deviceILi4ELi4ELb1E19rocblas_complex_numIfES1_PKS1_PS1_Ev13rocblas_fill_18rocblas_operation_17rocblas_diagonal_iiT3_T4_lilT5_lili
	.p2align	8
	.type	_ZL30rocblas_trsm_small_left_deviceILi4ELi4ELb1E19rocblas_complex_numIfES1_PKS1_PS1_Ev13rocblas_fill_18rocblas_operation_17rocblas_diagonal_iiT3_T4_lilT5_lili,@function
_ZL30rocblas_trsm_small_left_deviceILi4ELi4ELb1E19rocblas_complex_numIfES1_PKS1_PS1_Ev13rocblas_fill_18rocblas_operation_17rocblas_diagonal_iiT3_T4_lilT5_lili: ; @_ZL30rocblas_trsm_small_left_deviceILi4ELi4ELb1E19rocblas_complex_numIfES1_PKS1_PS1_Ev13rocblas_fill_18rocblas_operation_17rocblas_diagonal_iiT3_T4_lilT5_lili
; %bb.0:
	s_load_dwordx4 s[16:19], s[6:7], 0x4
	s_load_dwordx2 s[10:11], s[6:7], 0x14
	s_load_dwordx4 s[12:15], s[6:7], 0x38
	s_load_dwordx2 s[24:25], s[6:7], 0x48
	s_load_dword s41, s[6:7], 0x68
	v_and_b32_e32 v1, 0x3ff, v0
	s_waitcnt lgkmcnt(0)
	s_min_i32 s33, s18, 4
	s_mov_b32 s42, 0
	s_add_i32 s40, s33, -1
	v_cmp_gt_i32_e32 vcc, s33, v1
	s_and_saveexec_b64 s[26:27], vcc
	s_cbranch_execz .LBB136_35
; %bb.1:
	s_load_dword s28, s[6:7], 0x30
	s_load_dwordx4 s[20:23], s[6:7], 0x20
	s_mul_i32 s0, s9, s13
	s_mul_hi_u32 s1, s9, s12
	s_mul_i32 s12, s9, s12
	s_waitcnt lgkmcnt(0)
	s_ashr_i32 s29, s28, 31
	s_cmpk_lg_i32 s16, 0x71
	s_cselect_b64 s[30:31], -1, 0
	s_add_i32 s13, s1, s0
	v_cndmask_b32_e64 v2, 0, 1, s[30:31]
	s_cmp_lt_u32 s40, 3
	v_lshlrev_b32_e32 v8, 3, v1
	v_cmp_ne_u32_e64 s[0:1], 1, v2
	s_cbranch_scc1 .LBB136_20
; %bb.2:
	s_lshl_b64 s[2:3], s[12:13], 3
	s_add_u32 s18, s20, s2
	s_addc_u32 s34, s21, s3
	s_lshl_b64 s[2:3], s[22:23], 3
	s_add_u32 s2, s18, s2
	s_addc_u32 s3, s34, s3
	v_mov_b32_e32 v3, s3
	v_add_co_u32_e32 v2, vcc, s2, v8
	s_mul_hi_i32 s2, s28, 24
	s_lshl_b64 s[34:35], s[28:29], 5
	s_lshl_b64 s[36:37], s[28:29], 4
	s_lshl_b64 s[38:39], s[28:29], 3
	v_addc_co_u32_e32 v3, vcc, 0, v3, vcc
	s_and_b32 s42, s33, -4
	s_mul_i32 s18, s28, 24
	s_mov_b32 s43, 0
	v_mov_b32_e32 v9, s39
	v_mov_b32_e32 v10, s37
	;; [unrolled: 1-line block ×5, first 2 shown]
	s_branch .LBB136_4
.LBB136_3:                              ;   in Loop: Header=BB136_4 Depth=1
	global_load_dword v4, v[6:7], off
	s_add_i32 s43, s43, 4
	v_add_co_u32_e32 v2, vcc, s34, v2
	v_addc_co_u32_e32 v3, vcc, v3, v12, vcc
	s_cmp_eq_u32 s42, s43
	s_waitcnt vmcnt(0)
	ds_write_b64 v13, v[4:5] offset:96
	v_add_u32_e32 v13, 0x80, v13
	s_cbranch_scc1 .LBB136_20
.LBB136_4:                              ; =>This Inner Loop Header: Depth=1
	s_and_b64 vcc, exec, s[30:31]
	s_cbranch_vccz .LBB136_6
; %bb.5:                                ;   in Loop: Header=BB136_4 Depth=1
	global_load_dword v5, v[2:3], off offset:4
	s_cbranch_execz .LBB136_7
	s_branch .LBB136_8
.LBB136_6:                              ;   in Loop: Header=BB136_4 Depth=1
                                        ; implicit-def: $vgpr5
.LBB136_7:                              ;   in Loop: Header=BB136_4 Depth=1
	global_load_dword v4, v[2:3], off offset:4
	s_waitcnt vmcnt(0)
	v_xor_b32_e32 v5, 0x80000000, v4
.LBB136_8:                              ;   in Loop: Header=BB136_4 Depth=1
	global_load_dword v4, v[2:3], off
	v_add_co_u32_e64 v6, s[2:3], s38, v2
	s_and_b64 vcc, exec, s[0:1]
	v_addc_co_u32_e64 v7, s[2:3], v3, v9, s[2:3]
	s_waitcnt vmcnt(0)
	ds_write_b64 v13, v[4:5]
	s_cbranch_vccnz .LBB136_10
; %bb.9:                                ;   in Loop: Header=BB136_4 Depth=1
	global_load_dword v5, v[6:7], off offset:4
	s_cbranch_execz .LBB136_11
	s_branch .LBB136_12
.LBB136_10:                             ;   in Loop: Header=BB136_4 Depth=1
                                        ; implicit-def: $vgpr5
.LBB136_11:                             ;   in Loop: Header=BB136_4 Depth=1
	global_load_dword v4, v[6:7], off offset:4
	s_waitcnt vmcnt(0)
	v_xor_b32_e32 v5, 0x80000000, v4
.LBB136_12:                             ;   in Loop: Header=BB136_4 Depth=1
	global_load_dword v4, v[6:7], off
	v_add_co_u32_e64 v6, s[2:3], s36, v2
	s_and_b64 vcc, exec, s[0:1]
	v_addc_co_u32_e64 v7, s[2:3], v3, v10, s[2:3]
	s_waitcnt vmcnt(0)
	ds_write_b64 v13, v[4:5] offset:32
	s_cbranch_vccnz .LBB136_14
; %bb.13:                               ;   in Loop: Header=BB136_4 Depth=1
	global_load_dword v5, v[6:7], off offset:4
	s_cbranch_execz .LBB136_15
	s_branch .LBB136_16
.LBB136_14:                             ;   in Loop: Header=BB136_4 Depth=1
                                        ; implicit-def: $vgpr5
.LBB136_15:                             ;   in Loop: Header=BB136_4 Depth=1
	global_load_dword v4, v[6:7], off offset:4
	s_waitcnt vmcnt(0)
	v_xor_b32_e32 v5, 0x80000000, v4
.LBB136_16:                             ;   in Loop: Header=BB136_4 Depth=1
	global_load_dword v4, v[6:7], off
	v_add_co_u32_e64 v6, s[2:3], s18, v2
	s_and_b64 vcc, exec, s[0:1]
	v_addc_co_u32_e64 v7, s[2:3], v3, v11, s[2:3]
	s_waitcnt vmcnt(0)
	ds_write_b64 v13, v[4:5] offset:64
	s_cbranch_vccnz .LBB136_18
; %bb.17:                               ;   in Loop: Header=BB136_4 Depth=1
	global_load_dword v5, v[6:7], off offset:4
	s_cbranch_execnz .LBB136_3
	s_branch .LBB136_19
.LBB136_18:                             ;   in Loop: Header=BB136_4 Depth=1
                                        ; implicit-def: $vgpr5
.LBB136_19:                             ;   in Loop: Header=BB136_4 Depth=1
	global_load_dword v4, v[6:7], off offset:4
	s_waitcnt vmcnt(0)
	v_xor_b32_e32 v5, 0x80000000, v4
	s_branch .LBB136_3
.LBB136_20:
	s_and_b32 s18, s33, 3
	s_cmp_eq_u32 s18, 0
	s_cbranch_scc1 .LBB136_27
; %bb.21:
	s_lshl_b64 s[2:3], s[12:13], 3
	s_mul_i32 s12, s29, s42
	s_mul_hi_u32 s13, s28, s42
	s_add_i32 s13, s13, s12
	s_mul_i32 s12, s28, s42
	s_lshl_b64 s[12:13], s[12:13], 3
	s_add_u32 s12, s2, s12
	s_addc_u32 s13, s3, s13
	s_lshl_b64 s[2:3], s[22:23], 3
	s_add_u32 s2, s12, s2
	s_addc_u32 s3, s13, s3
	s_add_u32 s2, s20, s2
	s_addc_u32 s3, s21, s3
	v_mov_b32_e32 v2, s3
	v_add_co_u32_e32 v3, vcc, s2, v8
	v_addc_co_u32_e32 v4, vcc, 0, v2, vcc
	v_add_co_u32_e32 v2, vcc, 4, v3
	s_lshl_b64 s[2:3], s[28:29], 3
	v_lshl_or_b32 v6, s42, 5, v8
	v_addc_co_u32_e32 v3, vcc, 0, v4, vcc
	v_mov_b32_e32 v7, s3
	s_branch .LBB136_23
.LBB136_22:                             ;   in Loop: Header=BB136_23 Depth=1
	global_load_dword v4, v[2:3], off offset:-4
	s_add_i32 s18, s18, -1
	v_add_co_u32_e32 v2, vcc, s2, v2
	s_cmp_lg_u32 s18, 0
	v_addc_co_u32_e32 v3, vcc, v3, v7, vcc
	s_waitcnt vmcnt(0)
	ds_write_b64 v6, v[4:5]
	v_add_u32_e32 v6, 32, v6
	s_cbranch_scc0 .LBB136_27
.LBB136_23:                             ; =>This Inner Loop Header: Depth=1
	s_and_b64 vcc, exec, s[0:1]
	s_cbranch_vccnz .LBB136_25
; %bb.24:                               ;   in Loop: Header=BB136_23 Depth=1
	global_load_dword v5, v[2:3], off
	s_cbranch_execnz .LBB136_22
	s_branch .LBB136_26
.LBB136_25:                             ;   in Loop: Header=BB136_23 Depth=1
                                        ; implicit-def: $vgpr5
.LBB136_26:                             ;   in Loop: Header=BB136_23 Depth=1
	global_load_dword v4, v[2:3], off
	s_waitcnt vmcnt(0)
	v_xor_b32_e32 v5, 0x80000000, v4
	s_branch .LBB136_22
.LBB136_27:
	v_mul_u32_u24_e32 v2, 5, v1
	s_cmpk_lg_i32 s17, 0x84
	v_lshlrev_b32_e32 v6, 3, v2
	s_mov_b64 s[0:1], -1
	s_cbranch_scc0 .LBB136_33
; %bb.28:
	ds_read_b64 v[2:3], v6
	s_mov_b32 s0, 0
	s_waitcnt lgkmcnt(0)
	v_cmp_gt_f32_e32 vcc, 0, v3
	v_cndmask_b32_e64 v4, v3, -v3, vcc
	v_cmp_gt_f32_e32 vcc, 0, v2
	v_cndmask_b32_e64 v5, v2, -v2, vcc
	v_cmp_ngt_f32_e32 vcc, v5, v4
                                        ; implicit-def: $vgpr4_vgpr5
	s_and_saveexec_b64 s[2:3], vcc
	s_xor_b64 s[2:3], exec, s[2:3]
	s_cbranch_execz .LBB136_30
; %bb.29:
	v_div_scale_f32 v4, s[12:13], v3, v3, v2
	v_rcp_f32_e32 v5, v4
	v_div_scale_f32 v7, vcc, v2, v3, v2
	s_mov_b32 s1, -1.0
	v_fma_f32 v8, -v4, v5, 1.0
	v_fmac_f32_e32 v5, v8, v5
	v_mul_f32_e32 v8, v7, v5
	v_fma_f32 v9, -v4, v8, v7
	v_fmac_f32_e32 v8, v9, v5
	v_fma_f32 v4, -v4, v8, v7
	v_div_fmas_f32 v4, v4, v5, v8
	v_div_fixup_f32 v4, v4, v3, v2
	v_fmac_f32_e32 v3, v2, v4
	v_div_scale_f32 v2, s[12:13], v3, v3, 1.0
	v_rcp_f32_e32 v5, v2
	v_fma_f32 v7, -v2, v5, 1.0
	v_fmac_f32_e32 v5, v7, v5
	v_div_scale_f32 v7, vcc, 1.0, v3, 1.0
	v_mul_f32_e32 v8, v7, v5
	v_fma_f32 v9, -v2, v8, v7
	v_fmac_f32_e32 v8, v9, v5
	v_fma_f32 v2, -v2, v8, v7
	v_div_fmas_f32 v2, v2, v5, v8
	v_mul_f32_e32 v5, 0, v4
	v_div_fixup_f32 v2, v2, v3, 1.0
	v_pk_add_f32 v[4:5], v[4:5], s[0:1]
	v_pk_mul_f32 v[4:5], v[4:5], v[2:3] op_sel_hi:[1,0]
                                        ; implicit-def: $vgpr2_vgpr3
.LBB136_30:
	s_andn2_saveexec_b64 s[0:1], s[2:3]
	s_cbranch_execz .LBB136_32
; %bb.31:
	v_div_scale_f32 v4, s[2:3], v2, v2, v3
	v_rcp_f32_e32 v5, v4
	v_div_scale_f32 v7, vcc, v3, v2, v3
	v_fma_f32 v8, -v4, v5, 1.0
	v_fmac_f32_e32 v5, v8, v5
	v_mul_f32_e32 v8, v7, v5
	v_fma_f32 v9, -v4, v8, v7
	v_fmac_f32_e32 v8, v9, v5
	v_fma_f32 v4, -v4, v8, v7
	v_div_fmas_f32 v4, v4, v5, v8
	v_div_fixup_f32 v5, v4, v2, v3
	v_fmac_f32_e32 v2, v3, v5
	v_div_scale_f32 v3, s[2:3], v2, v2, 1.0
	v_rcp_f32_e32 v4, v3
	s_mov_b32 s2, 1.0
	s_mov_b32 s3, 0
	v_fma_f32 v7, -v3, v4, 1.0
	v_fmac_f32_e32 v4, v7, v4
	v_div_scale_f32 v7, vcc, 1.0, v2, 1.0
	v_mul_f32_e32 v8, v7, v4
	v_fma_f32 v9, -v3, v8, v7
	v_fmac_f32_e32 v8, v9, v4
	v_fma_f32 v3, -v3, v8, v7
	v_div_fmas_f32 v3, v3, v4, v8
	v_mul_f32_e32 v4, 0, v5
	v_pk_add_f32 v[8:9], v[4:5], s[2:3]
	v_pk_add_f32 v[4:5], v[4:5], s[2:3] neg_lo:[1,0] neg_hi:[1,0]
	v_div_fixup_f32 v2, v3, v2, 1.0
	v_mov_b32_e32 v9, v5
	v_pk_mul_f32 v[4:5], v[8:9], v[2:3] op_sel_hi:[1,0]
.LBB136_32:
	s_or_b64 exec, exec, s[0:1]
	s_mov_b64 s[0:1], 0
	ds_write_b64 v6, v[4:5]
.LBB136_33:
	s_and_b64 vcc, exec, s[0:1]
	s_cbranch_vccz .LBB136_35
; %bb.34:
	v_mov_b32_e32 v2, 1.0
	v_mov_b32_e32 v3, 0
	ds_write_b64 v6, v[2:3]
.LBB136_35:
	s_or_b64 exec, exec, s[26:27]
	s_lshl_b32 s0, s8, 2
	s_add_i32 s41, s41, -1
	s_sub_i32 s1, s19, s0
	s_cmp_ge_u32 s8, s41
	s_cselect_b32 s1, s1, 4
	v_cmp_gt_i32_e32 vcc, s1, v1
	s_waitcnt lgkmcnt(0)
	; wave barrier
	s_waitcnt lgkmcnt(0)
	s_and_saveexec_b64 s[2:3], vcc
	s_cbranch_execz .LBB136_103
; %bb.36:
	s_load_dwordx2 s[2:3], s[4:5], 0x4
	s_load_dword s1, s[6:7], 0x50
	s_load_dwordx2 s[12:13], s[6:7], 0x58
	v_bfe_u32 v2, v0, 10, 10
	v_bfe_u32 v0, v0, 20, 10
	s_waitcnt lgkmcnt(0)
	s_lshr_b32 s2, s2, 16
	s_mul_i32 s2, s2, s3
	v_mul_u32_u24_e32 v2, s3, v2
	v_mul_u32_u24_e32 v3, s2, v1
	s_mul_i32 s2, s9, s13
	s_mul_hi_u32 s3, s9, s12
	s_add_i32 s3, s3, s2
	s_mul_i32 s2, s9, s12
	s_lshl_b64 s[2:3], s[2:3], 3
	s_add_u32 s6, s14, s2
	v_add3_u32 v13, v3, v2, v0
	s_addc_u32 s7, s15, s3
	s_lshl_b64 s[4:5], s[24:25], 3
	v_add_u32_e32 v0, s0, v1
	s_add_u32 s6, s6, s4
	v_mad_i64_i32 v[0:1], s[0:1], s1, v0, 0
	s_addc_u32 s7, s7, s5
	v_lshlrev_b64 v[0:1], 3, v[0:1]
	v_mov_b32_e32 v2, 0x80
	v_mov_b32_e32 v3, s7
	v_add_co_u32_e32 v11, vcc, s6, v0
	v_lshl_add_u32 v10, v13, 5, v2
	v_addc_co_u32_e32 v12, vcc, v3, v1, vcc
	s_cmpk_eq_i32 s16, 0x6f
	s_mov_b64 s[0:1], -1
	s_cbranch_scc1 .LBB136_70
; %bb.37:
	s_add_u32 s0, s14, s4
	s_addc_u32 s1, s15, s5
	s_add_u32 s0, s0, s2
	s_addc_u32 s1, s1, s3
	v_mov_b32_e32 v3, s1
	v_add_co_u32_e32 v4, vcc, s0, v0
	v_addc_co_u32_e32 v3, vcc, v3, v1, vcc
	v_add_co_u32_e32 v14, vcc, 4, v4
	s_lshl_b32 s28, s33, 3
	s_mov_b32 s13, 0
	s_mov_b32 s6, s10
	;; [unrolled: 1-line block ×5, first 2 shown]
	v_addc_co_u32_e32 v15, vcc, 0, v3, vcc
	v_lshl_add_u32 v16, v13, 5, v2
	s_add_i32 s28, s28, -8
	s_mov_b32 s16, s13
	s_mov_b32 s18, s40
	s_branch .LBB136_39
.LBB136_38:                             ;   in Loop: Header=BB136_39 Depth=1
	s_cmp_lt_i32 s18, 0
	s_cselect_b64 s[0:1], -1, 0
	s_add_i32 s16, s16, 1
	s_cmp_eq_u32 s16, 3
	s_cselect_b64 s[20:21], -1, 0
	s_or_b64 s[0:1], s[0:1], s[20:21]
	s_andn2_b64 vcc, exec, s[0:1]
	s_cbranch_vccz .LBB136_69
.LBB136_39:                             ; =>This Loop Header: Depth=1
                                        ;     Child Loop BB136_42 Depth 2
                                        ;       Child Loop BB136_44 Depth 3
                                        ;       Child Loop BB136_48 Depth 3
                                        ;       Child Loop BB136_52 Depth 3
                                        ;         Child Loop BB136_54 Depth 4
                                        ;         Child Loop BB136_60 Depth 4
                                        ;       Child Loop BB136_63 Depth 3
                                        ;         Child Loop BB136_65 Depth 4
	s_mov_b32 s17, s13
	s_lshl_b64 s[0:1], s[16:17], 2
	s_getpc_b64 s[20:21]
	s_add_u32 s20, s20, __const._ZL30rocblas_trsm_small_left_deviceILi4ELi4ELb1E19rocblas_complex_numIfES1_PKS1_PS1_Ev13rocblas_fill_18rocblas_operation_17rocblas_diagonal_iiT3_T4_lilT5_lili.step_sizes@rel32@lo+4
	s_addc_u32 s21, s21, __const._ZL30rocblas_trsm_small_left_deviceILi4ELi4ELb1E19rocblas_complex_numIfES1_PKS1_PS1_Ev13rocblas_fill_18rocblas_operation_17rocblas_diagonal_iiT3_T4_lilT5_lili.step_sizes@rel32@hi+12
	s_add_u32 s0, s0, s20
	s_addc_u32 s1, s1, s21
	s_load_dword s17, s[0:1], 0x0
	s_waitcnt lgkmcnt(0)
	s_add_i32 s29, s17, -1
	s_cmp_lt_i32 s18, s29
	s_cbranch_scc1 .LBB136_38
; %bb.40:                               ;   in Loop: Header=BB136_39 Depth=1
	s_max_i32 s30, s17, 1
	s_add_i32 s0, s16, -1
	s_cmp_gt_u32 s0, 1
	s_cselect_b64 s[20:21], -1, 0
	s_and_b32 s31, s30, 0x7ffffffe
	s_cmp_lg_u32 s30, s31
	s_cselect_b64 s[22:23], -1, 0
	s_lshl_b32 s0, s18, 5
	s_add_i32 s34, s28, s0
	s_lshl_b32 s0, s17, 5
	s_sub_i32 s35, 0, s0
	s_mul_i32 s36, s18, 40
	s_mul_i32 s37, s17, 0xffffffd8
	s_branch .LBB136_42
.LBB136_41:                             ;   in Loop: Header=BB136_42 Depth=2
	s_sub_i32 s18, s18, s17
	s_add_i32 s34, s34, s35
	s_add_i32 s36, s36, s37
	s_cmp_lt_i32 s18, s29
	s_cbranch_scc1 .LBB136_38
.LBB136_42:                             ;   Parent Loop BB136_39 Depth=1
                                        ; =>  This Loop Header: Depth=2
                                        ;       Child Loop BB136_44 Depth 3
                                        ;       Child Loop BB136_48 Depth 3
	;; [unrolled: 1-line block ×3, first 2 shown]
                                        ;         Child Loop BB136_54 Depth 4
                                        ;         Child Loop BB136_60 Depth 4
                                        ;       Child Loop BB136_63 Depth 3
                                        ;         Child Loop BB136_65 Depth 4
	s_and_b64 vcc, exec, s[20:21]
	s_cbranch_vccz .LBB136_46
; %bb.43:                               ;   in Loop: Header=BB136_42 Depth=2
	s_mov_b32 s19, s18
	s_mov_b32 s24, 1
	s_mov_b32 s25, 0
	s_mov_b32 s26, s31
	v_mov_b32_e32 v2, v10
.LBB136_44:                             ;   Parent Loop BB136_39 Depth=1
                                        ;     Parent Loop BB136_42 Depth=2
                                        ; =>    This Inner Loop Header: Depth=3
	s_sub_i32 s0, s18, s25
	s_sub_i32 s38, s19, s24
	s_ashr_i32 s1, s0, 31
	s_ashr_i32 s39, s38, 31
	s_lshl_b64 s[0:1], s[0:1], 3
	s_lshl_b64 s[38:39], s[38:39], 3
	v_mov_b32_e32 v3, s1
	v_add_co_u32_e64 v6, s[0:1], s0, v11
	v_mov_b32_e32 v5, s39
	v_add_co_u32_e32 v4, vcc, s38, v11
	v_addc_co_u32_e64 v7, s[0:1], v12, v3, s[0:1]
	v_addc_co_u32_e32 v5, vcc, v12, v5, vcc
	global_load_dwordx2 v[8:9], v[6:7], off
	global_load_dwordx2 v[18:19], v[4:5], off
	s_add_i32 s25, s25, 2
	s_add_i32 s24, s24, 2
	s_add_i32 s26, s26, -2
	s_mov_b32 s12, s31
	s_mov_b64 s[0:1], s[22:23]
	s_cmp_lg_u32 s26, 0
	s_waitcnt vmcnt(1)
	v_mov_b32_e32 v4, v8
	s_waitcnt vmcnt(0)
	v_mov_b32_e32 v5, v18
	v_mov_b32_e32 v18, v9
	v_pk_mul_f32 v[6:7], v[18:19], s[8:9]
	v_pk_mul_f32 v[8:9], v[18:19], s[6:7]
	v_pk_fma_f32 v[18:19], v[4:5], s[6:7], v[6:7] neg_lo:[0,0,1] neg_hi:[0,0,1]
	v_pk_fma_f32 v[6:7], v[4:5], s[8:9], v[8:9]
	v_mov_b32_e32 v4, v18
	v_mov_b32_e32 v5, v6
	;; [unrolled: 1-line block ×3, first 2 shown]
	ds_write_b128 v2, v[4:7]
	v_add_u32_e32 v2, 16, v2
	s_cbranch_scc1 .LBB136_44
; %bb.45:                               ;   in Loop: Header=BB136_42 Depth=2
	s_ashr_i32 s19, s18, 31
	s_and_b64 vcc, exec, s[0:1]
	s_cbranch_vccnz .LBB136_47
	s_branch .LBB136_49
.LBB136_46:                             ;   in Loop: Header=BB136_42 Depth=2
	s_mov_b32 s12, 0
	s_ashr_i32 s19, s18, 31
	s_cbranch_execz .LBB136_49
.LBB136_47:                             ;   in Loop: Header=BB136_42 Depth=2
	s_lshl_b64 s[24:25], s[18:19], 3
	s_sub_i32 s0, s30, s12
	s_lshl_b64 s[26:27], s[12:13], 3
	s_sub_u32 s1, s24, s26
	s_subb_u32 s24, s25, s27
	v_mov_b32_e32 v3, s24
	v_add_co_u32_e32 v2, vcc, s1, v14
	v_addc_co_u32_e32 v3, vcc, v15, v3, vcc
	v_lshl_add_u32 v4, s12, 3, v16
.LBB136_48:                             ;   Parent Loop BB136_39 Depth=1
                                        ;     Parent Loop BB136_42 Depth=2
                                        ; =>    This Inner Loop Header: Depth=3
	global_load_dwordx2 v[6:7], v[2:3], off offset:-4
	s_add_i32 s0, s0, -1
	v_add_co_u32_e32 v2, vcc, -8, v2
	v_addc_co_u32_e32 v3, vcc, -1, v3, vcc
	s_cmp_eq_u32 s0, 0
	s_waitcnt vmcnt(0)
	v_mul_f32_e32 v5, s11, v7
	v_mul_f32_e32 v9, s10, v7
	v_fma_f32 v8, v6, s10, -v5
	v_fmac_f32_e32 v9, s11, v6
	ds_write_b64 v4, v[8:9]
	v_add_u32_e32 v4, 8, v4
	s_cbranch_scc0 .LBB136_48
.LBB136_49:                             ;   in Loop: Header=BB136_42 Depth=2
	s_cmp_le_i32 s40, s18
	s_cbranch_scc1 .LBB136_61
; %bb.50:                               ;   in Loop: Header=BB136_42 Depth=2
	s_mov_b32 s12, s18
	s_mov_b32 s38, s18
	;; [unrolled: 1-line block ×4, first 2 shown]
	s_branch .LBB136_52
.LBB136_51:                             ;   in Loop: Header=BB136_52 Depth=3
	s_add_i32 s0, s0, -1
	s_add_i32 s39, s39, -8
	s_cmp_le_i32 s0, s18
	s_cbranch_scc1 .LBB136_61
.LBB136_52:                             ;   Parent Loop BB136_39 Depth=1
                                        ;     Parent Loop BB136_42 Depth=2
                                        ; =>    This Loop Header: Depth=3
                                        ;         Child Loop BB136_54 Depth 4
                                        ;         Child Loop BB136_60 Depth 4
	s_ashr_i32 s1, s0, 31
	s_lshl_b64 s[24:25], s[0:1], 3
	s_waitcnt vmcnt(0)
	v_mov_b32_e32 v3, s25
	v_add_co_u32_e32 v2, vcc, s24, v11
	v_addc_co_u32_e32 v3, vcc, v12, v3, vcc
	global_load_dwordx2 v[2:3], v[2:3], off
	s_and_b64 vcc, exec, s[20:21]
	s_cbranch_vccz .LBB136_56
; %bb.53:                               ;   in Loop: Header=BB136_52 Depth=3
	s_mov_b32 s1, s0
	s_waitcnt vmcnt(0)
	v_mov_b32_e32 v6, v2
	v_mov_b32_e32 v7, v2
	;; [unrolled: 1-line block ×5, first 2 shown]
	s_mov_b32 s24, 1
	s_mov_b32 s25, 0
	;; [unrolled: 1-line block ×3, first 2 shown]
	v_mov_b32_e32 v5, v10
.LBB136_54:                             ;   Parent Loop BB136_39 Depth=1
                                        ;     Parent Loop BB136_42 Depth=2
                                        ;       Parent Loop BB136_52 Depth=3
                                        ; =>      This Inner Loop Header: Depth=4
	s_sub_i32 s27, s38, s24
	s_sub_i32 s41, s12, s25
	s_lshl_b32 s41, s41, 2
	s_lshl_b32 s27, s27, 2
	s_add_i32 s27, s27, s1
	s_add_i32 s41, s41, s0
	s_lshl_b32 s41, s41, 3
	s_lshl_b32 s27, s27, 3
	v_mov_b32_e32 v17, s41
	v_mov_b32_e32 v24, s27
	ds_read_b128 v[18:21], v5
	ds_read_b64 v[22:23], v17
	ds_read_b64 v[24:25], v24
	s_add_i32 s25, s25, 2
	s_add_i32 s24, s24, 2
	s_add_i32 s26, s26, -2
	s_waitcnt lgkmcnt(2)
	v_mov_b32_e32 v27, v20
	v_mov_b32_e32 v20, v19
	s_waitcnt lgkmcnt(0)
	v_mov_b32_e32 v19, v24
	v_mov_b32_e32 v24, v23
	;; [unrolled: 1-line block ×4, first 2 shown]
	v_pk_mul_f32 v[22:23], v[24:25], v[8:9]
	v_pk_mul_f32 v[24:25], v[24:25], v[6:7]
	v_pk_fma_f32 v[22:23], v[18:19], v[6:7], v[22:23] neg_lo:[0,0,1] neg_hi:[0,0,1]
	v_pk_fma_f32 v[18:19], v[18:19], v[8:9], v[24:25]
	v_pk_add_f32 v[22:23], v[26:27], v[22:23] neg_lo:[0,1] neg_hi:[0,1]
	v_pk_add_f32 v[20:21], v[20:21], v[18:19] neg_lo:[0,1] neg_hi:[0,1]
	v_mov_b32_e32 v18, v22
	v_mov_b32_e32 v19, v20
	;; [unrolled: 1-line block ×3, first 2 shown]
	s_cmp_lg_u32 s26, 0
	ds_write_b128 v5, v[18:21]
	v_add_u32_e32 v5, 16, v5
	s_cbranch_scc1 .LBB136_54
; %bb.55:                               ;   in Loop: Header=BB136_52 Depth=3
	s_mov_b64 s[24:25], s[22:23]
	s_mov_b32 s26, s31
	s_branch .LBB136_58
.LBB136_56:                             ;   in Loop: Header=BB136_52 Depth=3
	s_mov_b64 s[24:25], 0
                                        ; implicit-def: $vgpr4_vgpr5
	s_mov_b32 s26, s31
	s_cbranch_execz .LBB136_58
; %bb.57:                               ;   in Loop: Header=BB136_52 Depth=3
	s_waitcnt vmcnt(0)
	v_mov_b32_e32 v4, v3
	s_mov_b64 s[24:25], -1
	s_mov_b32 s26, 0
.LBB136_58:                             ;   in Loop: Header=BB136_52 Depth=3
	s_andn2_b64 vcc, exec, s[24:25]
	s_cbranch_vccnz .LBB136_51
; %bb.59:                               ;   in Loop: Header=BB136_52 Depth=3
	s_lshl_b32 s24, s26, 5
	s_waitcnt vmcnt(0)
	v_mov_b32_e32 v5, v3
	v_mov_b32_e32 v3, v2
	s_sub_i32 s1, s30, s26
	s_sub_i32 s24, s39, s24
	v_lshl_add_u32 v6, s26, 3, v16
.LBB136_60:                             ;   Parent Loop BB136_39 Depth=1
                                        ;     Parent Loop BB136_42 Depth=2
                                        ;       Parent Loop BB136_52 Depth=3
                                        ; =>      This Inner Loop Header: Depth=4
	v_mov_b32_e32 v7, s24
	ds_read_b64 v[18:19], v7
	ds_read_b64 v[8:9], v6
	s_add_i32 s1, s1, -1
	s_sub_i32 s24, s24, 32
	s_cmp_eq_u32 s1, 0
	s_waitcnt lgkmcnt(1)
	v_pk_mul_f32 v[20:21], v[18:19], v[4:5]
	v_pk_fma_f32 v[22:23], v[18:19], v[2:3], v[20:21] op_sel:[0,0,1] op_sel_hi:[1,1,0] neg_lo:[0,0,1] neg_hi:[0,0,1]
	v_pk_fma_f32 v[18:19], v[18:19], v[2:3], v[20:21] op_sel:[0,0,1] op_sel_hi:[1,1,0]
	v_mov_b32_e32 v23, v19
	s_waitcnt lgkmcnt(0)
	v_pk_add_f32 v[8:9], v[8:9], v[22:23] neg_lo:[0,1] neg_hi:[0,1]
	ds_write_b64 v6, v[8:9]
	v_add_u32_e32 v6, 8, v6
	s_cbranch_scc0 .LBB136_60
	s_branch .LBB136_51
.LBB136_61:                             ;   in Loop: Header=BB136_42 Depth=2
	s_mov_b32 s12, 0
	s_mov_b32 s38, s36
	s_waitcnt vmcnt(0)
	s_branch .LBB136_63
.LBB136_62:                             ;   in Loop: Header=BB136_63 Depth=3
	s_mul_i32 s24, s24, 40
	v_mov_b32_e32 v5, s24
	ds_read_b64 v[6:7], v5
	s_lshl_b64 s[0:1], s[0:1], 3
	v_mov_b32_e32 v5, s1
	s_add_i32 s12, s12, 1
	s_sub_i32 s38, s38, 32
	s_waitcnt lgkmcnt(0)
	v_mul_f32_e32 v8, v7, v3
	v_mul_f32_e32 v9, v6, v3
	v_fma_f32 v8, v6, v2, -v8
	v_fmac_f32_e32 v9, v7, v2
	v_add_co_u32_e32 v2, vcc, s0, v11
	v_addc_co_u32_e32 v3, vcc, v12, v5, vcc
	s_cmp_eq_u32 s12, s30
	ds_write_b64 v4, v[8:9]
	global_store_dwordx2 v[2:3], v[8:9], off
	s_cbranch_scc1 .LBB136_41
.LBB136_63:                             ;   Parent Loop BB136_39 Depth=1
                                        ;     Parent Loop BB136_42 Depth=2
                                        ; =>    This Loop Header: Depth=3
                                        ;         Child Loop BB136_65 Depth 4
	s_cmp_lg_u32 s12, 0
	v_lshl_add_u32 v4, s12, 3, v10
	s_cbranch_scc0 .LBB136_67
; %bb.64:                               ;   in Loop: Header=BB136_63 Depth=3
	ds_read_b64 v[2:3], v4
	s_mov_b32 s0, 0
	v_mov_b32_e32 v5, v10
	s_mov_b32 s1, s38
.LBB136_65:                             ;   Parent Loop BB136_39 Depth=1
                                        ;     Parent Loop BB136_42 Depth=2
                                        ;       Parent Loop BB136_63 Depth=3
                                        ; =>      This Inner Loop Header: Depth=4
	v_mov_b32_e32 v8, s1
	ds_read_b64 v[6:7], v5
	ds_read_b64 v[8:9], v8
	s_add_i32 s0, s0, 1
	s_add_i32 s1, s1, -8
	v_add_u32_e32 v5, 8, v5
	s_cmp_ge_u32 s0, s12
	s_waitcnt lgkmcnt(0)
	v_pk_mul_f32 v[18:19], v[8:9], v[6:7] op_sel:[0,1]
	v_pk_fma_f32 v[20:21], v[8:9], v[6:7], v[18:19] op_sel:[0,0,1] op_sel_hi:[1,1,0] neg_lo:[0,0,1] neg_hi:[0,0,1]
	v_pk_fma_f32 v[6:7], v[8:9], v[6:7], v[18:19] op_sel:[0,0,1] op_sel_hi:[1,0,0]
	v_mov_b32_e32 v21, v7
	v_pk_add_f32 v[2:3], v[2:3], v[20:21] neg_lo:[0,1] neg_hi:[0,1]
	ds_write_b64 v4, v[2:3]
	s_cbranch_scc0 .LBB136_65
; %bb.66:                               ;   in Loop: Header=BB136_63 Depth=3
	s_sub_i32 s24, s18, s12
	s_ashr_i32 s25, s24, 31
	s_mov_b64 s[0:1], s[24:25]
	s_branch .LBB136_62
.LBB136_67:                             ;   in Loop: Header=BB136_63 Depth=3
                                        ; implicit-def: $vgpr2
                                        ; implicit-def: $sgpr24
                                        ; implicit-def: $sgpr0_sgpr1
	s_cbranch_execz .LBB136_62
; %bb.68:                               ;   in Loop: Header=BB136_63 Depth=3
	ds_read_b64 v[2:3], v10
	s_mov_b64 s[0:1], s[18:19]
	s_mov_b32 s24, s18
	s_branch .LBB136_62
.LBB136_69:
	s_mov_b64 s[0:1], 0
.LBB136_70:
	s_and_b64 vcc, exec, s[0:1]
	s_cbranch_vccz .LBB136_103
; %bb.71:
	s_add_u32 s0, s14, s4
	s_addc_u32 s1, s15, s5
	s_add_u32 s0, s0, s2
	s_addc_u32 s1, s1, s3
	v_mov_b32_e32 v2, s1
	v_add_co_u32_e32 v0, vcc, s0, v0
	v_addc_co_u32_e32 v1, vcc, v2, v1, vcc
	v_add_co_u32_e32 v8, vcc, 4, v0
	v_mov_b32_e32 v0, 0x80
	s_mov_b32 s3, 0
	s_mov_b32 s6, s10
	;; [unrolled: 1-line block ×5, first 2 shown]
	v_addc_co_u32_e32 v9, vcc, 0, v1, vcc
	v_lshl_add_u32 v13, v13, 5, v0
	s_mov_b32 s18, s3
	s_mov_b32 s4, s3
	s_branch .LBB136_73
.LBB136_72:                             ;   in Loop: Header=BB136_73 Depth=1
	s_cmp_ge_i32 s18, s33
	s_cselect_b64 s[0:1], -1, 0
	s_add_i32 s4, s4, 1
	s_cmp_eq_u32 s4, 3
	s_cselect_b64 s[12:13], -1, 0
	s_or_b64 s[0:1], s[0:1], s[12:13]
	s_and_b64 vcc, exec, s[0:1]
	s_cbranch_vccnz .LBB136_103
.LBB136_73:                             ; =>This Loop Header: Depth=1
                                        ;     Child Loop BB136_76 Depth 2
                                        ;       Child Loop BB136_78 Depth 3
                                        ;       Child Loop BB136_82 Depth 3
                                        ;       Child Loop BB136_86 Depth 3
                                        ;         Child Loop BB136_88 Depth 4
                                        ;         Child Loop BB136_94 Depth 4
                                        ;       Child Loop BB136_97 Depth 3
                                        ;         Child Loop BB136_99 Depth 4
	s_mov_b32 s5, s3
	s_lshl_b64 s[0:1], s[4:5], 2
	s_getpc_b64 s[12:13]
	s_add_u32 s12, s12, __const._ZL30rocblas_trsm_small_left_deviceILi4ELi4ELb1E19rocblas_complex_numIfES1_PKS1_PS1_Ev13rocblas_fill_18rocblas_operation_17rocblas_diagonal_iiT3_T4_lilT5_lili.step_sizes@rel32@lo+4
	s_addc_u32 s13, s13, __const._ZL30rocblas_trsm_small_left_deviceILi4ELi4ELb1E19rocblas_complex_numIfES1_PKS1_PS1_Ev13rocblas_fill_18rocblas_operation_17rocblas_diagonal_iiT3_T4_lilT5_lili.step_sizes@rel32@hi+12
	s_add_u32 s0, s0, s12
	s_addc_u32 s1, s1, s13
	s_load_dword s5, s[0:1], 0x0
	s_waitcnt lgkmcnt(0)
	s_add_i32 s19, s5, -1
	s_add_i32 s0, s19, s18
	s_cmp_ge_i32 s0, s33
	s_cbranch_scc1 .LBB136_72
; %bb.74:                               ;   in Loop: Header=BB136_73 Depth=1
	s_max_i32 s20, s5, 1
	s_add_i32 s0, s4, -1
	s_cmp_gt_u32 s0, 1
	s_cselect_b64 s[12:13], -1, 0
	s_and_b32 s21, s20, 0x7ffffffe
	s_cmp_lg_u32 s20, s21
	s_cselect_b64 s[14:15], -1, 0
	s_ashr_i32 s22, s18, 31
	s_ashr_i32 s23, s5, 31
	s_mul_i32 s24, s18, 40
	s_mul_i32 s25, s5, 40
	s_branch .LBB136_76
.LBB136_75:                             ;   in Loop: Header=BB136_76 Depth=2
	s_add_u32 s18, s18, s5
	s_addc_u32 s22, s22, s23
	s_add_i32 s0, s19, s18
	s_add_i32 s24, s24, s25
	s_cmp_ge_i32 s0, s33
	s_cbranch_scc1 .LBB136_72
.LBB136_76:                             ;   Parent Loop BB136_73 Depth=1
                                        ; =>  This Loop Header: Depth=2
                                        ;       Child Loop BB136_78 Depth 3
                                        ;       Child Loop BB136_82 Depth 3
	;; [unrolled: 1-line block ×3, first 2 shown]
                                        ;         Child Loop BB136_88 Depth 4
                                        ;         Child Loop BB136_94 Depth 4
                                        ;       Child Loop BB136_97 Depth 3
                                        ;         Child Loop BB136_99 Depth 4
	s_and_b64 vcc, exec, s[12:13]
	s_cbranch_vccz .LBB136_80
; %bb.77:                               ;   in Loop: Header=BB136_76 Depth=2
	s_mov_b32 s2, s18
	s_mov_b32 s16, s18
	;; [unrolled: 1-line block ×5, first 2 shown]
	v_mov_b32_e32 v0, v10
.LBB136_78:                             ;   Parent Loop BB136_73 Depth=1
                                        ;     Parent Loop BB136_76 Depth=2
                                        ; =>    This Inner Loop Header: Depth=3
	s_add_i32 s0, s26, s2
	s_add_i32 s28, s17, s16
	s_ashr_i32 s1, s0, 31
	s_ashr_i32 s29, s28, 31
	s_lshl_b64 s[0:1], s[0:1], 3
	s_lshl_b64 s[28:29], s[28:29], 3
	v_mov_b32_e32 v1, s1
	v_add_co_u32_e64 v4, s[0:1], s0, v11
	v_mov_b32_e32 v3, s29
	v_add_co_u32_e32 v2, vcc, s28, v11
	v_addc_co_u32_e64 v5, s[0:1], v12, v1, s[0:1]
	v_addc_co_u32_e32 v3, vcc, v12, v3, vcc
	global_load_dwordx2 v[6:7], v[4:5], off
	global_load_dwordx2 v[14:15], v[2:3], off
	s_add_i32 s26, s26, 2
	s_add_i32 s17, s17, 2
	s_add_i32 s27, s27, -2
	s_mov_b32 s28, s21
	s_mov_b64 s[0:1], s[14:15]
	s_cmp_lg_u32 s27, 0
	s_waitcnt vmcnt(1)
	v_mov_b32_e32 v2, v6
	s_waitcnt vmcnt(0)
	v_mov_b32_e32 v3, v14
	v_mov_b32_e32 v14, v7
	v_pk_mul_f32 v[4:5], v[14:15], s[8:9]
	v_pk_mul_f32 v[6:7], v[14:15], s[6:7]
	v_pk_fma_f32 v[14:15], v[2:3], s[6:7], v[4:5] neg_lo:[0,0,1] neg_hi:[0,0,1]
	v_pk_fma_f32 v[4:5], v[2:3], s[8:9], v[6:7]
	v_mov_b32_e32 v2, v14
	v_mov_b32_e32 v3, v4
	v_mov_b32_e32 v4, v15
	ds_write_b128 v0, v[2:5]
	v_add_u32_e32 v0, 16, v0
	s_cbranch_scc1 .LBB136_78
; %bb.79:                               ;   in Loop: Header=BB136_76 Depth=2
	s_and_b64 vcc, exec, s[0:1]
	s_cbranch_vccnz .LBB136_81
	s_branch .LBB136_83
.LBB136_80:                             ;   in Loop: Header=BB136_76 Depth=2
	s_mov_b32 s28, 0
	s_cbranch_execz .LBB136_83
.LBB136_81:                             ;   in Loop: Header=BB136_76 Depth=2
	s_sub_i32 s0, s20, s28
	s_add_u32 s16, s18, s28
	s_addc_u32 s17, s22, 0
	s_lshl_b64 s[16:17], s[16:17], 3
	v_mov_b32_e32 v1, s17
	v_add_co_u32_e32 v0, vcc, s16, v8
	v_addc_co_u32_e32 v1, vcc, v9, v1, vcc
	v_lshl_add_u32 v2, s28, 3, v13
.LBB136_82:                             ;   Parent Loop BB136_73 Depth=1
                                        ;     Parent Loop BB136_76 Depth=2
                                        ; =>    This Inner Loop Header: Depth=3
	global_load_dwordx2 v[4:5], v[0:1], off offset:-4
	s_add_i32 s0, s0, -1
	v_add_co_u32_e32 v0, vcc, 8, v0
	v_addc_co_u32_e32 v1, vcc, 0, v1, vcc
	s_cmp_eq_u32 s0, 0
	s_waitcnt vmcnt(0)
	v_mul_f32_e32 v3, s11, v5
	v_mul_f32_e32 v7, s10, v5
	v_fma_f32 v6, v4, s10, -v3
	v_fmac_f32_e32 v7, s11, v4
	ds_write_b64 v2, v[6:7]
	v_add_u32_e32 v2, 8, v2
	s_cbranch_scc0 .LBB136_82
.LBB136_83:                             ;   in Loop: Header=BB136_76 Depth=2
	s_cmp_lt_i32 s18, 1
	s_cbranch_scc1 .LBB136_95
; %bb.84:                               ;   in Loop: Header=BB136_76 Depth=2
	s_mov_b32 s2, 0
	s_mov_b32 s26, s18
	s_branch .LBB136_86
.LBB136_85:                             ;   in Loop: Header=BB136_86 Depth=3
	s_add_i32 s2, s2, 1
	s_add_i32 s26, s26, 4
	s_cmp_ge_i32 s2, s18
	s_cbranch_scc1 .LBB136_95
.LBB136_86:                             ;   Parent Loop BB136_73 Depth=1
                                        ;     Parent Loop BB136_76 Depth=2
                                        ; =>    This Loop Header: Depth=3
                                        ;         Child Loop BB136_88 Depth 4
                                        ;         Child Loop BB136_94 Depth 4
	s_lshl_b64 s[0:1], s[2:3], 3
	s_waitcnt vmcnt(0)
	v_mov_b32_e32 v1, s1
	v_add_co_u32_e32 v0, vcc, s0, v11
	v_addc_co_u32_e32 v1, vcc, v12, v1, vcc
	global_load_dwordx2 v[0:1], v[0:1], off
	s_and_b64 vcc, exec, s[12:13]
	s_cbranch_vccz .LBB136_90
; %bb.87:                               ;   in Loop: Header=BB136_86 Depth=3
	s_lshl_b32 s0, s2, 2
	s_add_i32 s0, s0, s18
	s_mov_b32 s1, s0
	s_waitcnt vmcnt(0)
	v_mov_b32_e32 v4, v0
	v_mov_b32_e32 v5, v0
	v_mov_b32_e32 v2, v1
	v_mov_b32_e32 v6, v1
	v_mov_b32_e32 v7, v1
	s_mov_b32 s16, 1
	s_mov_b32 s17, 0
	;; [unrolled: 1-line block ×3, first 2 shown]
	v_mov_b32_e32 v3, v10
.LBB136_88:                             ;   Parent Loop BB136_73 Depth=1
                                        ;     Parent Loop BB136_76 Depth=2
                                        ;       Parent Loop BB136_86 Depth=3
                                        ; =>      This Inner Loop Header: Depth=4
	s_add_i32 s28, s1, s16
	s_add_i32 s29, s0, s17
	s_lshl_b32 s29, s29, 3
	s_lshl_b32 s28, s28, 3
	v_mov_b32_e32 v18, s29
	v_mov_b32_e32 v20, s28
	ds_read_b128 v[14:17], v3
	ds_read_b64 v[18:19], v18
	ds_read_b64 v[20:21], v20
	s_add_i32 s17, s17, 2
	s_add_i32 s16, s16, 2
	s_add_i32 s27, s27, -2
	s_waitcnt lgkmcnt(2)
	v_mov_b32_e32 v23, v16
	v_mov_b32_e32 v16, v15
	s_waitcnt lgkmcnt(0)
	v_mov_b32_e32 v15, v20
	v_mov_b32_e32 v20, v19
	v_mov_b32_e32 v22, v14
	v_mov_b32_e32 v14, v18
	v_pk_mul_f32 v[18:19], v[20:21], v[6:7]
	v_pk_mul_f32 v[20:21], v[20:21], v[4:5]
	v_pk_fma_f32 v[18:19], v[14:15], v[4:5], v[18:19] neg_lo:[0,0,1] neg_hi:[0,0,1]
	v_pk_fma_f32 v[14:15], v[14:15], v[6:7], v[20:21]
	v_pk_add_f32 v[18:19], v[22:23], v[18:19] neg_lo:[0,1] neg_hi:[0,1]
	v_pk_add_f32 v[16:17], v[16:17], v[14:15] neg_lo:[0,1] neg_hi:[0,1]
	v_mov_b32_e32 v14, v18
	v_mov_b32_e32 v15, v16
	;; [unrolled: 1-line block ×3, first 2 shown]
	s_cmp_lg_u32 s27, 0
	ds_write_b128 v3, v[14:17]
	v_add_u32_e32 v3, 16, v3
	s_cbranch_scc1 .LBB136_88
; %bb.89:                               ;   in Loop: Header=BB136_86 Depth=3
	s_mov_b64 s[0:1], s[14:15]
	s_mov_b32 s16, s21
	s_branch .LBB136_92
.LBB136_90:                             ;   in Loop: Header=BB136_86 Depth=3
	s_mov_b64 s[0:1], 0
                                        ; implicit-def: $vgpr2_vgpr3
	s_mov_b32 s16, s21
	s_cbranch_execz .LBB136_92
; %bb.91:                               ;   in Loop: Header=BB136_86 Depth=3
	s_waitcnt vmcnt(0)
	v_mov_b32_e32 v2, v1
	s_mov_b64 s[0:1], -1
	s_mov_b32 s16, 0
.LBB136_92:                             ;   in Loop: Header=BB136_86 Depth=3
	s_andn2_b64 vcc, exec, s[0:1]
	s_cbranch_vccnz .LBB136_85
; %bb.93:                               ;   in Loop: Header=BB136_86 Depth=3
	s_add_i32 s1, s16, s26
	s_waitcnt vmcnt(0)
	v_mov_b32_e32 v3, v1
	v_mov_b32_e32 v1, v0
	s_sub_i32 s0, s20, s16
	s_lshl_b32 s1, s1, 3
	v_lshl_add_u32 v4, s16, 3, v13
.LBB136_94:                             ;   Parent Loop BB136_73 Depth=1
                                        ;     Parent Loop BB136_76 Depth=2
                                        ;       Parent Loop BB136_86 Depth=3
                                        ; =>      This Inner Loop Header: Depth=4
	v_mov_b32_e32 v5, s1
	ds_read_b64 v[14:15], v5
	ds_read_b64 v[6:7], v4
	s_add_i32 s0, s0, -1
	s_add_i32 s1, s1, 8
	s_cmp_eq_u32 s0, 0
	s_waitcnt lgkmcnt(1)
	v_pk_mul_f32 v[16:17], v[14:15], v[2:3]
	v_pk_fma_f32 v[18:19], v[14:15], v[0:1], v[16:17] op_sel:[0,0,1] op_sel_hi:[1,1,0] neg_lo:[0,0,1] neg_hi:[0,0,1]
	v_pk_fma_f32 v[14:15], v[14:15], v[0:1], v[16:17] op_sel:[0,0,1] op_sel_hi:[1,1,0]
	v_mov_b32_e32 v19, v15
	s_waitcnt lgkmcnt(0)
	v_pk_add_f32 v[6:7], v[6:7], v[18:19] neg_lo:[0,1] neg_hi:[0,1]
	ds_write_b64 v4, v[6:7]
	v_add_u32_e32 v4, 8, v4
	s_cbranch_scc0 .LBB136_94
	s_branch .LBB136_85
.LBB136_95:                             ;   in Loop: Header=BB136_76 Depth=2
	s_mov_b32 s2, 0
	s_mov_b32 s26, s24
	s_waitcnt vmcnt(0)
	s_branch .LBB136_97
.LBB136_96:                             ;   in Loop: Header=BB136_97 Depth=3
	s_mul_i32 s1, s0, 40
	v_mov_b32_e32 v3, s1
	ds_read_b64 v[4:5], v3
	s_ashr_i32 s1, s0, 31
	s_lshl_b64 s[0:1], s[0:1], 3
	s_add_i32 s2, s2, 1
	s_add_i32 s26, s26, 8
	s_waitcnt lgkmcnt(0)
	v_mul_f32_e32 v3, v5, v1
	v_mul_f32_e32 v7, v4, v1
	v_fma_f32 v6, v4, v0, -v3
	v_fmac_f32_e32 v7, v5, v0
	v_mov_b32_e32 v1, s1
	v_add_co_u32_e32 v0, vcc, s0, v11
	v_addc_co_u32_e32 v1, vcc, v12, v1, vcc
	s_cmp_eq_u32 s2, s20
	ds_write_b64 v2, v[6:7]
	global_store_dwordx2 v[0:1], v[6:7], off
	s_cbranch_scc1 .LBB136_75
.LBB136_97:                             ;   Parent Loop BB136_73 Depth=1
                                        ;     Parent Loop BB136_76 Depth=2
                                        ; =>    This Loop Header: Depth=3
                                        ;         Child Loop BB136_99 Depth 4
	s_cmp_lg_u32 s2, 0
	v_lshl_add_u32 v2, s2, 3, v10
	s_cbranch_scc0 .LBB136_101
; %bb.98:                               ;   in Loop: Header=BB136_97 Depth=3
	ds_read_b64 v[0:1], v2
	s_mov_b32 s0, 0
	v_mov_b32_e32 v3, v10
	s_mov_b32 s1, s26
.LBB136_99:                             ;   Parent Loop BB136_73 Depth=1
                                        ;     Parent Loop BB136_76 Depth=2
                                        ;       Parent Loop BB136_97 Depth=3
                                        ; =>      This Inner Loop Header: Depth=4
	v_mov_b32_e32 v6, s1
	ds_read_b64 v[4:5], v3
	ds_read_b64 v[6:7], v6
	s_add_i32 s0, s0, 1
	s_add_i32 s1, s1, 32
	v_add_u32_e32 v3, 8, v3
	s_cmp_ge_u32 s0, s2
	s_waitcnt lgkmcnt(0)
	v_pk_mul_f32 v[14:15], v[6:7], v[4:5] op_sel:[0,1]
	v_pk_fma_f32 v[16:17], v[6:7], v[4:5], v[14:15] op_sel:[0,0,1] op_sel_hi:[1,1,0] neg_lo:[0,0,1] neg_hi:[0,0,1]
	v_pk_fma_f32 v[4:5], v[6:7], v[4:5], v[14:15] op_sel:[0,0,1] op_sel_hi:[1,0,0]
	v_mov_b32_e32 v17, v5
	v_pk_add_f32 v[0:1], v[0:1], v[16:17] neg_lo:[0,1] neg_hi:[0,1]
	ds_write_b64 v2, v[0:1]
	s_cbranch_scc0 .LBB136_99
; %bb.100:                              ;   in Loop: Header=BB136_97 Depth=3
	s_add_i32 s0, s2, s18
	s_branch .LBB136_96
.LBB136_101:                            ;   in Loop: Header=BB136_97 Depth=3
                                        ; implicit-def: $vgpr0
                                        ; implicit-def: $sgpr0
	s_cbranch_execz .LBB136_96
; %bb.102:                              ;   in Loop: Header=BB136_97 Depth=3
	ds_read_b64 v[0:1], v10
	s_mov_b32 s0, s18
	s_branch .LBB136_96
.LBB136_103:
	s_endpgm
	.section	.rodata,"a",@progbits
	.p2align	6, 0x0
	.amdhsa_kernel _ZL30rocblas_trsm_small_left_deviceILi4ELi4ELb1E19rocblas_complex_numIfES1_PKS1_PS1_Ev13rocblas_fill_18rocblas_operation_17rocblas_diagonal_iiT3_T4_lilT5_lili
		.amdhsa_group_segment_fixed_size 256
		.amdhsa_private_segment_fixed_size 0
		.amdhsa_kernarg_size 360
		.amdhsa_user_sgpr_count 8
		.amdhsa_user_sgpr_private_segment_buffer 1
		.amdhsa_user_sgpr_dispatch_ptr 1
		.amdhsa_user_sgpr_queue_ptr 0
		.amdhsa_user_sgpr_kernarg_segment_ptr 1
		.amdhsa_user_sgpr_dispatch_id 0
		.amdhsa_user_sgpr_flat_scratch_init 0
		.amdhsa_user_sgpr_kernarg_preload_length 0
		.amdhsa_user_sgpr_kernarg_preload_offset 0
		.amdhsa_user_sgpr_private_segment_size 0
		.amdhsa_uses_dynamic_stack 0
		.amdhsa_system_sgpr_private_segment_wavefront_offset 0
		.amdhsa_system_sgpr_workgroup_id_x 1
		.amdhsa_system_sgpr_workgroup_id_y 0
		.amdhsa_system_sgpr_workgroup_id_z 1
		.amdhsa_system_sgpr_workgroup_info 0
		.amdhsa_system_vgpr_workitem_id 2
		.amdhsa_next_free_vgpr 28
		.amdhsa_next_free_sgpr 44
		.amdhsa_accum_offset 28
		.amdhsa_reserve_vcc 1
		.amdhsa_reserve_flat_scratch 0
		.amdhsa_float_round_mode_32 0
		.amdhsa_float_round_mode_16_64 0
		.amdhsa_float_denorm_mode_32 3
		.amdhsa_float_denorm_mode_16_64 3
		.amdhsa_dx10_clamp 1
		.amdhsa_ieee_mode 1
		.amdhsa_fp16_overflow 0
		.amdhsa_tg_split 0
		.amdhsa_exception_fp_ieee_invalid_op 0
		.amdhsa_exception_fp_denorm_src 0
		.amdhsa_exception_fp_ieee_div_zero 0
		.amdhsa_exception_fp_ieee_overflow 0
		.amdhsa_exception_fp_ieee_underflow 0
		.amdhsa_exception_fp_ieee_inexact 0
		.amdhsa_exception_int_div_zero 0
	.end_amdhsa_kernel
	.section	.text._ZL30rocblas_trsm_small_left_deviceILi4ELi4ELb1E19rocblas_complex_numIfES1_PKS1_PS1_Ev13rocblas_fill_18rocblas_operation_17rocblas_diagonal_iiT3_T4_lilT5_lili,"axG",@progbits,_ZL30rocblas_trsm_small_left_deviceILi4ELi4ELb1E19rocblas_complex_numIfES1_PKS1_PS1_Ev13rocblas_fill_18rocblas_operation_17rocblas_diagonal_iiT3_T4_lilT5_lili,comdat
.Lfunc_end136:
	.size	_ZL30rocblas_trsm_small_left_deviceILi4ELi4ELb1E19rocblas_complex_numIfES1_PKS1_PS1_Ev13rocblas_fill_18rocblas_operation_17rocblas_diagonal_iiT3_T4_lilT5_lili, .Lfunc_end136-_ZL30rocblas_trsm_small_left_deviceILi4ELi4ELb1E19rocblas_complex_numIfES1_PKS1_PS1_Ev13rocblas_fill_18rocblas_operation_17rocblas_diagonal_iiT3_T4_lilT5_lili
                                        ; -- End function
	.section	.AMDGPU.csdata,"",@progbits
; Kernel info:
; codeLenInByte = 4156
; NumSgprs: 48
; NumVgprs: 28
; NumAgprs: 0
; TotalNumVgprs: 28
; ScratchSize: 0
; MemoryBound: 0
; FloatMode: 240
; IeeeMode: 1
; LDSByteSize: 256 bytes/workgroup (compile time only)
; SGPRBlocks: 5
; VGPRBlocks: 3
; NumSGPRsForWavesPerEU: 48
; NumVGPRsForWavesPerEU: 28
; AccumOffset: 28
; Occupancy: 8
; WaveLimiterHint : 0
; COMPUTE_PGM_RSRC2:SCRATCH_EN: 0
; COMPUTE_PGM_RSRC2:USER_SGPR: 8
; COMPUTE_PGM_RSRC2:TRAP_HANDLER: 0
; COMPUTE_PGM_RSRC2:TGID_X_EN: 1
; COMPUTE_PGM_RSRC2:TGID_Y_EN: 0
; COMPUTE_PGM_RSRC2:TGID_Z_EN: 1
; COMPUTE_PGM_RSRC2:TIDIG_COMP_CNT: 2
; COMPUTE_PGM_RSRC3_GFX90A:ACCUM_OFFSET: 6
; COMPUTE_PGM_RSRC3_GFX90A:TG_SPLIT: 0
	.section	.text._ZL31rocblas_trsm_small_right_deviceI19rocblas_complex_numIfES1_PKS1_PS1_Li4EEv13rocblas_fill_18rocblas_operation_17rocblas_diagonal_iiT0_T1_lilT2_lili,"axG",@progbits,_ZL31rocblas_trsm_small_right_deviceI19rocblas_complex_numIfES1_PKS1_PS1_Li4EEv13rocblas_fill_18rocblas_operation_17rocblas_diagonal_iiT0_T1_lilT2_lili,comdat
	.globl	_ZL31rocblas_trsm_small_right_deviceI19rocblas_complex_numIfES1_PKS1_PS1_Li4EEv13rocblas_fill_18rocblas_operation_17rocblas_diagonal_iiT0_T1_lilT2_lili ; -- Begin function _ZL31rocblas_trsm_small_right_deviceI19rocblas_complex_numIfES1_PKS1_PS1_Li4EEv13rocblas_fill_18rocblas_operation_17rocblas_diagonal_iiT0_T1_lilT2_lili
	.p2align	8
	.type	_ZL31rocblas_trsm_small_right_deviceI19rocblas_complex_numIfES1_PKS1_PS1_Li4EEv13rocblas_fill_18rocblas_operation_17rocblas_diagonal_iiT0_T1_lilT2_lili,@function
_ZL31rocblas_trsm_small_right_deviceI19rocblas_complex_numIfES1_PKS1_PS1_Li4EEv13rocblas_fill_18rocblas_operation_17rocblas_diagonal_iiT0_T1_lilT2_lili: ; @_ZL31rocblas_trsm_small_right_deviceI19rocblas_complex_numIfES1_PKS1_PS1_Li4EEv13rocblas_fill_18rocblas_operation_17rocblas_diagonal_iiT0_T1_lilT2_lili
; %bb.0:
	s_load_dwordx8 s[12:19], s[4:5], 0x0
	s_load_dwordx4 s[20:23], s[4:5], 0x38
	s_load_dwordx2 s[26:27], s[4:5], 0x48
	s_waitcnt lgkmcnt(0)
	s_load_dword s19, s[4:5], 0x68
	s_mov_b32 s40, 0
	s_min_i32 s33, s16, 4
	s_add_i32 s50, s33, -1
	v_cmp_gt_i32_e32 vcc, s33, v0
	s_and_saveexec_b64 s[24:25], vcc
	s_cbranch_execz .LBB137_29
; %bb.1:
	s_load_dword s28, s[4:5], 0x30
	s_load_dwordx4 s[8:11], s[4:5], 0x20
	s_mul_i32 s0, s7, s21
	s_mul_hi_u32 s1, s7, s20
	s_mul_i32 s20, s7, s20
	s_waitcnt lgkmcnt(0)
	s_ashr_i32 s29, s28, 31
	s_cmpk_lg_i32 s13, 0x71
	s_cselect_b64 s[30:31], -1, 0
	s_add_i32 s21, s1, s0
	v_cndmask_b32_e64 v1, 0, 1, s[30:31]
	s_cmp_lt_u32 s50, 3
	v_cmp_ne_u32_e64 s[0:1], 1, v1
	s_cbranch_scc1 .LBB137_20
; %bb.2:
	s_lshl_b64 s[2:3], s[20:21], 3
	s_add_u32 s34, s8, s2
	s_addc_u32 s35, s9, s3
	s_lshl_b64 s[2:3], s[10:11], 3
	s_add_u32 s2, s34, s2
	s_addc_u32 s3, s35, s3
	v_lshlrev_b32_e32 v1, 3, v0
	v_mov_b32_e32 v3, s3
	v_add_co_u32_e32 v2, vcc, s2, v1
	s_mul_hi_i32 s2, s28, 24
	s_lshl_b64 s[34:35], s[28:29], 5
	s_lshl_b64 s[36:37], s[28:29], 4
	;; [unrolled: 1-line block ×3, first 2 shown]
	v_addc_co_u32_e32 v3, vcc, 0, v3, vcc
	s_and_b32 s40, s33, -4
	s_mul_i32 s41, s28, 24
	s_mov_b32 s42, 0
	v_mov_b32_e32 v8, s39
	v_mov_b32_e32 v9, s37
	;; [unrolled: 1-line block ×4, first 2 shown]
	s_branch .LBB137_4
.LBB137_3:                              ;   in Loop: Header=BB137_4 Depth=1
	global_load_dword v4, v[6:7], off
	s_add_i32 s42, s42, 4
	v_add_co_u32_e32 v2, vcc, s34, v2
	v_addc_co_u32_e32 v3, vcc, v3, v11, vcc
	s_cmp_eq_u32 s40, s42
	s_waitcnt vmcnt(0)
	ds_write_b64 v1, v[4:5] offset:96
	v_add_u32_e32 v1, 0x80, v1
	s_cbranch_scc1 .LBB137_20
.LBB137_4:                              ; =>This Inner Loop Header: Depth=1
	s_and_b64 vcc, exec, s[30:31]
	s_cbranch_vccz .LBB137_6
; %bb.5:                                ;   in Loop: Header=BB137_4 Depth=1
	global_load_dword v5, v[2:3], off offset:4
	s_cbranch_execz .LBB137_7
	s_branch .LBB137_8
.LBB137_6:                              ;   in Loop: Header=BB137_4 Depth=1
                                        ; implicit-def: $vgpr5
.LBB137_7:                              ;   in Loop: Header=BB137_4 Depth=1
	global_load_dword v4, v[2:3], off offset:4
	s_waitcnt vmcnt(0)
	v_xor_b32_e32 v5, 0x80000000, v4
.LBB137_8:                              ;   in Loop: Header=BB137_4 Depth=1
	global_load_dword v4, v[2:3], off
	v_add_co_u32_e64 v6, s[2:3], s38, v2
	s_and_b64 vcc, exec, s[0:1]
	v_addc_co_u32_e64 v7, s[2:3], v3, v8, s[2:3]
	s_waitcnt vmcnt(0)
	ds_write_b64 v1, v[4:5]
	s_cbranch_vccnz .LBB137_10
; %bb.9:                                ;   in Loop: Header=BB137_4 Depth=1
	global_load_dword v5, v[6:7], off offset:4
	s_cbranch_execz .LBB137_11
	s_branch .LBB137_12
.LBB137_10:                             ;   in Loop: Header=BB137_4 Depth=1
                                        ; implicit-def: $vgpr5
.LBB137_11:                             ;   in Loop: Header=BB137_4 Depth=1
	global_load_dword v4, v[6:7], off offset:4
	s_waitcnt vmcnt(0)
	v_xor_b32_e32 v5, 0x80000000, v4
.LBB137_12:                             ;   in Loop: Header=BB137_4 Depth=1
	global_load_dword v4, v[6:7], off
	v_add_co_u32_e64 v6, s[2:3], s36, v2
	s_and_b64 vcc, exec, s[0:1]
	v_addc_co_u32_e64 v7, s[2:3], v3, v9, s[2:3]
	s_waitcnt vmcnt(0)
	ds_write_b64 v1, v[4:5] offset:32
	s_cbranch_vccnz .LBB137_14
; %bb.13:                               ;   in Loop: Header=BB137_4 Depth=1
	global_load_dword v5, v[6:7], off offset:4
	s_cbranch_execz .LBB137_15
	s_branch .LBB137_16
.LBB137_14:                             ;   in Loop: Header=BB137_4 Depth=1
                                        ; implicit-def: $vgpr5
.LBB137_15:                             ;   in Loop: Header=BB137_4 Depth=1
	global_load_dword v4, v[6:7], off offset:4
	s_waitcnt vmcnt(0)
	v_xor_b32_e32 v5, 0x80000000, v4
.LBB137_16:                             ;   in Loop: Header=BB137_4 Depth=1
	global_load_dword v4, v[6:7], off
	v_add_co_u32_e64 v6, s[2:3], s41, v2
	s_and_b64 vcc, exec, s[0:1]
	v_addc_co_u32_e64 v7, s[2:3], v3, v10, s[2:3]
	s_waitcnt vmcnt(0)
	ds_write_b64 v1, v[4:5] offset:64
	s_cbranch_vccnz .LBB137_18
; %bb.17:                               ;   in Loop: Header=BB137_4 Depth=1
	global_load_dword v5, v[6:7], off offset:4
	s_cbranch_execnz .LBB137_3
	s_branch .LBB137_19
.LBB137_18:                             ;   in Loop: Header=BB137_4 Depth=1
                                        ; implicit-def: $vgpr5
.LBB137_19:                             ;   in Loop: Header=BB137_4 Depth=1
	global_load_dword v4, v[6:7], off offset:4
	s_waitcnt vmcnt(0)
	v_xor_b32_e32 v5, 0x80000000, v4
	s_branch .LBB137_3
.LBB137_20:
	s_and_b32 s30, s33, 3
	s_cmp_eq_u32 s30, 0
	s_cbranch_scc1 .LBB137_27
; %bb.21:
	s_lshl_b64 s[2:3], s[20:21], 3
	s_mul_i32 s20, s29, s40
	s_mul_hi_u32 s21, s28, s40
	s_add_i32 s21, s21, s20
	s_mul_i32 s20, s28, s40
	s_lshl_b64 s[20:21], s[20:21], 3
	s_add_u32 s20, s2, s20
	s_addc_u32 s21, s3, s21
	s_lshl_b64 s[2:3], s[10:11], 3
	s_add_u32 s2, s20, s2
	s_addc_u32 s3, s21, s3
	s_add_u32 s2, s8, s2
	v_lshlrev_b32_e32 v2, 3, v0
	s_addc_u32 s3, s9, s3
	v_lshl_or_b32 v1, s40, 5, v2
	v_mov_b32_e32 v3, s3
	v_add_co_u32_e32 v2, vcc, s2, v2
	v_addc_co_u32_e32 v3, vcc, 0, v3, vcc
	v_add_co_u32_e32 v2, vcc, 4, v2
	s_lshl_b64 s[2:3], s[28:29], 3
	v_addc_co_u32_e32 v3, vcc, 0, v3, vcc
	v_mov_b32_e32 v6, s3
	s_branch .LBB137_23
.LBB137_22:                             ;   in Loop: Header=BB137_23 Depth=1
	global_load_dword v4, v[2:3], off offset:-4
	s_add_i32 s30, s30, -1
	v_add_co_u32_e32 v2, vcc, s2, v2
	s_cmp_lg_u32 s30, 0
	v_addc_co_u32_e32 v3, vcc, v3, v6, vcc
	s_waitcnt vmcnt(0)
	ds_write_b64 v1, v[4:5]
	v_add_u32_e32 v1, 32, v1
	s_cbranch_scc0 .LBB137_27
.LBB137_23:                             ; =>This Inner Loop Header: Depth=1
	s_and_b64 vcc, exec, s[0:1]
	s_cbranch_vccnz .LBB137_25
; %bb.24:                               ;   in Loop: Header=BB137_23 Depth=1
	global_load_dword v5, v[2:3], off
	s_cbranch_execnz .LBB137_22
	s_branch .LBB137_26
.LBB137_25:                             ;   in Loop: Header=BB137_23 Depth=1
                                        ; implicit-def: $vgpr5
.LBB137_26:                             ;   in Loop: Header=BB137_23 Depth=1
	global_load_dword v4, v[2:3], off
	s_waitcnt vmcnt(0)
	v_xor_b32_e32 v5, 0x80000000, v4
	s_branch .LBB137_22
.LBB137_27:
	s_cmpk_eq_i32 s14, 0x84
	s_cbranch_scc0 .LBB137_29
; %bb.28:
	v_mul_u32_u24_e32 v1, 5, v0
	v_lshlrev_b32_e32 v1, 3, v1
	v_mov_b32_e32 v2, 1.0
	v_mov_b32_e32 v3, 0
	ds_write_b64 v1, v[2:3]
.LBB137_29:
	s_or_b64 exec, exec, s[24:25]
	s_load_dwordx2 s[0:1], s[4:5], 0x58
	s_load_dword s14, s[4:5], 0x50
	s_waitcnt lgkmcnt(0)
	s_mul_i32 s1, s7, s1
	s_mul_hi_u32 s2, s7, s0
	s_mul_i32 s0, s7, s0
	s_add_i32 s1, s2, s1
	s_lshl_b64 s[24:25], s[0:1], 3
	s_add_u32 s0, s22, s24
	s_addc_u32 s1, s23, s25
	s_lshl_b64 s[20:21], s[26:27], 3
	s_add_u32 s0, s0, s20
	s_addc_u32 s1, s1, s21
	s_lshl_b32 s2, s6, 2
	s_add_i32 s19, s19, -1
	s_sub_i32 s2, s15, s2
	s_cmp_ge_u32 s6, s19
	s_cselect_b32 s2, s2, 4
	s_ashr_i32 s7, s6, 31
	s_lshl_b64 s[26:27], s[6:7], 5
	s_add_u32 s48, s0, s26
	s_addc_u32 s49, s1, s27
	s_cmp_gt_i32 s16, 0
	v_cmp_gt_i32_e32 vcc, s2, v0
	s_cselect_b64 s[2:3], -1, 0
	s_mov_b32 s0, 0
	s_and_b64 s[28:29], vcc, s[2:3]
	s_and_saveexec_b64 s[30:31], s[28:29]
	s_cbranch_execz .LBB137_41
; %bb.30:
	s_cmp_lt_u32 s16, 2
	s_cselect_b64 s[4:5], -1, 0
	s_cmp_lg_u32 s14, 1
	s_cselect_b64 s[6:7], -1, 0
	s_or_b64 s[4:5], s[4:5], s[6:7]
	s_mov_b32 s1, 1
	s_mov_b64 s[2:3], -1
	s_and_b64 vcc, exec, s[4:5]
	s_cbranch_vccnz .LBB137_38
; %bb.31:
	s_add_i32 s0, s16, -2
	v_lshlrev_b32_e32 v1, 3, v0
	s_lshr_b32 s15, s0, 1
	v_mov_b32_e32 v3, s49
	v_add_co_u32_e32 v2, vcc, s48, v1
	s_add_i32 s15, s15, 1
	s_mov_b32 s37, 0
	v_addc_co_u32_e32 v3, vcc, 0, v3, vcc
	s_mov_b32 s34, s17
	s_mov_b32 s35, s17
	;; [unrolled: 1-line block ×3, first 2 shown]
	s_cmp_lt_u32 s0, 6
	s_mov_b32 s0, s37
	s_cbranch_scc1 .LBB137_35
; %bb.32:
	s_and_b32 s51, s15, -4
	s_mov_b32 s38, 1
	s_mov_b32 s36, s37
.LBB137_33:                             ; =>This Inner Loop Header: Depth=1
	s_lshl_b64 s[0:1], s[36:37], 3
	s_mov_b32 s39, s37
	s_add_i32 s40, s38, 2
	s_add_i32 s42, s36, 2
	s_mov_b32 s43, s37
	s_mov_b32 s41, s37
	s_add_i32 s44, s38, 4
	s_add_i32 s46, s36, 4
	s_mov_b32 s47, s37
	;; [unrolled: 4-line block ×3, first 2 shown]
	s_mov_b32 s53, s37
	v_mov_b32_e32 v5, s1
	v_add_co_u32_e32 v4, vcc, s0, v2
	s_lshl_b64 s[10:11], s[38:39], 3
	s_lshl_b64 s[2:3], s[42:43], 3
	s_lshl_b64 s[4:5], s[40:41], 3
	s_lshl_b64 s[6:7], s[46:47], 3
	s_lshl_b64 s[8:9], s[44:45], 3
	s_lshl_b64 s[56:57], s[54:55], 3
	s_lshl_b64 s[58:59], s[52:53], 3
	v_addc_co_u32_e32 v5, vcc, v3, v5, vcc
	v_mov_b32_e32 v7, s11
	v_mov_b32_e32 v9, s3
	v_add_co_u32_e32 v6, vcc, s2, v2
	v_mov_b32_e32 v11, s5
	v_add_co_u32_e64 v8, s[0:1], s4, v2
	v_mov_b32_e32 v13, s7
	v_add_co_u32_e64 v10, s[2:3], s6, v2
	;; [unrolled: 2-line block ×5, first 2 shown]
	v_add_co_u32_e64 v18, s[10:11], s10, v2
	v_addc_co_u32_e64 v19, s[10:11], v3, v7, s[10:11]
	v_addc_co_u32_e32 v7, vcc, v3, v9, vcc
	v_addc_co_u32_e64 v9, vcc, v3, v11, s[0:1]
	v_addc_co_u32_e64 v11, vcc, v3, v13, s[2:3]
	;; [unrolled: 1-line block ×5, first 2 shown]
	global_load_dwordx2 v[20:21], v[4:5], off
	global_load_dwordx2 v[22:23], v[18:19], off
	global_load_dwordx2 v[24:25], v[6:7], off
	global_load_dwordx2 v[26:27], v[8:9], off
	global_load_dwordx2 v[28:29], v[10:11], off
	global_load_dwordx2 v[30:31], v[12:13], off
	global_load_dwordx2 v[32:33], v[14:15], off
	global_load_dwordx2 v[34:35], v[16:17], off
	v_lshl_or_b32 v36, s36, 5, v1
	v_lshl_or_b32 v37, s38, 5, v1
	s_add_i32 s36, s36, 8
	s_add_i32 s51, s51, -4
	s_add_i32 s38, s38, 8
	s_cmp_lg_u32 s51, 0
	v_lshl_or_b32 v38, s42, 5, v1
	v_lshl_or_b32 v39, s40, 5, v1
	;; [unrolled: 1-line block ×6, first 2 shown]
	s_waitcnt vmcnt(7)
	v_mov_b32_e32 v4, v20
	s_waitcnt vmcnt(6)
	v_mov_b32_e32 v5, v22
	v_mov_b32_e32 v22, v21
	s_waitcnt vmcnt(4)
	v_mov_b32_e32 v7, v26
	;; [unrolled: 3-line block ×4, first 2 shown]
	v_mov_b32_e32 v34, v33
	v_pk_mul_f32 v[12:13], s[18:19], v[22:23]
	v_pk_mul_f32 v[14:15], s[34:35], v[22:23]
	v_mov_b32_e32 v6, v24
	v_mov_b32_e32 v8, v28
	;; [unrolled: 1-line block ×3, first 2 shown]
	v_pk_mul_f32 v[16:17], s[18:19], v[26:27]
	v_pk_mul_f32 v[18:19], s[34:35], v[26:27]
	;; [unrolled: 1-line block ×6, first 2 shown]
	v_pk_fma_f32 v[12:13], s[34:35], v[4:5], v[12:13] neg_lo:[0,0,1] neg_hi:[0,0,1]
	v_pk_fma_f32 v[4:5], s[18:19], v[4:5], v[14:15]
	v_pk_fma_f32 v[14:15], s[34:35], v[6:7], v[16:17] neg_lo:[0,0,1] neg_hi:[0,0,1]
	v_pk_fma_f32 v[6:7], s[18:19], v[6:7], v[18:19]
	;; [unrolled: 2-line block ×4, first 2 shown]
	v_mov_b32_e32 v20, v12
	v_mov_b32_e32 v21, v4
	;; [unrolled: 1-line block ×12, first 2 shown]
	ds_write_b64 v36, v[20:21] offset:128
	ds_write_b64 v37, v[4:5] offset:128
	;; [unrolled: 1-line block ×8, first 2 shown]
	s_cbranch_scc1 .LBB137_33
; %bb.34:
	s_mov_b32 s37, s38
	s_mov_b64 s[0:1], s[36:37]
.LBB137_35:
	s_and_b32 s4, s15, 3
	s_cmp_eq_u32 s4, 0
	s_mov_b32 s3, 0
	s_cbranch_scc1 .LBB137_37
.LBB137_36:                             ; =>This Inner Loop Header: Depth=1
	s_mov_b32 s2, s0
	s_lshl_b64 s[6:7], s[2:3], 3
	s_mov_b32 s2, s1
	v_mov_b32_e32 v5, s7
	v_add_co_u32_e32 v4, vcc, s6, v2
	s_lshl_b64 s[8:9], s[2:3], 3
	v_addc_co_u32_e32 v5, vcc, v3, v5, vcc
	v_mov_b32_e32 v7, s9
	v_add_co_u32_e32 v6, vcc, s8, v2
	v_addc_co_u32_e32 v7, vcc, v3, v7, vcc
	global_load_dwordx2 v[8:9], v[4:5], off
	global_load_dwordx2 v[10:11], v[6:7], off
	v_lshl_or_b32 v12, s0, 5, v1
	v_lshl_or_b32 v13, s1, 5, v1
	s_add_i32 s0, s0, 2
	s_add_i32 s4, s4, -1
	s_add_i32 s1, s1, 2
	s_cmp_lg_u32 s4, 0
	s_waitcnt vmcnt(1)
	v_mov_b32_e32 v4, v8
	s_waitcnt vmcnt(0)
	v_mov_b32_e32 v5, v10
	v_mov_b32_e32 v10, v9
	v_pk_mul_f32 v[6:7], s[18:19], v[10:11]
	v_pk_mul_f32 v[8:9], s[34:35], v[10:11]
	v_pk_fma_f32 v[6:7], s[34:35], v[4:5], v[6:7] neg_lo:[0,0,1] neg_hi:[0,0,1]
	v_pk_fma_f32 v[4:5], s[18:19], v[4:5], v[8:9]
	v_mov_b32_e32 v8, v6
	v_mov_b32_e32 v9, v4
	;; [unrolled: 1-line block ×3, first 2 shown]
	ds_write_b64 v12, v[8:9] offset:128
	ds_write_b64 v13, v[4:5] offset:128
	s_cbranch_scc1 .LBB137_36
.LBB137_37:
	s_and_b32 s0, s16, 0x7ffffffe
	s_cmp_lg_u32 s0, s16
	s_cselect_b64 s[2:3], -1, 0
.LBB137_38:
	s_and_b64 vcc, exec, s[2:3]
	s_cbranch_vccz .LBB137_41
; %bb.39:
	v_lshlrev_b32_e32 v2, 3, v0
	v_lshl_or_b32 v1, s0, 5, v2
	s_sub_i32 s2, s16, s0
	s_mul_hi_i32 s1, s14, s0
	s_mul_i32 s0, s14, s0
	s_ashr_i32 s15, s14, 31
	s_lshl_b64 s[0:1], s[0:1], 3
	s_add_u32 s0, s24, s0
	s_addc_u32 s1, s25, s1
	s_add_u32 s0, s0, s26
	s_addc_u32 s1, s1, s27
	;; [unrolled: 2-line block ×4, first 2 shown]
	v_mov_b32_e32 v3, s1
	v_add_co_u32_e32 v2, vcc, s0, v2
	v_addc_co_u32_e32 v3, vcc, 0, v3, vcc
	v_add_co_u32_e32 v2, vcc, 4, v2
	s_lshl_b64 s[0:1], s[14:15], 3
	v_add_u32_e32 v1, 0x80, v1
	v_addc_co_u32_e32 v3, vcc, 0, v3, vcc
	v_mov_b32_e32 v4, s1
.LBB137_40:                             ; =>This Inner Loop Header: Depth=1
	global_load_dwordx2 v[6:7], v[2:3], off offset:-4
	s_add_i32 s2, s2, -1
	v_add_co_u32_e32 v2, vcc, s0, v2
	v_addc_co_u32_e32 v3, vcc, v3, v4, vcc
	s_cmp_lg_u32 s2, 0
	s_waitcnt vmcnt(0)
	v_mul_f32_e32 v5, s18, v7
	v_mul_f32_e32 v9, s17, v7
	v_fma_f32 v8, s17, v6, -v5
	v_fmac_f32_e32 v9, s18, v6
	ds_write_b64 v1, v[8:9]
	v_add_u32_e32 v1, 32, v1
	s_cbranch_scc1 .LBB137_40
.LBB137_41:
	s_or_b64 exec, exec, s[30:31]
	s_cmpk_eq_i32 s13, 0x6f
	s_cselect_b64 s[0:1], -1, 0
	s_cmpk_eq_i32 s12, 0x79
	s_cselect_b64 s[4:5], -1, 0
	s_cmpk_lg_i32 s12, 0x79
	s_cselect_b64 s[2:3], -1, 0
	s_and_b64 s[4:5], s[4:5], s[0:1]
	s_andn2_b64 vcc, exec, s[4:5]
	s_mov_b64 s[4:5], -1
	s_waitcnt lgkmcnt(0)
	; wave barrier
	s_waitcnt lgkmcnt(0)
	s_cbranch_vccz .LBB137_139
; %bb.42:
	s_cmpk_lg_i32 s12, 0x7a
	s_cselect_b64 s[6:7], -1, 0
	s_xor_b64 s[0:1], s[0:1], -1
	s_or_b64 s[6:7], s[6:7], s[0:1]
	s_cmp_gt_i32 s16, 3
	s_cselect_b64 s[0:1], -1, 0
	s_and_b64 vcc, exec, s[6:7]
	s_cbranch_vccz .LBB137_110
; %bb.43:
	s_andn2_b64 vcc, exec, s[2:3]
	s_mov_b64 s[2:3], -1
	s_cbranch_vccnz .LBB137_77
; %bb.44:
	s_andn2_b64 vcc, exec, s[0:1]
	s_mov_b32 s4, 0
	s_cbranch_vccnz .LBB137_66
; %bb.45:
	v_mov_b32_e32 v1, 0
	ds_read_b64 v[10:11], v1
	v_lshlrev_b32_e32 v1, 3, v0
	ds_read2_b64 v[6:9], v1 offset0:16 offset1:20
	ds_read2_b64 v[2:5], v1 offset0:24 offset1:28
	s_waitcnt lgkmcnt(2)
	v_cmp_gt_f32_e32 vcc, 0, v11
	v_cndmask_b32_e64 v12, v11, -v11, vcc
	v_cmp_gt_f32_e32 vcc, 0, v10
	v_cndmask_b32_e64 v13, v10, -v10, vcc
	v_cmp_ngt_f32_e32 vcc, v13, v12
	s_cbranch_vccz .LBB137_47
; %bb.46:
	v_div_scale_f32 v12, s[2:3], v11, v11, v10
	v_rcp_f32_e32 v13, v12
	v_div_scale_f32 v14, vcc, v10, v11, v10
	v_fma_f32 v15, -v12, v13, 1.0
	v_fmac_f32_e32 v13, v15, v13
	v_mul_f32_e32 v15, v14, v13
	v_fma_f32 v16, -v12, v15, v14
	v_fmac_f32_e32 v15, v16, v13
	v_fma_f32 v12, -v12, v15, v14
	v_div_fmas_f32 v12, v12, v13, v15
	v_div_fixup_f32 v12, v12, v11, v10
	v_fma_f32 v13, v10, v12, v11
	v_div_scale_f32 v14, s[2:3], v13, v13, 1.0
	v_rcp_f32_e32 v15, v14
	s_mov_b64 s[2:3], 0
	v_fma_f32 v16, -v14, v15, 1.0
	v_fmac_f32_e32 v15, v16, v15
	v_div_scale_f32 v16, vcc, 1.0, v13, 1.0
	v_mul_f32_e32 v17, v16, v15
	v_fma_f32 v18, -v14, v17, v16
	v_fmac_f32_e32 v17, v18, v15
	v_fma_f32 v14, -v14, v17, v16
	v_div_fmas_f32 v14, v14, v15, v17
	v_div_fixup_f32 v13, v14, v13, 1.0
	s_waitcnt lgkmcnt(1)
	v_fma_f32 v14, v6, v12, v7
	v_fma_f32 v12, v7, v12, -v6
	v_mul_f32_e32 v14, v14, v13
	v_mul_f32_e32 v15, v12, v13
	s_branch .LBB137_48
.LBB137_47:
                                        ; implicit-def: $vgpr15
.LBB137_48:
	s_andn2_b64 vcc, exec, s[2:3]
	v_or_b32_e32 v1, 0x80, v1
	s_cbranch_vccnz .LBB137_50
; %bb.49:
	v_div_scale_f32 v12, s[2:3], v10, v10, v11
	v_rcp_f32_e32 v13, v12
	v_div_scale_f32 v14, vcc, v11, v10, v11
	v_fma_f32 v15, -v12, v13, 1.0
	v_fmac_f32_e32 v13, v15, v13
	v_mul_f32_e32 v15, v14, v13
	v_fma_f32 v16, -v12, v15, v14
	v_fmac_f32_e32 v15, v16, v13
	v_fma_f32 v12, -v12, v15, v14
	v_div_fmas_f32 v12, v12, v13, v15
	v_div_fixup_f32 v12, v12, v10, v11
	v_fmac_f32_e32 v10, v11, v12
	v_div_scale_f32 v11, s[2:3], v10, v10, 1.0
	v_rcp_f32_e32 v13, v11
	v_fma_f32 v14, -v11, v13, 1.0
	v_fmac_f32_e32 v13, v14, v13
	v_div_scale_f32 v14, vcc, 1.0, v10, 1.0
	v_mul_f32_e32 v15, v14, v13
	v_fma_f32 v16, -v11, v15, v14
	v_fmac_f32_e32 v15, v16, v13
	v_fma_f32 v11, -v11, v15, v14
	v_div_fmas_f32 v11, v11, v13, v15
	v_div_fixup_f32 v10, v11, v10, 1.0
	s_waitcnt lgkmcnt(1)
	v_fma_f32 v11, v7, v12, v6
	v_fma_f32 v6, -v6, v12, v7
	v_mul_f32_e32 v14, v11, v10
	v_mul_f32_e32 v15, v6, v10
.LBB137_50:
	s_waitcnt lgkmcnt(1)
	v_mov_b32_e32 v6, 0
	ds_read2_b64 v[10:13], v6 offset0:1 offset1:5
	ds_write_b64 v1, v[14:15]
	s_waitcnt lgkmcnt(1)
	v_mul_f32_e32 v6, v15, v11
	v_mul_f32_e32 v7, v14, v11
	v_fma_f32 v6, v14, v10, -v6
	v_cmp_gt_f32_e32 vcc, 0, v13
	v_fmac_f32_e32 v7, v15, v10
	v_sub_f32_e32 v8, v8, v6
	v_cndmask_b32_e64 v6, v13, -v13, vcc
	v_cmp_gt_f32_e32 vcc, 0, v12
	v_sub_f32_e32 v9, v9, v7
	v_cndmask_b32_e64 v7, v12, -v12, vcc
	v_cmp_ngt_f32_e32 vcc, v7, v6
	s_cbranch_vccz .LBB137_52
; %bb.51:
	v_div_scale_f32 v6, s[2:3], v13, v13, v12
	v_rcp_f32_e32 v7, v6
	v_div_scale_f32 v10, vcc, v12, v13, v12
	v_fma_f32 v11, -v6, v7, 1.0
	v_fmac_f32_e32 v7, v11, v7
	v_mul_f32_e32 v11, v10, v7
	v_fma_f32 v16, -v6, v11, v10
	v_fmac_f32_e32 v11, v16, v7
	v_fma_f32 v6, -v6, v11, v10
	v_div_fmas_f32 v6, v6, v7, v11
	v_div_fixup_f32 v7, v6, v13, v12
	v_fma_f32 v6, v12, v7, v13
	v_div_scale_f32 v10, s[2:3], v6, v6, 1.0
	v_rcp_f32_e32 v11, v10
	s_mov_b64 s[2:3], 0
	v_fma_f32 v16, -v10, v11, 1.0
	v_fmac_f32_e32 v11, v16, v11
	v_div_scale_f32 v16, vcc, 1.0, v6, 1.0
	v_mul_f32_e32 v17, v16, v11
	v_fma_f32 v18, -v10, v17, v16
	v_fmac_f32_e32 v17, v18, v11
	v_fma_f32 v10, -v10, v17, v16
	v_div_fmas_f32 v10, v10, v11, v17
	v_div_fixup_f32 v10, v10, v6, 1.0
	v_fma_f32 v6, v7, v8, v9
	v_fma_f32 v7, v7, v9, -v8
	v_mul_f32_e32 v6, v6, v10
	v_mul_f32_e32 v7, v7, v10
	s_branch .LBB137_53
.LBB137_52:
	s_mov_b64 s[2:3], -1
                                        ; implicit-def: $vgpr7
.LBB137_53:
	s_andn2_b64 vcc, exec, s[2:3]
	s_cbranch_vccnz .LBB137_55
; %bb.54:
	v_div_scale_f32 v6, s[2:3], v12, v12, v13
	v_rcp_f32_e32 v7, v6
	v_div_scale_f32 v10, vcc, v13, v12, v13
	v_fma_f32 v11, -v6, v7, 1.0
	v_fmac_f32_e32 v7, v11, v7
	v_mul_f32_e32 v11, v10, v7
	v_fma_f32 v16, -v6, v11, v10
	v_fmac_f32_e32 v11, v16, v7
	v_fma_f32 v6, -v6, v11, v10
	v_div_fmas_f32 v6, v6, v7, v11
	v_div_fixup_f32 v7, v6, v12, v13
	v_fmac_f32_e32 v12, v13, v7
	v_div_scale_f32 v6, s[2:3], v12, v12, 1.0
	v_rcp_f32_e32 v10, v6
	v_fma_f32 v11, -v6, v10, 1.0
	v_fmac_f32_e32 v10, v11, v10
	v_div_scale_f32 v11, vcc, 1.0, v12, 1.0
	v_mul_f32_e32 v13, v11, v10
	v_fma_f32 v16, -v6, v13, v11
	v_fmac_f32_e32 v13, v16, v10
	v_fma_f32 v6, -v6, v13, v11
	v_div_fmas_f32 v6, v6, v10, v13
	v_div_fixup_f32 v10, v6, v12, 1.0
	v_fma_f32 v6, v7, v9, v8
	v_fma_f32 v7, -v7, v8, v9
	v_mul_f32_e32 v6, v6, v10
	v_mul_f32_e32 v7, v7, v10
.LBB137_55:
	v_mov_b32_e32 v12, 0
	ds_read2_b64 v[8:11], v12 offset0:2 offset1:6
	ds_write_b64 v1, v[6:7] offset:32
	s_waitcnt lgkmcnt(1)
	v_mul_f32_e32 v13, v15, v9
	v_mul_f32_e32 v9, v14, v9
	v_fma_f32 v13, v14, v8, -v13
	v_fmac_f32_e32 v9, v15, v8
	v_sub_f32_e32 v8, v2, v13
	v_mul_f32_e32 v2, v7, v11
	v_sub_f32_e32 v9, v3, v9
	v_fma_f32 v13, v6, v10, -v2
	ds_read_b64 v[2:3], v12 offset:80
	v_mul_f32_e32 v11, v6, v11
	v_fmac_f32_e32 v11, v7, v10
	v_sub_f32_e32 v10, v8, v13
	v_sub_f32_e32 v11, v9, v11
	s_waitcnt lgkmcnt(0)
	v_cmp_gt_f32_e32 vcc, 0, v3
	v_cndmask_b32_e64 v8, v3, -v3, vcc
	v_cmp_gt_f32_e32 vcc, 0, v2
	v_cndmask_b32_e64 v9, v2, -v2, vcc
	v_cmp_ngt_f32_e32 vcc, v9, v8
	s_cbranch_vccz .LBB137_57
; %bb.56:
	v_div_scale_f32 v8, s[2:3], v3, v3, v2
	v_rcp_f32_e32 v9, v8
	v_div_scale_f32 v12, vcc, v2, v3, v2
	v_fma_f32 v13, -v8, v9, 1.0
	v_fmac_f32_e32 v9, v13, v9
	v_mul_f32_e32 v13, v12, v9
	v_fma_f32 v16, -v8, v13, v12
	v_fmac_f32_e32 v13, v16, v9
	v_fma_f32 v8, -v8, v13, v12
	v_div_fmas_f32 v8, v8, v9, v13
	v_div_fixup_f32 v9, v8, v3, v2
	v_fma_f32 v8, v2, v9, v3
	v_div_scale_f32 v12, s[2:3], v8, v8, 1.0
	v_rcp_f32_e32 v13, v12
	s_mov_b64 s[2:3], 0
	v_fma_f32 v16, -v12, v13, 1.0
	v_fmac_f32_e32 v13, v16, v13
	v_div_scale_f32 v16, vcc, 1.0, v8, 1.0
	v_mul_f32_e32 v17, v16, v13
	v_fma_f32 v18, -v12, v17, v16
	v_fmac_f32_e32 v17, v18, v13
	v_fma_f32 v12, -v12, v17, v16
	v_div_fmas_f32 v12, v12, v13, v17
	v_div_fixup_f32 v12, v12, v8, 1.0
	v_fma_f32 v8, v9, v10, v11
	v_fma_f32 v9, v9, v11, -v10
	v_mul_f32_e32 v8, v8, v12
	v_mul_f32_e32 v9, v9, v12
	s_branch .LBB137_58
.LBB137_57:
	s_mov_b64 s[2:3], -1
                                        ; implicit-def: $vgpr9
.LBB137_58:
	s_andn2_b64 vcc, exec, s[2:3]
	s_cbranch_vccnz .LBB137_60
; %bb.59:
	v_div_scale_f32 v8, s[2:3], v2, v2, v3
	v_rcp_f32_e32 v9, v8
	v_div_scale_f32 v12, vcc, v3, v2, v3
	v_fma_f32 v13, -v8, v9, 1.0
	v_fmac_f32_e32 v9, v13, v9
	v_mul_f32_e32 v13, v12, v9
	v_fma_f32 v16, -v8, v13, v12
	v_fmac_f32_e32 v13, v16, v9
	v_fma_f32 v8, -v8, v13, v12
	v_div_fmas_f32 v8, v8, v9, v13
	v_div_fixup_f32 v9, v8, v2, v3
	v_fmac_f32_e32 v2, v3, v9
	v_div_scale_f32 v3, s[2:3], v2, v2, 1.0
	v_rcp_f32_e32 v8, v3
	v_fma_f32 v12, -v3, v8, 1.0
	v_fmac_f32_e32 v8, v12, v8
	v_div_scale_f32 v12, vcc, 1.0, v2, 1.0
	v_mul_f32_e32 v13, v12, v8
	v_fma_f32 v16, -v3, v13, v12
	v_fmac_f32_e32 v13, v16, v8
	v_fma_f32 v3, -v3, v13, v12
	v_div_fmas_f32 v3, v3, v8, v13
	v_div_fixup_f32 v2, v3, v2, 1.0
	v_fma_f32 v3, v9, v11, v10
	v_mul_f32_e32 v8, v3, v2
	v_fma_f32 v3, -v9, v10, v11
	v_mul_f32_e32 v9, v3, v2
.LBB137_60:
	v_mov_b32_e32 v2, 0
	ds_read2_b64 v[10:13], v2 offset0:3 offset1:7
	ds_write_b64 v1, v[8:9] offset:64
	s_waitcnt lgkmcnt(1)
	v_mul_f32_e32 v3, v15, v11
	v_mul_f32_e32 v11, v14, v11
	v_fma_f32 v3, v14, v10, -v3
	v_fmac_f32_e32 v11, v15, v10
	v_sub_f32_e32 v10, v4, v3
	v_mul_f32_e32 v3, v7, v13
	v_sub_f32_e32 v11, v5, v11
	v_fma_f32 v14, v6, v12, -v3
	ds_read2_b64 v[2:5], v2 offset0:11 offset1:15
	v_mul_f32_e32 v6, v6, v13
	v_fmac_f32_e32 v6, v7, v12
	v_sub_f32_e32 v7, v10, v14
	v_sub_f32_e32 v10, v11, v6
	s_waitcnt lgkmcnt(0)
	v_mul_f32_e32 v6, v9, v3
	v_mul_f32_e32 v3, v8, v3
	v_cmp_gt_f32_e32 vcc, 0, v5
	v_fma_f32 v6, v8, v2, -v6
	v_fmac_f32_e32 v3, v9, v2
	v_cndmask_b32_e64 v2, v5, -v5, vcc
	v_cmp_gt_f32_e32 vcc, 0, v4
	v_sub_f32_e32 v6, v7, v6
	v_sub_f32_e32 v7, v10, v3
	v_cndmask_b32_e64 v3, v4, -v4, vcc
	v_cmp_ngt_f32_e32 vcc, v3, v2
	s_cbranch_vccz .LBB137_62
; %bb.61:
	v_div_scale_f32 v2, s[2:3], v5, v5, v4
	v_rcp_f32_e32 v3, v2
	v_div_scale_f32 v8, vcc, v4, v5, v4
	v_fma_f32 v9, -v2, v3, 1.0
	v_fmac_f32_e32 v3, v9, v3
	v_mul_f32_e32 v9, v8, v3
	v_fma_f32 v10, -v2, v9, v8
	v_fmac_f32_e32 v9, v10, v3
	v_fma_f32 v2, -v2, v9, v8
	v_div_fmas_f32 v2, v2, v3, v9
	v_div_fixup_f32 v3, v2, v5, v4
	v_fma_f32 v2, v4, v3, v5
	v_div_scale_f32 v8, s[2:3], v2, v2, 1.0
	v_rcp_f32_e32 v9, v8
	s_mov_b64 s[2:3], 0
	v_fma_f32 v10, -v8, v9, 1.0
	v_fmac_f32_e32 v9, v10, v9
	v_div_scale_f32 v10, vcc, 1.0, v2, 1.0
	v_mul_f32_e32 v11, v10, v9
	v_fma_f32 v12, -v8, v11, v10
	v_fmac_f32_e32 v11, v12, v9
	v_fma_f32 v8, -v8, v11, v10
	v_div_fmas_f32 v8, v8, v9, v11
	v_div_fixup_f32 v8, v8, v2, 1.0
	v_fma_f32 v2, v3, v6, v7
	v_fma_f32 v3, v3, v7, -v6
	v_mul_f32_e32 v2, v2, v8
	v_mul_f32_e32 v3, v3, v8
	s_branch .LBB137_63
.LBB137_62:
	s_mov_b64 s[2:3], -1
                                        ; implicit-def: $vgpr3
.LBB137_63:
	s_andn2_b64 vcc, exec, s[2:3]
	s_cbranch_vccnz .LBB137_65
; %bb.64:
	v_div_scale_f32 v2, s[2:3], v4, v4, v5
	v_rcp_f32_e32 v3, v2
	v_div_scale_f32 v8, vcc, v5, v4, v5
	v_fma_f32 v9, -v2, v3, 1.0
	v_fmac_f32_e32 v3, v9, v3
	v_mul_f32_e32 v9, v8, v3
	v_fma_f32 v10, -v2, v9, v8
	v_fmac_f32_e32 v9, v10, v3
	v_fma_f32 v2, -v2, v9, v8
	v_div_fmas_f32 v2, v2, v3, v9
	v_div_fixup_f32 v3, v2, v4, v5
	v_fmac_f32_e32 v4, v5, v3
	v_div_scale_f32 v2, s[2:3], v4, v4, 1.0
	v_rcp_f32_e32 v5, v2
	v_fma_f32 v8, -v2, v5, 1.0
	v_fmac_f32_e32 v5, v8, v5
	v_div_scale_f32 v8, vcc, 1.0, v4, 1.0
	v_mul_f32_e32 v9, v8, v5
	v_fma_f32 v10, -v2, v9, v8
	v_fmac_f32_e32 v9, v10, v5
	v_fma_f32 v2, -v2, v9, v8
	v_div_fmas_f32 v2, v2, v5, v9
	v_div_fixup_f32 v4, v2, v4, 1.0
	v_fma_f32 v2, v3, v7, v6
	v_fma_f32 v3, -v3, v6, v7
	v_mul_f32_e32 v2, v2, v4
	v_mul_f32_e32 v3, v3, v4
.LBB137_65:
	s_mov_b32 s4, 4
	ds_write_b64 v1, v[2:3] offset:96
.LBB137_66:
	s_cmp_ge_i32 s4, s33
	s_cbranch_scc1 .LBB137_76
; %bb.67:
	v_mov_b32_e32 v1, 0x80
	v_lshl_or_b32 v1, v0, 3, v1
	s_lshl_b32 s5, s4, 3
	v_lshlrev_b32_e32 v8, 3, v0
	s_branch .LBB137_69
.LBB137_68:                             ;   in Loop: Header=BB137_69 Depth=1
	s_add_i32 s4, s4, 1
	s_add_i32 s5, s5, 8
	s_cmp_ge_i32 s4, s33
	ds_write_b64 v9, v[6:7]
	s_cbranch_scc1 .LBB137_76
.LBB137_69:                             ; =>This Loop Header: Depth=1
                                        ;     Child Loop BB137_71 Depth 2
	v_lshl_or_b32 v4, s4, 5, v8
	ds_read_b64 v[2:3], v4 offset:128
	s_cmp_eq_u32 s4, 0
	s_cbranch_scc1 .LBB137_72
; %bb.70:                               ;   in Loop: Header=BB137_69 Depth=1
	s_mov_b32 s2, 0
	s_mov_b32 s3, s5
	v_mov_b32_e32 v5, v1
.LBB137_71:                             ;   Parent Loop BB137_69 Depth=1
                                        ; =>  This Inner Loop Header: Depth=2
	v_mov_b32_e32 v9, s3
	ds_read_b64 v[6:7], v5
	ds_read_b64 v[10:11], v9
	s_add_i32 s2, s2, 1
	s_add_i32 s3, s3, 32
	v_add_u32_e32 v5, 32, v5
	s_cmp_ge_u32 s2, s4
	s_waitcnt lgkmcnt(0)
	v_pk_mul_f32 v[12:13], v[10:11], v[6:7] op_sel:[0,1]
	v_pk_fma_f32 v[14:15], v[10:11], v[6:7], v[12:13] op_sel:[0,0,1] op_sel_hi:[1,0,0]
	v_pk_fma_f32 v[6:7], v[10:11], v[6:7], v[12:13] op_sel:[0,0,1] op_sel_hi:[1,0,0] neg_lo:[0,0,1] neg_hi:[0,0,1]
	v_mov_b32_e32 v7, v15
	v_pk_add_f32 v[2:3], v[2:3], v[6:7] neg_lo:[0,1] neg_hi:[0,1]
	s_cbranch_scc0 .LBB137_71
.LBB137_72:                             ;   in Loop: Header=BB137_69 Depth=1
	s_mul_i32 s2, s4, 40
	v_add_u32_e32 v9, 0x80, v4
	v_mov_b32_e32 v4, s2
	ds_read_b64 v[4:5], v4
	s_waitcnt lgkmcnt(0)
	v_cmp_gt_f32_e32 vcc, 0, v5
	v_cndmask_b32_e64 v6, v5, -v5, vcc
	v_cmp_gt_f32_e32 vcc, 0, v4
	v_cndmask_b32_e64 v7, v4, -v4, vcc
	v_cmp_ngt_f32_e32 vcc, v7, v6
	s_cbranch_vccz .LBB137_74
; %bb.73:                               ;   in Loop: Header=BB137_69 Depth=1
	v_div_scale_f32 v6, s[2:3], v5, v5, v4
	v_rcp_f32_e32 v7, v6
	v_div_scale_f32 v10, vcc, v4, v5, v4
	v_fma_f32 v11, -v6, v7, 1.0
	v_fmac_f32_e32 v7, v11, v7
	v_mul_f32_e32 v11, v10, v7
	v_fma_f32 v12, -v6, v11, v10
	v_fmac_f32_e32 v11, v12, v7
	v_fma_f32 v6, -v6, v11, v10
	v_div_fmas_f32 v6, v6, v7, v11
	v_div_fixup_f32 v6, v6, v5, v4
	v_fma_f32 v7, v4, v6, v5
	v_div_scale_f32 v10, s[2:3], v7, v7, 1.0
	v_rcp_f32_e32 v11, v10
	v_fma_f32 v12, -v10, v11, 1.0
	v_fmac_f32_e32 v11, v12, v11
	v_div_scale_f32 v12, vcc, 1.0, v7, 1.0
	v_mul_f32_e32 v13, v12, v11
	v_fma_f32 v14, -v10, v13, v12
	v_fmac_f32_e32 v13, v14, v11
	v_fma_f32 v10, -v10, v13, v12
	v_div_fmas_f32 v10, v10, v11, v13
	v_div_fixup_f32 v10, v10, v7, 1.0
	v_pk_fma_f32 v[12:13], v[2:3], v[6:7], v[2:3] op_sel:[0,0,1] op_sel_hi:[1,0,0] neg_lo:[0,0,1] neg_hi:[0,0,1]
	v_pk_fma_f32 v[6:7], v[2:3], v[6:7], v[2:3] op_sel:[0,0,1] op_sel_hi:[1,0,0]
	v_mov_b32_e32 v7, v13
	v_pk_mul_f32 v[6:7], v[6:7], v[10:11] op_sel_hi:[1,0]
	s_cbranch_execnz .LBB137_68
	s_branch .LBB137_75
.LBB137_74:                             ;   in Loop: Header=BB137_69 Depth=1
                                        ; implicit-def: $vgpr6_vgpr7
.LBB137_75:                             ;   in Loop: Header=BB137_69 Depth=1
	v_div_scale_f32 v6, s[2:3], v4, v4, v5
	v_rcp_f32_e32 v7, v6
	v_div_scale_f32 v10, vcc, v5, v4, v5
	v_fma_f32 v11, -v6, v7, 1.0
	v_fmac_f32_e32 v7, v11, v7
	v_mul_f32_e32 v11, v10, v7
	v_fma_f32 v12, -v6, v11, v10
	v_fmac_f32_e32 v11, v12, v7
	v_fma_f32 v6, -v6, v11, v10
	v_div_fmas_f32 v6, v6, v7, v11
	v_div_fixup_f32 v6, v6, v4, v5
	v_fmac_f32_e32 v4, v5, v6
	v_div_scale_f32 v5, s[2:3], v4, v4, 1.0
	v_rcp_f32_e32 v7, v5
	v_fma_f32 v10, -v5, v7, 1.0
	v_fmac_f32_e32 v7, v10, v7
	v_div_scale_f32 v10, vcc, 1.0, v4, 1.0
	v_mul_f32_e32 v11, v10, v7
	v_fma_f32 v12, -v5, v11, v10
	v_fmac_f32_e32 v11, v12, v7
	v_fma_f32 v5, -v5, v11, v10
	v_div_fmas_f32 v5, v5, v7, v11
	v_pk_mul_f32 v[6:7], v[2:3], v[6:7] op_sel_hi:[1,0]
	v_pk_add_f32 v[10:11], v[2:3], v[6:7] op_sel:[0,1] op_sel_hi:[1,0] neg_lo:[0,1] neg_hi:[0,1]
	v_pk_add_f32 v[2:3], v[2:3], v[6:7] op_sel:[0,1] op_sel_hi:[1,0]
	v_div_fixup_f32 v4, v5, v4, 1.0
	v_mov_b32_e32 v3, v11
	v_pk_mul_f32 v[6:7], v[2:3], v[4:5] op_sel_hi:[1,0]
	s_branch .LBB137_68
.LBB137_76:
	s_mov_b64 s[2:3], 0
.LBB137_77:
	s_and_b64 vcc, exec, s[2:3]
	s_cbranch_vccz .LBB137_109
; %bb.78:
	s_and_b64 vcc, exec, s[0:1]
	s_mov_b32 s4, s50
	s_cbranch_vccz .LBB137_100
; %bb.79:
	s_lshl_b32 s7, s50, 2
	s_add_i32 s9, s33, -2
	v_or_b32_e32 v1, s7, v0
	s_lshl_b32 s6, s9, 2
	s_add_i32 s8, s33, -3
	v_lshlrev_b32_e32 v16, 3, v1
	v_or_b32_e32 v1, s6, v0
	s_lshl_b32 s4, s8, 2
	v_lshlrev_b32_e32 v15, 3, v1
	v_or_b32_e32 v1, s4, v0
	s_mul_i32 s10, s50, 40
	v_lshlrev_b32_e32 v14, 3, v1
	s_add_i32 s5, s33, -4
	v_lshlrev_b32_e32 v1, 3, v0
	v_mov_b32_e32 v2, s10
	v_lshl_or_b32 v1, s5, 5, v1
	ds_read_b64 v[12:13], v2
	ds_read_b64 v[10:11], v16 offset:128
	ds_read_b64 v[8:9], v15 offset:128
	;; [unrolled: 1-line block ×4, first 2 shown]
	s_waitcnt lgkmcnt(4)
	v_cmp_gt_f32_e32 vcc, 0, v13
	v_cndmask_b32_e64 v4, v13, -v13, vcc
	v_cmp_gt_f32_e32 vcc, 0, v12
	v_cndmask_b32_e64 v5, v12, -v12, vcc
	v_cmp_ngt_f32_e32 vcc, v5, v4
	s_cbranch_vccz .LBB137_81
; %bb.80:
	v_div_scale_f32 v4, s[2:3], v13, v13, v12
	v_rcp_f32_e32 v5, v4
	v_div_scale_f32 v17, vcc, v12, v13, v12
	v_fma_f32 v18, -v4, v5, 1.0
	v_fmac_f32_e32 v5, v18, v5
	v_mul_f32_e32 v18, v17, v5
	v_fma_f32 v19, -v4, v18, v17
	v_fmac_f32_e32 v18, v19, v5
	v_fma_f32 v4, -v4, v18, v17
	v_div_fmas_f32 v4, v4, v5, v18
	v_div_fixup_f32 v5, v4, v13, v12
	v_fma_f32 v4, v12, v5, v13
	v_div_scale_f32 v17, s[2:3], v4, v4, 1.0
	v_rcp_f32_e32 v18, v17
	s_mov_b64 s[2:3], 0
	v_fma_f32 v19, -v17, v18, 1.0
	v_fmac_f32_e32 v18, v19, v18
	v_div_scale_f32 v19, vcc, 1.0, v4, 1.0
	v_mul_f32_e32 v20, v19, v18
	v_fma_f32 v21, -v17, v20, v19
	v_fmac_f32_e32 v20, v21, v18
	v_fma_f32 v17, -v17, v20, v19
	v_div_fmas_f32 v17, v17, v18, v20
	v_div_fixup_f32 v17, v17, v4, 1.0
	s_waitcnt lgkmcnt(3)
	v_fma_f32 v4, v10, v5, v11
	v_fma_f32 v5, v11, v5, -v10
	v_mul_f32_e32 v4, v4, v17
	v_mul_f32_e32 v5, v5, v17
	s_branch .LBB137_82
.LBB137_81:
	s_mov_b64 s[2:3], -1
                                        ; implicit-def: $vgpr5
.LBB137_82:
	s_andn2_b64 vcc, exec, s[2:3]
	v_add_u32_e32 v16, 0x80, v16
	s_cbranch_vccnz .LBB137_84
; %bb.83:
	v_div_scale_f32 v4, s[2:3], v12, v12, v13
	v_rcp_f32_e32 v5, v4
	v_div_scale_f32 v17, vcc, v13, v12, v13
	v_fma_f32 v18, -v4, v5, 1.0
	v_fmac_f32_e32 v5, v18, v5
	v_mul_f32_e32 v18, v17, v5
	v_fma_f32 v19, -v4, v18, v17
	v_fmac_f32_e32 v18, v19, v5
	v_fma_f32 v4, -v4, v18, v17
	v_div_fmas_f32 v4, v4, v5, v18
	v_div_fixup_f32 v5, v4, v12, v13
	v_fmac_f32_e32 v12, v13, v5
	v_div_scale_f32 v4, s[2:3], v12, v12, 1.0
	v_rcp_f32_e32 v13, v4
	v_fma_f32 v17, -v4, v13, 1.0
	v_fmac_f32_e32 v13, v17, v13
	v_div_scale_f32 v17, vcc, 1.0, v12, 1.0
	v_mul_f32_e32 v18, v17, v13
	v_fma_f32 v19, -v4, v18, v17
	v_fmac_f32_e32 v18, v19, v13
	v_fma_f32 v4, -v4, v18, v17
	v_div_fmas_f32 v4, v4, v13, v18
	v_div_fixup_f32 v12, v4, v12, 1.0
	s_waitcnt lgkmcnt(3)
	v_fma_f32 v4, v11, v5, v10
	v_fma_f32 v5, -v10, v5, v11
	v_mul_f32_e32 v4, v4, v12
	v_mul_f32_e32 v5, v5, v12
.LBB137_84:
	s_add_i32 s2, s7, s9
	s_lshl_b32 s2, s2, 3
	s_waitcnt lgkmcnt(3)
	v_mov_b32_e32 v10, s2
	s_sub_i32 s9, s10, 40
	ds_read_b64 v[12:13], v10
	v_mov_b32_e32 v10, s9
	ds_read_b64 v[10:11], v10
	ds_write_b64 v16, v[4:5]
	s_waitcnt lgkmcnt(2)
	v_mul_f32_e32 v16, v5, v13
	v_fma_f32 v16, v4, v12, -v16
	v_mul_f32_e32 v13, v4, v13
	s_waitcnt lgkmcnt(1)
	v_cmp_gt_f32_e32 vcc, 0, v11
	v_fmac_f32_e32 v13, v5, v12
	v_sub_f32_e32 v12, v8, v16
	v_cndmask_b32_e64 v8, v11, -v11, vcc
	v_cmp_gt_f32_e32 vcc, 0, v10
	v_sub_f32_e32 v13, v9, v13
	v_cndmask_b32_e64 v9, v10, -v10, vcc
	v_cmp_ngt_f32_e32 vcc, v9, v8
	s_cbranch_vccz .LBB137_86
; %bb.85:
	v_div_scale_f32 v8, s[2:3], v11, v11, v10
	v_rcp_f32_e32 v9, v8
	v_div_scale_f32 v16, vcc, v10, v11, v10
	v_fma_f32 v17, -v8, v9, 1.0
	v_fmac_f32_e32 v9, v17, v9
	v_mul_f32_e32 v17, v16, v9
	v_fma_f32 v18, -v8, v17, v16
	v_fmac_f32_e32 v17, v18, v9
	v_fma_f32 v8, -v8, v17, v16
	v_div_fmas_f32 v8, v8, v9, v17
	v_div_fixup_f32 v9, v8, v11, v10
	v_fma_f32 v8, v10, v9, v11
	v_div_scale_f32 v16, s[2:3], v8, v8, 1.0
	v_rcp_f32_e32 v17, v16
	s_mov_b64 s[2:3], 0
	v_fma_f32 v18, -v16, v17, 1.0
	v_fmac_f32_e32 v17, v18, v17
	v_div_scale_f32 v18, vcc, 1.0, v8, 1.0
	v_mul_f32_e32 v19, v18, v17
	v_fma_f32 v20, -v16, v19, v18
	v_fmac_f32_e32 v19, v20, v17
	v_fma_f32 v16, -v16, v19, v18
	v_div_fmas_f32 v16, v16, v17, v19
	v_div_fixup_f32 v16, v16, v8, 1.0
	v_fma_f32 v8, v9, v12, v13
	v_fma_f32 v9, v9, v13, -v12
	v_mul_f32_e32 v8, v8, v16
	v_mul_f32_e32 v9, v9, v16
	s_branch .LBB137_87
.LBB137_86:
	s_mov_b64 s[2:3], -1
                                        ; implicit-def: $vgpr9
.LBB137_87:
	s_andn2_b64 vcc, exec, s[2:3]
	v_add_u32_e32 v15, 0x80, v15
	s_cbranch_vccnz .LBB137_89
; %bb.88:
	v_div_scale_f32 v8, s[2:3], v10, v10, v11
	v_rcp_f32_e32 v9, v8
	v_div_scale_f32 v16, vcc, v11, v10, v11
	v_fma_f32 v17, -v8, v9, 1.0
	v_fmac_f32_e32 v9, v17, v9
	v_mul_f32_e32 v17, v16, v9
	v_fma_f32 v18, -v8, v17, v16
	v_fmac_f32_e32 v17, v18, v9
	v_fma_f32 v8, -v8, v17, v16
	v_div_fmas_f32 v8, v8, v9, v17
	v_div_fixup_f32 v9, v8, v10, v11
	v_fmac_f32_e32 v10, v11, v9
	v_div_scale_f32 v8, s[2:3], v10, v10, 1.0
	v_rcp_f32_e32 v11, v8
	v_fma_f32 v16, -v8, v11, 1.0
	v_fmac_f32_e32 v11, v16, v11
	v_div_scale_f32 v16, vcc, 1.0, v10, 1.0
	v_mul_f32_e32 v17, v16, v11
	v_fma_f32 v18, -v8, v17, v16
	v_fmac_f32_e32 v17, v18, v11
	v_fma_f32 v8, -v8, v17, v16
	v_div_fmas_f32 v8, v8, v11, v17
	v_div_fixup_f32 v10, v8, v10, 1.0
	v_fma_f32 v8, v9, v13, v12
	v_fma_f32 v9, -v9, v12, v13
	v_mul_f32_e32 v8, v8, v10
	v_mul_f32_e32 v9, v9, v10
.LBB137_89:
	s_add_i32 s2, s7, s8
	s_lshl_b32 s2, s2, 3
	v_mov_b32_e32 v10, s2
	s_add_i32 s2, s6, s8
	s_lshl_b32 s2, s2, 3
	ds_read_b64 v[12:13], v10
	s_sub_i32 s8, s9, 40
	ds_write_b64 v15, v[8:9]
	v_mov_b32_e32 v11, s2
	v_mov_b32_e32 v10, s8
	ds_read_b64 v[16:17], v11
	ds_read_b64 v[10:11], v10
	s_waitcnt lgkmcnt(3)
	v_mul_f32_e32 v15, v5, v13
	v_mul_f32_e32 v13, v4, v13
	v_fma_f32 v15, v4, v12, -v15
	v_fmac_f32_e32 v13, v5, v12
	s_waitcnt lgkmcnt(1)
	v_mul_f32_e32 v12, v9, v17
	v_sub_f32_e32 v6, v6, v15
	v_sub_f32_e32 v7, v7, v13
	v_fma_f32 v12, v8, v16, -v12
	v_mul_f32_e32 v13, v8, v17
	s_waitcnt lgkmcnt(0)
	v_cmp_gt_f32_e32 vcc, 0, v11
	v_fmac_f32_e32 v13, v9, v16
	v_sub_f32_e32 v6, v6, v12
	v_cndmask_b32_e64 v12, v11, -v11, vcc
	v_cmp_gt_f32_e32 vcc, 0, v10
	v_sub_f32_e32 v7, v7, v13
	v_cndmask_b32_e64 v13, v10, -v10, vcc
	v_cmp_ngt_f32_e32 vcc, v13, v12
	s_cbranch_vccz .LBB137_91
; %bb.90:
	v_div_scale_f32 v12, s[2:3], v11, v11, v10
	v_rcp_f32_e32 v13, v12
	v_div_scale_f32 v15, vcc, v10, v11, v10
	v_fma_f32 v16, -v12, v13, 1.0
	v_fmac_f32_e32 v13, v16, v13
	v_mul_f32_e32 v16, v15, v13
	v_fma_f32 v17, -v12, v16, v15
	v_fmac_f32_e32 v16, v17, v13
	v_fma_f32 v12, -v12, v16, v15
	v_div_fmas_f32 v12, v12, v13, v16
	v_div_fixup_f32 v13, v12, v11, v10
	v_fma_f32 v12, v10, v13, v11
	v_div_scale_f32 v15, s[2:3], v12, v12, 1.0
	v_rcp_f32_e32 v16, v15
	s_mov_b64 s[2:3], 0
	v_fma_f32 v17, -v15, v16, 1.0
	v_fmac_f32_e32 v16, v17, v16
	v_div_scale_f32 v17, vcc, 1.0, v12, 1.0
	v_mul_f32_e32 v18, v17, v16
	v_fma_f32 v19, -v15, v18, v17
	v_fmac_f32_e32 v18, v19, v16
	v_fma_f32 v15, -v15, v18, v17
	v_div_fmas_f32 v15, v15, v16, v18
	v_div_fixup_f32 v15, v15, v12, 1.0
	v_fma_f32 v12, v13, v6, v7
	v_fma_f32 v13, v13, v7, -v6
	v_mul_f32_e32 v12, v12, v15
	v_mul_f32_e32 v13, v13, v15
	s_branch .LBB137_92
.LBB137_91:
	s_mov_b64 s[2:3], -1
                                        ; implicit-def: $vgpr13
.LBB137_92:
	s_andn2_b64 vcc, exec, s[2:3]
	v_add_u32_e32 v14, 0x80, v14
	s_cbranch_vccnz .LBB137_94
; %bb.93:
	v_div_scale_f32 v12, s[2:3], v10, v10, v11
	v_rcp_f32_e32 v13, v12
	v_div_scale_f32 v15, vcc, v11, v10, v11
	v_fma_f32 v16, -v12, v13, 1.0
	v_fmac_f32_e32 v13, v16, v13
	v_mul_f32_e32 v16, v15, v13
	v_fma_f32 v17, -v12, v16, v15
	v_fmac_f32_e32 v16, v17, v13
	v_fma_f32 v12, -v12, v16, v15
	v_div_fmas_f32 v12, v12, v13, v16
	v_div_fixup_f32 v13, v12, v10, v11
	v_fmac_f32_e32 v10, v11, v13
	v_div_scale_f32 v11, s[2:3], v10, v10, 1.0
	v_rcp_f32_e32 v12, v11
	v_fma_f32 v15, -v11, v12, 1.0
	v_fmac_f32_e32 v12, v15, v12
	v_div_scale_f32 v15, vcc, 1.0, v10, 1.0
	v_mul_f32_e32 v16, v15, v12
	v_fma_f32 v17, -v11, v16, v15
	v_fmac_f32_e32 v16, v17, v12
	v_fma_f32 v11, -v11, v16, v15
	v_div_fmas_f32 v11, v11, v12, v16
	v_div_fixup_f32 v10, v11, v10, 1.0
	v_fma_f32 v11, v13, v7, v6
	v_fma_f32 v6, -v13, v6, v7
	v_mul_f32_e32 v12, v11, v10
	v_mul_f32_e32 v13, v6, v10
.LBB137_94:
	s_add_i32 s7, s7, s5
	s_lshl_b32 s2, s7, 3
	v_mov_b32_e32 v6, s2
	s_add_i32 s6, s6, s5
	ds_read_b64 v[10:11], v6
	s_lshl_b32 s2, s6, 3
	s_add_i32 s4, s4, s5
	v_mov_b32_e32 v7, s2
	s_lshl_b32 s2, s4, 3
	v_mov_b32_e32 v16, s2
	s_sub_i32 s2, s8, 40
	ds_write_b64 v14, v[12:13]
	v_mov_b32_e32 v6, s2
	ds_read_b64 v[14:15], v7
	ds_read_b64 v[16:17], v16
	;; [unrolled: 1-line block ×3, first 2 shown]
	s_waitcnt lgkmcnt(4)
	v_mul_f32_e32 v18, v5, v11
	v_fma_f32 v18, v4, v10, -v18
	v_mul_f32_e32 v4, v4, v11
	v_fmac_f32_e32 v4, v5, v10
	v_sub_f32_e32 v3, v3, v4
	s_waitcnt lgkmcnt(2)
	v_mul_f32_e32 v4, v9, v15
	v_sub_f32_e32 v2, v2, v18
	v_fma_f32 v4, v8, v14, -v4
	v_mul_f32_e32 v5, v8, v15
	v_fmac_f32_e32 v5, v9, v14
	v_sub_f32_e32 v2, v2, v4
	s_waitcnt lgkmcnt(1)
	v_mul_f32_e32 v4, v13, v17
	v_sub_f32_e32 v3, v3, v5
	v_fma_f32 v4, v12, v16, -v4
	v_mul_f32_e32 v5, v12, v17
	s_waitcnt lgkmcnt(0)
	v_cmp_gt_f32_e32 vcc, 0, v7
	v_fmac_f32_e32 v5, v13, v16
	v_sub_f32_e32 v4, v2, v4
	v_cndmask_b32_e64 v2, v7, -v7, vcc
	v_cmp_gt_f32_e32 vcc, 0, v6
	v_sub_f32_e32 v5, v3, v5
	v_cndmask_b32_e64 v3, v6, -v6, vcc
	v_cmp_ngt_f32_e32 vcc, v3, v2
	s_cbranch_vccz .LBB137_96
; %bb.95:
	v_div_scale_f32 v2, s[2:3], v7, v7, v6
	v_rcp_f32_e32 v3, v2
	v_div_scale_f32 v8, vcc, v6, v7, v6
	v_fma_f32 v9, -v2, v3, 1.0
	v_fmac_f32_e32 v3, v9, v3
	v_mul_f32_e32 v9, v8, v3
	v_fma_f32 v10, -v2, v9, v8
	v_fmac_f32_e32 v9, v10, v3
	v_fma_f32 v2, -v2, v9, v8
	v_div_fmas_f32 v2, v2, v3, v9
	v_div_fixup_f32 v3, v2, v7, v6
	v_fma_f32 v2, v6, v3, v7
	v_div_scale_f32 v8, s[2:3], v2, v2, 1.0
	v_rcp_f32_e32 v9, v8
	s_mov_b64 s[2:3], 0
	v_fma_f32 v10, -v8, v9, 1.0
	v_fmac_f32_e32 v9, v10, v9
	v_div_scale_f32 v10, vcc, 1.0, v2, 1.0
	v_mul_f32_e32 v11, v10, v9
	v_fma_f32 v12, -v8, v11, v10
	v_fmac_f32_e32 v11, v12, v9
	v_fma_f32 v8, -v8, v11, v10
	v_div_fmas_f32 v8, v8, v9, v11
	v_div_fixup_f32 v8, v8, v2, 1.0
	v_fma_f32 v2, v3, v4, v5
	v_fma_f32 v3, v3, v5, -v4
	v_mul_f32_e32 v2, v2, v8
	v_mul_f32_e32 v3, v3, v8
	s_branch .LBB137_97
.LBB137_96:
	s_mov_b64 s[2:3], -1
                                        ; implicit-def: $vgpr3
.LBB137_97:
	s_andn2_b64 vcc, exec, s[2:3]
	v_add_u32_e32 v1, 0x80, v1
	s_cbranch_vccnz .LBB137_99
; %bb.98:
	v_div_scale_f32 v2, s[2:3], v6, v6, v7
	v_rcp_f32_e32 v3, v2
	v_div_scale_f32 v8, vcc, v7, v6, v7
	v_fma_f32 v9, -v2, v3, 1.0
	v_fmac_f32_e32 v3, v9, v3
	v_mul_f32_e32 v9, v8, v3
	v_fma_f32 v10, -v2, v9, v8
	v_fmac_f32_e32 v9, v10, v3
	v_fma_f32 v2, -v2, v9, v8
	v_div_fmas_f32 v2, v2, v3, v9
	v_div_fixup_f32 v3, v2, v6, v7
	v_fmac_f32_e32 v6, v7, v3
	v_div_scale_f32 v2, s[2:3], v6, v6, 1.0
	v_rcp_f32_e32 v7, v2
	v_fma_f32 v8, -v2, v7, 1.0
	v_fmac_f32_e32 v7, v8, v7
	v_div_scale_f32 v8, vcc, 1.0, v6, 1.0
	v_mul_f32_e32 v9, v8, v7
	v_fma_f32 v10, -v2, v9, v8
	v_fmac_f32_e32 v9, v10, v7
	v_fma_f32 v2, -v2, v9, v8
	v_div_fmas_f32 v2, v2, v7, v9
	v_div_fixup_f32 v6, v2, v6, 1.0
	v_fma_f32 v2, v3, v5, v4
	v_fma_f32 v3, -v3, v4, v5
	v_mul_f32_e32 v2, v2, v6
	v_mul_f32_e32 v3, v3, v6
.LBB137_99:
	ds_write_b64 v1, v[2:3]
	s_add_i32 s4, s33, -5
.LBB137_100:
	s_cmp_lt_i32 s4, 0
	s_cbranch_scc1 .LBB137_109
; %bb.101:
	s_lshl_b32 s2, s33, 5
	s_lshl_b32 s3, s4, 3
	v_lshl_or_b32 v1, v0, 3, s2
	s_add_i32 s2, s2, s3
	v_add_u32_e32 v1, 0x60, v1
	s_sub_i32 s5, s2, 32
	v_lshlrev_b32_e32 v8, 3, v0
	s_branch .LBB137_103
.LBB137_102:                            ;   in Loop: Header=BB137_103 Depth=1
	s_add_i32 s2, s4, -1
	s_add_i32 s5, s5, -8
	s_cmp_lt_i32 s4, 1
	s_mov_b32 s4, s2
	ds_write_b64 v9, v[6:7]
	s_cbranch_scc1 .LBB137_109
.LBB137_103:                            ; =>This Loop Header: Depth=1
                                        ;     Child Loop BB137_104 Depth 2
	v_lshl_or_b32 v4, s4, 5, v8
	ds_read_b64 v[2:3], v4 offset:128
	s_cmp_le_i32 s50, s4
	s_mov_b32 s2, s5
	v_mov_b32_e32 v5, v1
	s_mov_b32 s3, s50
	s_cbranch_scc1 .LBB137_105
.LBB137_104:                            ;   Parent Loop BB137_103 Depth=1
                                        ; =>  This Inner Loop Header: Depth=2
	v_mov_b32_e32 v9, s2
	ds_read_b64 v[6:7], v5
	ds_read_b64 v[10:11], v9
	s_add_i32 s3, s3, -1
	s_sub_i32 s2, s2, 32
	v_subrev_u32_e32 v5, 32, v5
	s_cmp_le_i32 s3, s4
	s_waitcnt lgkmcnt(0)
	v_pk_mul_f32 v[12:13], v[10:11], v[6:7] op_sel:[0,1]
	v_pk_fma_f32 v[14:15], v[10:11], v[6:7], v[12:13] op_sel:[0,0,1] op_sel_hi:[1,0,0]
	v_pk_fma_f32 v[6:7], v[10:11], v[6:7], v[12:13] op_sel:[0,0,1] op_sel_hi:[1,0,0] neg_lo:[0,0,1] neg_hi:[0,0,1]
	v_mov_b32_e32 v7, v15
	v_pk_add_f32 v[2:3], v[2:3], v[6:7] neg_lo:[0,1] neg_hi:[0,1]
	s_cbranch_scc0 .LBB137_104
.LBB137_105:                            ;   in Loop: Header=BB137_103 Depth=1
	s_mul_i32 s2, s4, 40
	v_add_u32_e32 v9, 0x80, v4
	v_mov_b32_e32 v4, s2
	ds_read_b64 v[4:5], v4
	s_waitcnt lgkmcnt(0)
	v_cmp_gt_f32_e32 vcc, 0, v5
	v_cndmask_b32_e64 v6, v5, -v5, vcc
	v_cmp_gt_f32_e32 vcc, 0, v4
	v_cndmask_b32_e64 v7, v4, -v4, vcc
	v_cmp_ngt_f32_e32 vcc, v7, v6
	s_cbranch_vccz .LBB137_107
; %bb.106:                              ;   in Loop: Header=BB137_103 Depth=1
	v_div_scale_f32 v6, s[2:3], v5, v5, v4
	v_rcp_f32_e32 v7, v6
	v_div_scale_f32 v10, vcc, v4, v5, v4
	v_fma_f32 v11, -v6, v7, 1.0
	v_fmac_f32_e32 v7, v11, v7
	v_mul_f32_e32 v11, v10, v7
	v_fma_f32 v12, -v6, v11, v10
	v_fmac_f32_e32 v11, v12, v7
	v_fma_f32 v6, -v6, v11, v10
	v_div_fmas_f32 v6, v6, v7, v11
	v_div_fixup_f32 v6, v6, v5, v4
	v_fma_f32 v7, v4, v6, v5
	v_div_scale_f32 v10, s[2:3], v7, v7, 1.0
	v_rcp_f32_e32 v11, v10
	v_fma_f32 v12, -v10, v11, 1.0
	v_fmac_f32_e32 v11, v12, v11
	v_div_scale_f32 v12, vcc, 1.0, v7, 1.0
	v_mul_f32_e32 v13, v12, v11
	v_fma_f32 v14, -v10, v13, v12
	v_fmac_f32_e32 v13, v14, v11
	v_fma_f32 v10, -v10, v13, v12
	v_div_fmas_f32 v10, v10, v11, v13
	v_div_fixup_f32 v10, v10, v7, 1.0
	v_pk_fma_f32 v[12:13], v[2:3], v[6:7], v[2:3] op_sel:[0,0,1] op_sel_hi:[1,0,0] neg_lo:[0,0,1] neg_hi:[0,0,1]
	v_pk_fma_f32 v[6:7], v[2:3], v[6:7], v[2:3] op_sel:[0,0,1] op_sel_hi:[1,0,0]
	v_mov_b32_e32 v7, v13
	v_pk_mul_f32 v[6:7], v[6:7], v[10:11] op_sel_hi:[1,0]
	s_cbranch_execnz .LBB137_102
	s_branch .LBB137_108
.LBB137_107:                            ;   in Loop: Header=BB137_103 Depth=1
                                        ; implicit-def: $vgpr6_vgpr7
.LBB137_108:                            ;   in Loop: Header=BB137_103 Depth=1
	v_div_scale_f32 v6, s[2:3], v4, v4, v5
	v_rcp_f32_e32 v7, v6
	v_div_scale_f32 v10, vcc, v5, v4, v5
	v_fma_f32 v11, -v6, v7, 1.0
	v_fmac_f32_e32 v7, v11, v7
	v_mul_f32_e32 v11, v10, v7
	v_fma_f32 v12, -v6, v11, v10
	v_fmac_f32_e32 v11, v12, v7
	v_fma_f32 v6, -v6, v11, v10
	v_div_fmas_f32 v6, v6, v7, v11
	v_div_fixup_f32 v6, v6, v4, v5
	v_fmac_f32_e32 v4, v5, v6
	v_div_scale_f32 v5, s[2:3], v4, v4, 1.0
	v_rcp_f32_e32 v7, v5
	v_fma_f32 v10, -v5, v7, 1.0
	v_fmac_f32_e32 v7, v10, v7
	v_div_scale_f32 v10, vcc, 1.0, v4, 1.0
	v_mul_f32_e32 v11, v10, v7
	v_fma_f32 v12, -v5, v11, v10
	v_fmac_f32_e32 v11, v12, v7
	v_fma_f32 v5, -v5, v11, v10
	v_div_fmas_f32 v5, v5, v7, v11
	v_pk_mul_f32 v[6:7], v[2:3], v[6:7] op_sel_hi:[1,0]
	v_pk_add_f32 v[10:11], v[2:3], v[6:7] op_sel:[0,1] op_sel_hi:[1,0] neg_lo:[0,1] neg_hi:[0,1]
	v_pk_add_f32 v[2:3], v[2:3], v[6:7] op_sel:[0,1] op_sel_hi:[1,0]
	v_div_fixup_f32 v4, v5, v4, 1.0
	v_mov_b32_e32 v3, v11
	v_pk_mul_f32 v[6:7], v[2:3], v[4:5] op_sel_hi:[1,0]
	s_branch .LBB137_102
.LBB137_109:
	s_mov_b64 s[4:5], 0
.LBB137_110:
	s_andn2_b64 vcc, exec, s[4:5]
	s_cbranch_vccnz .LBB137_138
; %bb.111:
	s_and_b64 vcc, exec, s[0:1]
	s_mov_b32 s2, s50
	s_cbranch_vccz .LBB137_129
; %bb.112:
	s_lshl_b32 s3, s33, 2
	v_lshlrev_b32_e32 v1, 3, v0
	s_add_i32 s2, s33, -2
	s_add_i32 s4, s3, -12
	v_lshl_or_b32 v16, s50, 5, v1
	v_lshl_or_b32 v15, s2, 5, v1
	v_or_b32_e32 v1, s4, v0
	s_add_i32 s3, s3, -16
	s_mul_i32 s5, s50, 40
	v_lshlrev_b32_e32 v14, 3, v1
	v_or_b32_e32 v1, s3, v0
	v_mov_b32_e32 v2, s5
	v_lshlrev_b32_e32 v1, 3, v1
	ds_read_b64 v[4:5], v2
	ds_read_b64 v[2:3], v16 offset:128
	ds_read_b64 v[12:13], v15 offset:128
	;; [unrolled: 1-line block ×4, first 2 shown]
	s_waitcnt lgkmcnt(4)
	v_cmp_gt_f32_e32 vcc, 0, v5
	v_cndmask_b32_e64 v8, v5, -v5, vcc
	v_cmp_gt_f32_e32 vcc, 0, v4
	v_cndmask_b32_e64 v9, v4, -v4, vcc
	v_cmp_ngt_f32_e32 vcc, v9, v8
	s_cbranch_vccz .LBB137_114
; %bb.113:
	v_div_scale_f32 v8, s[0:1], v5, v5, v4
	v_rcp_f32_e32 v9, v8
	v_div_scale_f32 v17, vcc, v4, v5, v4
	v_fma_f32 v18, -v8, v9, 1.0
	v_fmac_f32_e32 v9, v18, v9
	v_mul_f32_e32 v18, v17, v9
	v_fma_f32 v19, -v8, v18, v17
	v_fmac_f32_e32 v18, v19, v9
	v_fma_f32 v8, -v8, v18, v17
	v_div_fmas_f32 v8, v8, v9, v18
	v_div_fixup_f32 v9, v8, v5, v4
	v_fma_f32 v8, v4, v9, v5
	v_div_scale_f32 v17, s[0:1], v8, v8, 1.0
	v_rcp_f32_e32 v18, v17
	v_fma_f32 v19, -v17, v18, 1.0
	v_fmac_f32_e32 v18, v19, v18
	v_div_scale_f32 v19, vcc, 1.0, v8, 1.0
	v_mul_f32_e32 v20, v19, v18
	v_fma_f32 v21, -v17, v20, v19
	v_fmac_f32_e32 v20, v21, v18
	v_fma_f32 v17, -v17, v20, v19
	v_div_fmas_f32 v17, v17, v18, v20
	v_div_fixup_f32 v17, v17, v8, 1.0
	s_waitcnt lgkmcnt(3)
	v_fma_f32 v8, v2, v9, v3
	v_fma_f32 v9, v3, v9, -v2
	v_mul_f32_e32 v8, v8, v17
	v_mul_f32_e32 v9, v9, v17
	v_add_u32_e32 v16, 0x80, v16
	s_cbranch_execz .LBB137_115
	s_branch .LBB137_116
.LBB137_114:
                                        ; implicit-def: $vgpr9
	v_add_u32_e32 v16, 0x80, v16
.LBB137_115:
	v_div_scale_f32 v8, s[0:1], v4, v4, v5
	v_rcp_f32_e32 v9, v8
	v_div_scale_f32 v17, vcc, v5, v4, v5
	v_fma_f32 v18, -v8, v9, 1.0
	v_fmac_f32_e32 v9, v18, v9
	v_mul_f32_e32 v18, v17, v9
	v_fma_f32 v19, -v8, v18, v17
	v_fmac_f32_e32 v18, v19, v9
	v_fma_f32 v8, -v8, v18, v17
	v_div_fmas_f32 v8, v8, v9, v18
	v_div_fixup_f32 v9, v8, v4, v5
	v_fmac_f32_e32 v4, v5, v9
	v_div_scale_f32 v5, s[0:1], v4, v4, 1.0
	v_rcp_f32_e32 v8, v5
	v_fma_f32 v17, -v5, v8, 1.0
	v_fmac_f32_e32 v8, v17, v8
	v_div_scale_f32 v17, vcc, 1.0, v4, 1.0
	v_mul_f32_e32 v18, v17, v8
	v_fma_f32 v19, -v5, v18, v17
	v_fmac_f32_e32 v18, v19, v8
	v_fma_f32 v5, -v5, v18, v17
	v_div_fmas_f32 v5, v5, v8, v18
	v_div_fixup_f32 v4, v5, v4, 1.0
	s_waitcnt lgkmcnt(3)
	v_fma_f32 v5, v3, v9, v2
	v_fma_f32 v2, -v2, v9, v3
	v_mul_f32_e32 v8, v5, v4
	v_mul_f32_e32 v9, v2, v4
.LBB137_116:
	s_sub_i32 s5, s5, 40
	s_waitcnt lgkmcnt(3)
	v_mov_b32_e32 v2, s5
	ds_read2_b64 v[2:5], v2 offset1:1
	ds_write_b64 v16, v[8:9]
	s_waitcnt lgkmcnt(1)
	v_mul_f32_e32 v16, v9, v5
	v_mul_f32_e32 v5, v8, v5
	v_fma_f32 v16, v8, v4, -v16
	v_cmp_gt_f32_e32 vcc, 0, v3
	v_fmac_f32_e32 v5, v9, v4
	v_sub_f32_e32 v4, v12, v16
	v_cndmask_b32_e64 v12, v3, -v3, vcc
	v_cmp_gt_f32_e32 vcc, 0, v2
	v_sub_f32_e32 v5, v13, v5
	v_cndmask_b32_e64 v13, v2, -v2, vcc
	v_cmp_ngt_f32_e32 vcc, v13, v12
	s_cbranch_vccz .LBB137_118
; %bb.117:
	v_div_scale_f32 v12, s[0:1], v3, v3, v2
	v_rcp_f32_e32 v13, v12
	v_div_scale_f32 v16, vcc, v2, v3, v2
	v_fma_f32 v17, -v12, v13, 1.0
	v_fmac_f32_e32 v13, v17, v13
	v_mul_f32_e32 v17, v16, v13
	v_fma_f32 v18, -v12, v17, v16
	v_fmac_f32_e32 v17, v18, v13
	v_fma_f32 v12, -v12, v17, v16
	v_div_fmas_f32 v12, v12, v13, v17
	v_div_fixup_f32 v13, v12, v3, v2
	v_fma_f32 v12, v2, v13, v3
	v_div_scale_f32 v16, s[0:1], v12, v12, 1.0
	v_rcp_f32_e32 v17, v16
	v_fma_f32 v18, -v16, v17, 1.0
	v_fmac_f32_e32 v17, v18, v17
	v_div_scale_f32 v18, vcc, 1.0, v12, 1.0
	v_mul_f32_e32 v19, v18, v17
	v_fma_f32 v20, -v16, v19, v18
	v_fmac_f32_e32 v19, v20, v17
	v_fma_f32 v16, -v16, v19, v18
	v_div_fmas_f32 v16, v16, v17, v19
	v_div_fixup_f32 v16, v16, v12, 1.0
	v_fma_f32 v12, v13, v4, v5
	v_fma_f32 v13, v13, v5, -v4
	v_mul_f32_e32 v12, v12, v16
	v_mul_f32_e32 v13, v13, v16
	v_add_u32_e32 v15, 0x80, v15
	s_cbranch_execz .LBB137_119
	s_branch .LBB137_120
.LBB137_118:
                                        ; implicit-def: $vgpr13
	v_add_u32_e32 v15, 0x80, v15
.LBB137_119:
	v_div_scale_f32 v12, s[0:1], v2, v2, v3
	v_rcp_f32_e32 v13, v12
	v_div_scale_f32 v16, vcc, v3, v2, v3
	v_fma_f32 v17, -v12, v13, 1.0
	v_fmac_f32_e32 v13, v17, v13
	v_mul_f32_e32 v17, v16, v13
	v_fma_f32 v18, -v12, v17, v16
	v_fmac_f32_e32 v17, v18, v13
	v_fma_f32 v12, -v12, v17, v16
	v_div_fmas_f32 v12, v12, v13, v17
	v_div_fixup_f32 v13, v12, v2, v3
	v_fmac_f32_e32 v2, v3, v13
	v_div_scale_f32 v3, s[0:1], v2, v2, 1.0
	v_rcp_f32_e32 v12, v3
	v_fma_f32 v16, -v3, v12, 1.0
	v_fmac_f32_e32 v12, v16, v12
	v_div_scale_f32 v16, vcc, 1.0, v2, 1.0
	v_mul_f32_e32 v17, v16, v12
	v_fma_f32 v18, -v3, v17, v16
	v_fmac_f32_e32 v17, v18, v12
	v_fma_f32 v3, -v3, v17, v16
	v_div_fmas_f32 v3, v3, v12, v17
	v_div_fixup_f32 v2, v3, v2, 1.0
	v_fma_f32 v3, v13, v5, v4
	v_mul_f32_e32 v12, v3, v2
	v_fma_f32 v3, -v13, v4, v5
	v_mul_f32_e32 v13, v3, v2
.LBB137_120:
	s_add_i32 s4, s4, s50
	s_lshl_b32 s0, s4, 3
	v_mov_b32_e32 v2, s0
	ds_read_b64 v[16:17], v2
	s_sub_i32 s4, s5, 40
	v_mov_b32_e32 v2, s4
	ds_read2_b64 v[2:5], v2 offset1:1
	ds_write_b64 v15, v[12:13]
	s_waitcnt lgkmcnt(2)
	v_mul_f32_e32 v15, v9, v17
	v_fma_f32 v15, v8, v16, -v15
	v_mul_f32_e32 v17, v8, v17
	v_sub_f32_e32 v10, v10, v15
	s_waitcnt lgkmcnt(1)
	v_mul_f32_e32 v15, v13, v5
	v_fmac_f32_e32 v17, v9, v16
	v_fma_f32 v15, v12, v4, -v15
	v_mul_f32_e32 v5, v12, v5
	v_cmp_gt_f32_e32 vcc, 0, v3
	v_sub_f32_e32 v11, v11, v17
	v_fmac_f32_e32 v5, v13, v4
	v_sub_f32_e32 v4, v10, v15
	v_cndmask_b32_e64 v10, v3, -v3, vcc
	v_cmp_gt_f32_e32 vcc, 0, v2
	v_sub_f32_e32 v5, v11, v5
	v_cndmask_b32_e64 v11, v2, -v2, vcc
	v_cmp_ngt_f32_e32 vcc, v11, v10
	s_cbranch_vccz .LBB137_122
; %bb.121:
	v_div_scale_f32 v10, s[0:1], v3, v3, v2
	v_rcp_f32_e32 v11, v10
	v_div_scale_f32 v15, vcc, v2, v3, v2
	v_fma_f32 v16, -v10, v11, 1.0
	v_fmac_f32_e32 v11, v16, v11
	v_mul_f32_e32 v16, v15, v11
	v_fma_f32 v17, -v10, v16, v15
	v_fmac_f32_e32 v16, v17, v11
	v_fma_f32 v10, -v10, v16, v15
	v_div_fmas_f32 v10, v10, v11, v16
	v_div_fixup_f32 v11, v10, v3, v2
	v_fma_f32 v10, v2, v11, v3
	v_div_scale_f32 v15, s[0:1], v10, v10, 1.0
	v_rcp_f32_e32 v16, v15
	v_fma_f32 v17, -v15, v16, 1.0
	v_fmac_f32_e32 v16, v17, v16
	v_div_scale_f32 v17, vcc, 1.0, v10, 1.0
	v_mul_f32_e32 v18, v17, v16
	v_fma_f32 v19, -v15, v18, v17
	v_fmac_f32_e32 v18, v19, v16
	v_fma_f32 v15, -v15, v18, v17
	v_div_fmas_f32 v15, v15, v16, v18
	v_div_fixup_f32 v15, v15, v10, 1.0
	v_fma_f32 v10, v11, v4, v5
	v_fma_f32 v11, v11, v5, -v4
	v_mul_f32_e32 v10, v10, v15
	v_mul_f32_e32 v11, v11, v15
	v_add_u32_e32 v14, 0x80, v14
	s_cbranch_execz .LBB137_123
	s_branch .LBB137_124
.LBB137_122:
                                        ; implicit-def: $vgpr11
	v_add_u32_e32 v14, 0x80, v14
.LBB137_123:
	v_div_scale_f32 v10, s[0:1], v2, v2, v3
	v_rcp_f32_e32 v11, v10
	v_div_scale_f32 v15, vcc, v3, v2, v3
	v_fma_f32 v16, -v10, v11, 1.0
	v_fmac_f32_e32 v11, v16, v11
	v_mul_f32_e32 v16, v15, v11
	v_fma_f32 v17, -v10, v16, v15
	v_fmac_f32_e32 v16, v17, v11
	v_fma_f32 v10, -v10, v16, v15
	v_div_fmas_f32 v10, v10, v11, v16
	v_div_fixup_f32 v11, v10, v2, v3
	v_fmac_f32_e32 v2, v3, v11
	v_div_scale_f32 v3, s[0:1], v2, v2, 1.0
	v_rcp_f32_e32 v10, v3
	v_fma_f32 v15, -v3, v10, 1.0
	v_fmac_f32_e32 v10, v15, v10
	v_div_scale_f32 v15, vcc, 1.0, v2, 1.0
	v_mul_f32_e32 v16, v15, v10
	v_fma_f32 v17, -v3, v16, v15
	v_fmac_f32_e32 v16, v17, v10
	v_fma_f32 v3, -v3, v16, v15
	v_div_fmas_f32 v3, v3, v10, v16
	v_div_fixup_f32 v2, v3, v2, 1.0
	v_fma_f32 v3, v11, v5, v4
	v_mul_f32_e32 v10, v3, v2
	v_fma_f32 v3, -v11, v4, v5
	v_mul_f32_e32 v11, v3, v2
.LBB137_124:
	s_add_i32 s3, s3, s2
	s_lshl_b32 s0, s3, 3
	v_mov_b32_e32 v2, s0
	ds_read2_b64 v[16:19], v2 offset1:1
	s_sub_i32 s0, s4, 40
	v_mov_b32_e32 v2, s0
	ds_write_b64 v14, v[10:11]
	ds_read2_b64 v[2:5], v2 offset1:1
	s_waitcnt lgkmcnt(2)
	v_mul_f32_e32 v14, v9, v19
	v_fma_f32 v14, v8, v18, -v14
	v_mul_f32_e32 v8, v8, v19
	v_fmac_f32_e32 v8, v9, v18
	v_sub_f32_e32 v7, v7, v8
	v_mul_f32_e32 v8, v13, v17
	v_sub_f32_e32 v6, v6, v14
	v_fma_f32 v8, v12, v16, -v8
	v_mul_f32_e32 v9, v12, v17
	v_fmac_f32_e32 v9, v13, v16
	v_sub_f32_e32 v6, v6, v8
	s_waitcnt lgkmcnt(0)
	v_mul_f32_e32 v8, v11, v5
	v_mul_f32_e32 v5, v10, v5
	v_cmp_gt_f32_e32 vcc, 0, v3
	v_sub_f32_e32 v7, v7, v9
	v_fma_f32 v8, v10, v4, -v8
	v_fmac_f32_e32 v5, v11, v4
	v_cndmask_b32_e64 v4, v3, -v3, vcc
	v_cmp_gt_f32_e32 vcc, 0, v2
	v_sub_f32_e32 v7, v7, v5
	v_cndmask_b32_e64 v5, v2, -v2, vcc
	v_cmp_ngt_f32_e32 vcc, v5, v4
	v_sub_f32_e32 v6, v6, v8
	s_cbranch_vccz .LBB137_126
; %bb.125:
	v_div_scale_f32 v4, s[0:1], v3, v3, v2
	v_rcp_f32_e32 v5, v4
	v_div_scale_f32 v8, vcc, v2, v3, v2
	v_fma_f32 v9, -v4, v5, 1.0
	v_fmac_f32_e32 v5, v9, v5
	v_mul_f32_e32 v9, v8, v5
	v_fma_f32 v10, -v4, v9, v8
	v_fmac_f32_e32 v9, v10, v5
	v_fma_f32 v4, -v4, v9, v8
	v_div_fmas_f32 v4, v4, v5, v9
	v_div_fixup_f32 v5, v4, v3, v2
	v_fma_f32 v4, v2, v5, v3
	v_div_scale_f32 v8, s[0:1], v4, v4, 1.0
	v_rcp_f32_e32 v9, v8
	v_fma_f32 v10, -v8, v9, 1.0
	v_fmac_f32_e32 v9, v10, v9
	v_div_scale_f32 v10, vcc, 1.0, v4, 1.0
	v_mul_f32_e32 v11, v10, v9
	v_fma_f32 v12, -v8, v11, v10
	v_fmac_f32_e32 v11, v12, v9
	v_fma_f32 v8, -v8, v11, v10
	v_div_fmas_f32 v8, v8, v9, v11
	v_div_fixup_f32 v8, v8, v4, 1.0
	v_fma_f32 v4, v5, v6, v7
	v_fma_f32 v5, v5, v7, -v6
	v_mul_f32_e32 v4, v4, v8
	v_mul_f32_e32 v5, v5, v8
	v_add_u32_e32 v1, 0x80, v1
	s_cbranch_execz .LBB137_127
	s_branch .LBB137_128
.LBB137_126:
                                        ; implicit-def: $vgpr5
	v_add_u32_e32 v1, 0x80, v1
.LBB137_127:
	v_div_scale_f32 v4, s[0:1], v2, v2, v3
	v_rcp_f32_e32 v5, v4
	v_div_scale_f32 v8, vcc, v3, v2, v3
	v_fma_f32 v9, -v4, v5, 1.0
	v_fmac_f32_e32 v5, v9, v5
	v_mul_f32_e32 v9, v8, v5
	v_fma_f32 v10, -v4, v9, v8
	v_fmac_f32_e32 v9, v10, v5
	v_fma_f32 v4, -v4, v9, v8
	v_div_fmas_f32 v4, v4, v5, v9
	v_div_fixup_f32 v5, v4, v2, v3
	v_fmac_f32_e32 v2, v3, v5
	v_div_scale_f32 v3, s[0:1], v2, v2, 1.0
	v_rcp_f32_e32 v4, v3
	v_fma_f32 v8, -v3, v4, 1.0
	v_fmac_f32_e32 v4, v8, v4
	v_div_scale_f32 v8, vcc, 1.0, v2, 1.0
	v_mul_f32_e32 v9, v8, v4
	v_fma_f32 v10, -v3, v9, v8
	v_fmac_f32_e32 v9, v10, v4
	v_fma_f32 v3, -v3, v9, v8
	v_div_fmas_f32 v3, v3, v4, v9
	v_div_fixup_f32 v2, v3, v2, 1.0
	v_fma_f32 v3, v5, v7, v6
	v_mul_f32_e32 v4, v3, v2
	v_fma_f32 v3, -v5, v6, v7
	v_mul_f32_e32 v5, v3, v2
.LBB137_128:
	s_add_i32 s2, s33, -5
	ds_write_b64 v1, v[4:5]
.LBB137_129:
	s_cmp_lt_i32 s2, 0
	s_cbranch_scc1 .LBB137_138
; %bb.130:
	v_lshlrev_b32_e32 v1, 3, v0
	s_lshl_b32 s0, s2, 5
	s_lshl_b32 s1, s33, 3
	v_lshl_or_b32 v2, s33, 5, v1
	s_add_i32 s0, s0, s1
	v_add_u32_e32 v8, 0x60, v2
	s_add_i32 s3, s0, -8
	s_branch .LBB137_132
.LBB137_131:                            ;   in Loop: Header=BB137_132 Depth=1
	s_add_i32 s0, s2, -1
	s_sub_i32 s3, s3, 32
	s_cmp_lt_i32 s2, 1
	s_mov_b32 s2, s0
	ds_write_b64 v9, v[6:7]
	s_cbranch_scc1 .LBB137_138
.LBB137_132:                            ; =>This Loop Header: Depth=1
                                        ;     Child Loop BB137_133 Depth 2
	v_lshl_or_b32 v4, s2, 5, v1
	ds_read_b64 v[2:3], v4 offset:128
	s_cmp_le_i32 s50, s2
	s_mov_b32 s0, s3
	v_mov_b32_e32 v5, v8
	s_mov_b32 s1, s50
	s_cbranch_scc1 .LBB137_134
.LBB137_133:                            ;   Parent Loop BB137_132 Depth=1
                                        ; =>  This Inner Loop Header: Depth=2
	v_mov_b32_e32 v9, s0
	ds_read_b64 v[6:7], v5
	ds_read_b64 v[10:11], v9
	s_add_i32 s1, s1, -1
	s_add_i32 s0, s0, -8
	v_subrev_u32_e32 v5, 32, v5
	s_cmp_le_i32 s1, s2
	s_waitcnt lgkmcnt(0)
	v_pk_mul_f32 v[12:13], v[10:11], v[6:7] op_sel:[0,1]
	v_pk_fma_f32 v[14:15], v[10:11], v[6:7], v[12:13] op_sel:[0,0,1] op_sel_hi:[1,0,0]
	v_pk_fma_f32 v[6:7], v[10:11], v[6:7], v[12:13] op_sel:[0,0,1] op_sel_hi:[1,0,0] neg_lo:[0,0,1] neg_hi:[0,0,1]
	v_mov_b32_e32 v7, v15
	v_pk_add_f32 v[2:3], v[2:3], v[6:7] neg_lo:[0,1] neg_hi:[0,1]
	s_cbranch_scc0 .LBB137_133
.LBB137_134:                            ;   in Loop: Header=BB137_132 Depth=1
	s_mul_i32 s0, s2, 40
	v_add_u32_e32 v9, 0x80, v4
	v_mov_b32_e32 v4, s0
	ds_read_b64 v[4:5], v4
	s_waitcnt lgkmcnt(0)
	v_cmp_gt_f32_e32 vcc, 0, v5
	v_cndmask_b32_e64 v6, v5, -v5, vcc
	v_cmp_gt_f32_e32 vcc, 0, v4
	v_cndmask_b32_e64 v7, v4, -v4, vcc
	v_cmp_ngt_f32_e32 vcc, v7, v6
	s_cbranch_vccz .LBB137_136
; %bb.135:                              ;   in Loop: Header=BB137_132 Depth=1
	v_div_scale_f32 v6, s[0:1], v5, v5, v4
	v_rcp_f32_e32 v7, v6
	v_div_scale_f32 v10, vcc, v4, v5, v4
	v_fma_f32 v11, -v6, v7, 1.0
	v_fmac_f32_e32 v7, v11, v7
	v_mul_f32_e32 v11, v10, v7
	v_fma_f32 v12, -v6, v11, v10
	v_fmac_f32_e32 v11, v12, v7
	v_fma_f32 v6, -v6, v11, v10
	v_div_fmas_f32 v6, v6, v7, v11
	v_div_fixup_f32 v6, v6, v5, v4
	v_fma_f32 v7, v4, v6, v5
	v_div_scale_f32 v10, s[0:1], v7, v7, 1.0
	v_rcp_f32_e32 v11, v10
	v_fma_f32 v12, -v10, v11, 1.0
	v_fmac_f32_e32 v11, v12, v11
	v_div_scale_f32 v12, vcc, 1.0, v7, 1.0
	v_mul_f32_e32 v13, v12, v11
	v_fma_f32 v14, -v10, v13, v12
	v_fmac_f32_e32 v13, v14, v11
	v_fma_f32 v10, -v10, v13, v12
	v_div_fmas_f32 v10, v10, v11, v13
	v_div_fixup_f32 v10, v10, v7, 1.0
	v_pk_fma_f32 v[12:13], v[2:3], v[6:7], v[2:3] op_sel:[0,0,1] op_sel_hi:[1,0,0] neg_lo:[0,0,1] neg_hi:[0,0,1]
	v_pk_fma_f32 v[6:7], v[2:3], v[6:7], v[2:3] op_sel:[0,0,1] op_sel_hi:[1,0,0]
	v_mov_b32_e32 v7, v13
	v_pk_mul_f32 v[6:7], v[6:7], v[10:11] op_sel_hi:[1,0]
	s_cbranch_execnz .LBB137_131
	s_branch .LBB137_137
.LBB137_136:                            ;   in Loop: Header=BB137_132 Depth=1
                                        ; implicit-def: $vgpr6_vgpr7
.LBB137_137:                            ;   in Loop: Header=BB137_132 Depth=1
	v_div_scale_f32 v6, s[0:1], v4, v4, v5
	v_rcp_f32_e32 v7, v6
	v_div_scale_f32 v10, vcc, v5, v4, v5
	v_fma_f32 v11, -v6, v7, 1.0
	v_fmac_f32_e32 v7, v11, v7
	v_mul_f32_e32 v11, v10, v7
	v_fma_f32 v12, -v6, v11, v10
	v_fmac_f32_e32 v11, v12, v7
	v_fma_f32 v6, -v6, v11, v10
	v_div_fmas_f32 v6, v6, v7, v11
	v_div_fixup_f32 v6, v6, v4, v5
	v_fmac_f32_e32 v4, v5, v6
	v_div_scale_f32 v5, s[0:1], v4, v4, 1.0
	v_rcp_f32_e32 v7, v5
	v_fma_f32 v10, -v5, v7, 1.0
	v_fmac_f32_e32 v7, v10, v7
	v_div_scale_f32 v10, vcc, 1.0, v4, 1.0
	v_mul_f32_e32 v11, v10, v7
	v_fma_f32 v12, -v5, v11, v10
	v_fmac_f32_e32 v11, v12, v7
	v_fma_f32 v5, -v5, v11, v10
	v_div_fmas_f32 v5, v5, v7, v11
	v_pk_mul_f32 v[6:7], v[2:3], v[6:7] op_sel_hi:[1,0]
	v_pk_add_f32 v[10:11], v[2:3], v[6:7] op_sel:[0,1] op_sel_hi:[1,0] neg_lo:[0,1] neg_hi:[0,1]
	v_pk_add_f32 v[2:3], v[2:3], v[6:7] op_sel:[0,1] op_sel_hi:[1,0]
	v_div_fixup_f32 v4, v5, v4, 1.0
	v_mov_b32_e32 v3, v11
	v_pk_mul_f32 v[6:7], v[2:3], v[4:5] op_sel_hi:[1,0]
	s_branch .LBB137_131
.LBB137_138:
	s_mov_b64 s[4:5], 0
.LBB137_139:
	s_andn2_b64 vcc, exec, s[4:5]
	s_cbranch_vccnz .LBB137_168
; %bb.140:
	s_cmp_lt_i32 s16, 4
	s_mov_b32 s2, 0
	s_cbranch_scc1 .LBB137_158
; %bb.141:
	v_mov_b32_e32 v1, 0
	ds_read_b64 v[10:11], v1
	v_lshlrev_b32_e32 v1, 3, v0
	ds_read2_b64 v[6:9], v1 offset0:16 offset1:20
	ds_read2_b64 v[2:5], v1 offset0:24 offset1:28
	s_waitcnt lgkmcnt(2)
	v_cmp_gt_f32_e32 vcc, 0, v11
	v_cndmask_b32_e64 v12, v11, -v11, vcc
	v_cmp_gt_f32_e32 vcc, 0, v10
	v_cndmask_b32_e64 v13, v10, -v10, vcc
	v_cmp_ngt_f32_e32 vcc, v13, v12
	s_cbranch_vccz .LBB137_143
; %bb.142:
	v_div_scale_f32 v12, s[0:1], v11, v11, v10
	v_rcp_f32_e32 v13, v12
	v_div_scale_f32 v14, vcc, v10, v11, v10
	v_fma_f32 v15, -v12, v13, 1.0
	v_fmac_f32_e32 v13, v15, v13
	v_mul_f32_e32 v15, v14, v13
	v_fma_f32 v16, -v12, v15, v14
	v_fmac_f32_e32 v15, v16, v13
	v_fma_f32 v12, -v12, v15, v14
	v_div_fmas_f32 v12, v12, v13, v15
	v_div_fixup_f32 v12, v12, v11, v10
	v_fma_f32 v13, v10, v12, v11
	v_div_scale_f32 v14, s[0:1], v13, v13, 1.0
	v_rcp_f32_e32 v15, v14
	v_fma_f32 v16, -v14, v15, 1.0
	v_fmac_f32_e32 v15, v16, v15
	v_div_scale_f32 v16, vcc, 1.0, v13, 1.0
	v_mul_f32_e32 v17, v16, v15
	v_fma_f32 v18, -v14, v17, v16
	v_fmac_f32_e32 v17, v18, v15
	v_fma_f32 v14, -v14, v17, v16
	v_div_fmas_f32 v14, v14, v15, v17
	v_div_fixup_f32 v13, v14, v13, 1.0
	s_waitcnt lgkmcnt(1)
	v_fma_f32 v14, v6, v12, v7
	v_fma_f32 v12, v7, v12, -v6
	v_mul_f32_e32 v14, v14, v13
	v_mul_f32_e32 v15, v12, v13
	v_or_b32_e32 v1, 0x80, v1
	s_cbranch_execz .LBB137_144
	s_branch .LBB137_145
.LBB137_143:
                                        ; implicit-def: $vgpr15
	v_or_b32_e32 v1, 0x80, v1
.LBB137_144:
	v_div_scale_f32 v12, s[0:1], v10, v10, v11
	v_rcp_f32_e32 v13, v12
	v_div_scale_f32 v14, vcc, v11, v10, v11
	v_fma_f32 v15, -v12, v13, 1.0
	v_fmac_f32_e32 v13, v15, v13
	v_mul_f32_e32 v15, v14, v13
	v_fma_f32 v16, -v12, v15, v14
	v_fmac_f32_e32 v15, v16, v13
	v_fma_f32 v12, -v12, v15, v14
	v_div_fmas_f32 v12, v12, v13, v15
	v_div_fixup_f32 v12, v12, v10, v11
	v_fmac_f32_e32 v10, v11, v12
	v_div_scale_f32 v11, s[0:1], v10, v10, 1.0
	v_rcp_f32_e32 v13, v11
	v_fma_f32 v14, -v11, v13, 1.0
	v_fmac_f32_e32 v13, v14, v13
	v_div_scale_f32 v14, vcc, 1.0, v10, 1.0
	v_mul_f32_e32 v15, v14, v13
	v_fma_f32 v16, -v11, v15, v14
	v_fmac_f32_e32 v15, v16, v13
	v_fma_f32 v11, -v11, v15, v14
	v_div_fmas_f32 v11, v11, v13, v15
	v_div_fixup_f32 v10, v11, v10, 1.0
	s_waitcnt lgkmcnt(1)
	v_fma_f32 v11, v7, v12, v6
	v_fma_f32 v6, -v6, v12, v7
	v_mul_f32_e32 v14, v11, v10
	v_mul_f32_e32 v15, v6, v10
.LBB137_145:
	s_waitcnt lgkmcnt(1)
	v_mov_b32_e32 v6, 0
	ds_read_b128 v[10:13], v6 offset:32
	ds_write_b64 v1, v[14:15]
	s_waitcnt lgkmcnt(1)
	v_mul_f32_e32 v6, v15, v11
	v_mul_f32_e32 v7, v14, v11
	v_fma_f32 v6, v14, v10, -v6
	v_cmp_gt_f32_e32 vcc, 0, v13
	v_fmac_f32_e32 v7, v15, v10
	v_sub_f32_e32 v6, v8, v6
	v_cndmask_b32_e64 v8, v13, -v13, vcc
	v_cmp_gt_f32_e32 vcc, 0, v12
	v_sub_f32_e32 v7, v9, v7
	v_cndmask_b32_e64 v9, v12, -v12, vcc
	v_cmp_ngt_f32_e32 vcc, v9, v8
	s_cbranch_vccz .LBB137_147
; %bb.146:
	v_div_scale_f32 v8, s[0:1], v13, v13, v12
	v_rcp_f32_e32 v9, v8
	v_div_scale_f32 v10, vcc, v12, v13, v12
	v_fma_f32 v11, -v8, v9, 1.0
	v_fmac_f32_e32 v9, v11, v9
	v_mul_f32_e32 v11, v10, v9
	v_fma_f32 v16, -v8, v11, v10
	v_fmac_f32_e32 v11, v16, v9
	v_fma_f32 v8, -v8, v11, v10
	v_div_fmas_f32 v8, v8, v9, v11
	v_div_fixup_f32 v8, v8, v13, v12
	v_fma_f32 v9, v12, v8, v13
	v_div_scale_f32 v10, s[0:1], v9, v9, 1.0
	v_rcp_f32_e32 v11, v10
	v_fma_f32 v16, -v10, v11, 1.0
	v_fmac_f32_e32 v11, v16, v11
	v_div_scale_f32 v16, vcc, 1.0, v9, 1.0
	v_mul_f32_e32 v17, v16, v11
	v_fma_f32 v18, -v10, v17, v16
	v_fmac_f32_e32 v17, v18, v11
	v_fma_f32 v10, -v10, v17, v16
	v_div_fmas_f32 v10, v10, v11, v17
	v_div_fixup_f32 v9, v10, v9, 1.0
	v_fma_f32 v10, v8, v6, v7
	v_fma_f32 v8, v8, v7, -v6
	v_mul_f32_e32 v10, v10, v9
	v_mul_f32_e32 v11, v8, v9
	s_cbranch_execz .LBB137_148
	s_branch .LBB137_149
.LBB137_147:
                                        ; implicit-def: $vgpr11
.LBB137_148:
	v_div_scale_f32 v8, s[0:1], v12, v12, v13
	v_rcp_f32_e32 v9, v8
	v_div_scale_f32 v10, vcc, v13, v12, v13
	v_fma_f32 v11, -v8, v9, 1.0
	v_fmac_f32_e32 v9, v11, v9
	v_mul_f32_e32 v11, v10, v9
	v_fma_f32 v16, -v8, v11, v10
	v_fmac_f32_e32 v11, v16, v9
	v_fma_f32 v8, -v8, v11, v10
	v_div_fmas_f32 v8, v8, v9, v11
	v_div_fixup_f32 v8, v8, v12, v13
	v_fmac_f32_e32 v12, v13, v8
	v_div_scale_f32 v9, s[0:1], v12, v12, 1.0
	v_rcp_f32_e32 v10, v9
	v_fma_f32 v11, -v9, v10, 1.0
	v_fmac_f32_e32 v10, v11, v10
	v_div_scale_f32 v11, vcc, 1.0, v12, 1.0
	v_mul_f32_e32 v13, v11, v10
	v_fma_f32 v16, -v9, v13, v11
	v_fmac_f32_e32 v13, v16, v10
	v_fma_f32 v9, -v9, v13, v11
	v_div_fmas_f32 v9, v9, v10, v13
	v_div_fixup_f32 v9, v9, v12, 1.0
	v_fma_f32 v10, v8, v7, v6
	v_fma_f32 v6, -v8, v6, v7
	v_mul_f32_e32 v10, v10, v9
	v_mul_f32_e32 v11, v6, v9
.LBB137_149:
	v_mov_b32_e32 v6, 0
	ds_read_b128 v[16:19], v6 offset:64
	ds_read_b64 v[6:7], v6 offset:80
	ds_write_b64 v1, v[10:11] offset:32
	s_waitcnt lgkmcnt(2)
	v_mul_f32_e32 v8, v15, v17
	v_mul_f32_e32 v9, v14, v17
	v_fma_f32 v8, v14, v16, -v8
	v_fmac_f32_e32 v9, v15, v16
	v_sub_f32_e32 v2, v2, v8
	v_mul_f32_e32 v8, v11, v19
	v_sub_f32_e32 v3, v3, v9
	v_fma_f32 v8, v10, v18, -v8
	v_mul_f32_e32 v9, v10, v19
	s_waitcnt lgkmcnt(1)
	v_cmp_gt_f32_e32 vcc, 0, v7
	v_fmac_f32_e32 v9, v11, v18
	v_sub_f32_e32 v8, v2, v8
	v_cndmask_b32_e64 v2, v7, -v7, vcc
	v_cmp_gt_f32_e32 vcc, 0, v6
	v_sub_f32_e32 v9, v3, v9
	v_cndmask_b32_e64 v3, v6, -v6, vcc
	v_cmp_ngt_f32_e32 vcc, v3, v2
	s_cbranch_vccz .LBB137_151
; %bb.150:
	v_div_scale_f32 v2, s[0:1], v7, v7, v6
	v_rcp_f32_e32 v3, v2
	v_div_scale_f32 v12, vcc, v6, v7, v6
	v_fma_f32 v13, -v2, v3, 1.0
	v_fmac_f32_e32 v3, v13, v3
	v_mul_f32_e32 v13, v12, v3
	v_fma_f32 v16, -v2, v13, v12
	v_fmac_f32_e32 v13, v16, v3
	v_fma_f32 v2, -v2, v13, v12
	v_div_fmas_f32 v2, v2, v3, v13
	v_div_fixup_f32 v3, v2, v7, v6
	v_fma_f32 v2, v6, v3, v7
	v_div_scale_f32 v12, s[0:1], v2, v2, 1.0
	v_rcp_f32_e32 v13, v12
	v_fma_f32 v16, -v12, v13, 1.0
	v_fmac_f32_e32 v13, v16, v13
	v_div_scale_f32 v16, vcc, 1.0, v2, 1.0
	v_mul_f32_e32 v17, v16, v13
	v_fma_f32 v18, -v12, v17, v16
	v_fmac_f32_e32 v17, v18, v13
	v_fma_f32 v12, -v12, v17, v16
	v_div_fmas_f32 v12, v12, v13, v17
	v_div_fixup_f32 v12, v12, v2, 1.0
	v_fma_f32 v2, v3, v8, v9
	v_fma_f32 v3, v3, v9, -v8
	v_mul_f32_e32 v2, v2, v12
	v_mul_f32_e32 v3, v3, v12
	s_cbranch_execz .LBB137_152
	s_branch .LBB137_153
.LBB137_151:
                                        ; implicit-def: $vgpr3
.LBB137_152:
	v_div_scale_f32 v2, s[0:1], v6, v6, v7
	v_rcp_f32_e32 v3, v2
	v_div_scale_f32 v12, vcc, v7, v6, v7
	v_fma_f32 v13, -v2, v3, 1.0
	v_fmac_f32_e32 v3, v13, v3
	v_mul_f32_e32 v13, v12, v3
	v_fma_f32 v16, -v2, v13, v12
	v_fmac_f32_e32 v13, v16, v3
	v_fma_f32 v2, -v2, v13, v12
	v_div_fmas_f32 v2, v2, v3, v13
	v_div_fixup_f32 v3, v2, v6, v7
	v_fmac_f32_e32 v6, v7, v3
	v_div_scale_f32 v2, s[0:1], v6, v6, 1.0
	v_rcp_f32_e32 v7, v2
	v_fma_f32 v12, -v2, v7, 1.0
	v_fmac_f32_e32 v7, v12, v7
	v_div_scale_f32 v12, vcc, 1.0, v6, 1.0
	v_mul_f32_e32 v13, v12, v7
	v_fma_f32 v16, -v2, v13, v12
	v_fmac_f32_e32 v13, v16, v7
	v_fma_f32 v2, -v2, v13, v12
	v_div_fmas_f32 v2, v2, v7, v13
	v_div_fixup_f32 v6, v2, v6, 1.0
	v_fma_f32 v2, v3, v9, v8
	v_fma_f32 v3, -v3, v8, v9
	v_mul_f32_e32 v2, v2, v6
	v_mul_f32_e32 v3, v3, v6
.LBB137_153:
	v_mov_b32_e32 v6, 0
	ds_read_b128 v[16:19], v6 offset:96
	ds_read_b128 v[6:9], v6 offset:112
	ds_write_b64 v1, v[2:3] offset:64
	s_waitcnt lgkmcnt(2)
	v_mul_f32_e32 v12, v15, v17
	v_fma_f32 v12, v14, v16, -v12
	v_mul_f32_e32 v13, v14, v17
	v_sub_f32_e32 v4, v4, v12
	v_mul_f32_e32 v12, v11, v19
	v_fmac_f32_e32 v13, v15, v16
	v_fma_f32 v12, v10, v18, -v12
	v_mul_f32_e32 v10, v10, v19
	v_sub_f32_e32 v5, v5, v13
	v_fmac_f32_e32 v10, v11, v18
	v_sub_f32_e32 v5, v5, v10
	s_waitcnt lgkmcnt(1)
	v_mul_f32_e32 v10, v3, v7
	v_fma_f32 v10, v2, v6, -v10
	v_mul_f32_e32 v2, v2, v7
	v_fmac_f32_e32 v2, v3, v6
	v_cmp_gt_f32_e32 vcc, 0, v9
	v_sub_f32_e32 v5, v5, v2
	v_cndmask_b32_e64 v2, v9, -v9, vcc
	v_cmp_gt_f32_e32 vcc, 0, v8
	v_cndmask_b32_e64 v3, v8, -v8, vcc
	v_sub_f32_e32 v4, v4, v12
	v_cmp_ngt_f32_e32 vcc, v3, v2
	v_sub_f32_e32 v4, v4, v10
	s_cbranch_vccz .LBB137_155
; %bb.154:
	v_div_scale_f32 v2, s[0:1], v9, v9, v8
	v_rcp_f32_e32 v3, v2
	v_div_scale_f32 v6, vcc, v8, v9, v8
	v_fma_f32 v7, -v2, v3, 1.0
	v_fmac_f32_e32 v3, v7, v3
	v_mul_f32_e32 v7, v6, v3
	v_fma_f32 v10, -v2, v7, v6
	v_fmac_f32_e32 v7, v10, v3
	v_fma_f32 v2, -v2, v7, v6
	v_div_fmas_f32 v2, v2, v3, v7
	v_div_fixup_f32 v3, v2, v9, v8
	v_fma_f32 v2, v8, v3, v9
	v_div_scale_f32 v6, s[0:1], v2, v2, 1.0
	v_rcp_f32_e32 v7, v6
	v_fma_f32 v10, -v6, v7, 1.0
	v_fmac_f32_e32 v7, v10, v7
	v_div_scale_f32 v10, vcc, 1.0, v2, 1.0
	v_mul_f32_e32 v11, v10, v7
	v_fma_f32 v12, -v6, v11, v10
	v_fmac_f32_e32 v11, v12, v7
	v_fma_f32 v6, -v6, v11, v10
	v_div_fmas_f32 v6, v6, v7, v11
	v_div_fixup_f32 v6, v6, v2, 1.0
	v_fma_f32 v2, v3, v4, v5
	v_fma_f32 v3, v3, v5, -v4
	v_mul_f32_e32 v2, v2, v6
	v_mul_f32_e32 v3, v3, v6
	s_cbranch_execz .LBB137_156
	s_branch .LBB137_157
.LBB137_155:
                                        ; implicit-def: $vgpr3
.LBB137_156:
	v_div_scale_f32 v2, s[0:1], v8, v8, v9
	v_rcp_f32_e32 v3, v2
	v_div_scale_f32 v6, vcc, v9, v8, v9
	v_fma_f32 v7, -v2, v3, 1.0
	v_fmac_f32_e32 v3, v7, v3
	v_mul_f32_e32 v7, v6, v3
	v_fma_f32 v10, -v2, v7, v6
	v_fmac_f32_e32 v7, v10, v3
	v_fma_f32 v2, -v2, v7, v6
	v_div_fmas_f32 v2, v2, v3, v7
	v_div_fixup_f32 v3, v2, v8, v9
	v_fmac_f32_e32 v8, v9, v3
	v_div_scale_f32 v2, s[0:1], v8, v8, 1.0
	v_rcp_f32_e32 v6, v2
	v_fma_f32 v7, -v2, v6, 1.0
	v_fmac_f32_e32 v6, v7, v6
	v_div_scale_f32 v7, vcc, 1.0, v8, 1.0
	v_mul_f32_e32 v9, v7, v6
	v_fma_f32 v10, -v2, v9, v7
	v_fmac_f32_e32 v9, v10, v6
	v_fma_f32 v2, -v2, v9, v7
	v_div_fmas_f32 v2, v2, v6, v9
	v_div_fixup_f32 v6, v2, v8, 1.0
	v_fma_f32 v2, v3, v5, v4
	v_fma_f32 v3, -v3, v4, v5
	v_mul_f32_e32 v2, v2, v6
	v_mul_f32_e32 v3, v3, v6
.LBB137_157:
	s_mov_b32 s2, 4
	ds_write_b64 v1, v[2:3] offset:96
.LBB137_158:
	s_cmp_ge_i32 s2, s33
	s_cbranch_scc1 .LBB137_168
; %bb.159:
	v_mov_b32_e32 v1, 0x80
	v_lshl_or_b32 v1, v0, 3, v1
	s_lshl_b32 s3, s2, 5
	v_lshlrev_b32_e32 v8, 3, v0
	s_branch .LBB137_161
.LBB137_160:                            ;   in Loop: Header=BB137_161 Depth=1
	s_add_i32 s2, s2, 1
	s_add_i32 s3, s3, 32
	s_cmp_ge_i32 s2, s33
	ds_write_b64 v9, v[6:7]
	s_cbranch_scc1 .LBB137_168
.LBB137_161:                            ; =>This Loop Header: Depth=1
                                        ;     Child Loop BB137_163 Depth 2
	v_lshl_or_b32 v4, s2, 5, v8
	ds_read_b64 v[2:3], v4 offset:128
	s_cmp_eq_u32 s2, 0
	s_cbranch_scc1 .LBB137_164
; %bb.162:                              ;   in Loop: Header=BB137_161 Depth=1
	s_mov_b32 s0, 0
	s_mov_b32 s1, s3
	v_mov_b32_e32 v5, v1
.LBB137_163:                            ;   Parent Loop BB137_161 Depth=1
                                        ; =>  This Inner Loop Header: Depth=2
	v_mov_b32_e32 v9, s1
	ds_read_b64 v[6:7], v5
	ds_read_b64 v[10:11], v9
	s_add_i32 s0, s0, 1
	s_add_i32 s1, s1, 8
	v_add_u32_e32 v5, 32, v5
	s_cmp_ge_u32 s0, s2
	s_waitcnt lgkmcnt(0)
	v_pk_mul_f32 v[12:13], v[10:11], v[6:7] op_sel:[0,1]
	v_pk_fma_f32 v[14:15], v[10:11], v[6:7], v[12:13] op_sel:[0,0,1] op_sel_hi:[1,0,0]
	v_pk_fma_f32 v[6:7], v[10:11], v[6:7], v[12:13] op_sel:[0,0,1] op_sel_hi:[1,0,0] neg_lo:[0,0,1] neg_hi:[0,0,1]
	v_mov_b32_e32 v7, v15
	v_pk_add_f32 v[2:3], v[2:3], v[6:7] neg_lo:[0,1] neg_hi:[0,1]
	s_cbranch_scc0 .LBB137_163
.LBB137_164:                            ;   in Loop: Header=BB137_161 Depth=1
	s_mul_i32 s0, s2, 40
	v_add_u32_e32 v9, 0x80, v4
	v_mov_b32_e32 v4, s0
	ds_read_b64 v[4:5], v4
	s_waitcnt lgkmcnt(0)
	v_cmp_gt_f32_e32 vcc, 0, v5
	v_cndmask_b32_e64 v6, v5, -v5, vcc
	v_cmp_gt_f32_e32 vcc, 0, v4
	v_cndmask_b32_e64 v7, v4, -v4, vcc
	v_cmp_ngt_f32_e32 vcc, v7, v6
	s_cbranch_vccz .LBB137_166
; %bb.165:                              ;   in Loop: Header=BB137_161 Depth=1
	v_div_scale_f32 v6, s[0:1], v5, v5, v4
	v_rcp_f32_e32 v7, v6
	v_div_scale_f32 v10, vcc, v4, v5, v4
	v_fma_f32 v11, -v6, v7, 1.0
	v_fmac_f32_e32 v7, v11, v7
	v_mul_f32_e32 v11, v10, v7
	v_fma_f32 v12, -v6, v11, v10
	v_fmac_f32_e32 v11, v12, v7
	v_fma_f32 v6, -v6, v11, v10
	v_div_fmas_f32 v6, v6, v7, v11
	v_div_fixup_f32 v6, v6, v5, v4
	v_fma_f32 v7, v4, v6, v5
	v_div_scale_f32 v10, s[0:1], v7, v7, 1.0
	v_rcp_f32_e32 v11, v10
	v_fma_f32 v12, -v10, v11, 1.0
	v_fmac_f32_e32 v11, v12, v11
	v_div_scale_f32 v12, vcc, 1.0, v7, 1.0
	v_mul_f32_e32 v13, v12, v11
	v_fma_f32 v14, -v10, v13, v12
	v_fmac_f32_e32 v13, v14, v11
	v_fma_f32 v10, -v10, v13, v12
	v_div_fmas_f32 v10, v10, v11, v13
	v_div_fixup_f32 v10, v10, v7, 1.0
	v_pk_fma_f32 v[12:13], v[2:3], v[6:7], v[2:3] op_sel:[0,0,1] op_sel_hi:[1,0,0] neg_lo:[0,0,1] neg_hi:[0,0,1]
	v_pk_fma_f32 v[6:7], v[2:3], v[6:7], v[2:3] op_sel:[0,0,1] op_sel_hi:[1,0,0]
	v_mov_b32_e32 v7, v13
	v_pk_mul_f32 v[6:7], v[6:7], v[10:11] op_sel_hi:[1,0]
	s_cbranch_execnz .LBB137_160
	s_branch .LBB137_167
.LBB137_166:                            ;   in Loop: Header=BB137_161 Depth=1
                                        ; implicit-def: $vgpr6_vgpr7
.LBB137_167:                            ;   in Loop: Header=BB137_161 Depth=1
	v_div_scale_f32 v6, s[0:1], v4, v4, v5
	v_rcp_f32_e32 v7, v6
	v_div_scale_f32 v10, vcc, v5, v4, v5
	v_fma_f32 v11, -v6, v7, 1.0
	v_fmac_f32_e32 v7, v11, v7
	v_mul_f32_e32 v11, v10, v7
	v_fma_f32 v12, -v6, v11, v10
	v_fmac_f32_e32 v11, v12, v7
	v_fma_f32 v6, -v6, v11, v10
	v_div_fmas_f32 v6, v6, v7, v11
	v_div_fixup_f32 v6, v6, v4, v5
	v_fmac_f32_e32 v4, v5, v6
	v_div_scale_f32 v5, s[0:1], v4, v4, 1.0
	v_rcp_f32_e32 v7, v5
	v_fma_f32 v10, -v5, v7, 1.0
	v_fmac_f32_e32 v7, v10, v7
	v_div_scale_f32 v10, vcc, 1.0, v4, 1.0
	v_mul_f32_e32 v11, v10, v7
	v_fma_f32 v12, -v5, v11, v10
	v_fmac_f32_e32 v11, v12, v7
	v_fma_f32 v5, -v5, v11, v10
	v_div_fmas_f32 v5, v5, v7, v11
	v_pk_mul_f32 v[6:7], v[2:3], v[6:7] op_sel_hi:[1,0]
	v_pk_add_f32 v[10:11], v[2:3], v[6:7] op_sel:[0,1] op_sel_hi:[1,0] neg_lo:[0,1] neg_hi:[0,1]
	v_pk_add_f32 v[2:3], v[2:3], v[6:7] op_sel:[0,1] op_sel_hi:[1,0]
	v_div_fixup_f32 v4, v5, v4, 1.0
	v_mov_b32_e32 v3, v11
	v_pk_mul_f32 v[6:7], v[2:3], v[4:5] op_sel_hi:[1,0]
	s_branch .LBB137_160
.LBB137_168:
	s_and_saveexec_b64 s[0:1], s[28:29]
	s_cbranch_execz .LBB137_175
; %bb.169:
	s_ashr_i32 s15, s14, 31
	s_mov_b32 s6, 0
	s_cmp_lt_u32 s16, 4
	v_lshlrev_b32_e32 v4, 3, v0
	s_cbranch_scc1 .LBB137_172
; %bb.170:
	v_mov_b32_e32 v1, s49
	v_add_co_u32_e32 v2, vcc, s48, v4
	v_addc_co_u32_e32 v3, vcc, 0, v1, vcc
	v_mov_b32_e32 v1, 0x80
	s_mul_hi_i32 s9, s14, 24
	s_lshl_b64 s[0:1], s[14:15], 5
	s_lshl_b64 s[2:3], s[14:15], 4
	;; [unrolled: 1-line block ×3, first 2 shown]
	s_and_b32 s6, s16, 0x7ffffffc
	v_lshl_or_b32 v0, v0, 3, v1
	s_mul_i32 s7, s14, 24
	s_mov_b32 s8, 0
	v_mov_b32_e32 v1, s5
	v_mov_b32_e32 v5, s3
	;; [unrolled: 1-line block ×4, first 2 shown]
.LBB137_171:                            ; =>This Inner Loop Header: Depth=1
	v_add_co_u32_e32 v16, vcc, s4, v2
	ds_read2_b64 v[8:11], v0 offset1:4
	v_addc_co_u32_e32 v17, vcc, v3, v1, vcc
	v_add_co_u32_e32 v18, vcc, s2, v2
	v_addc_co_u32_e32 v19, vcc, v3, v5, vcc
	ds_read2_b64 v[12:15], v0 offset0:8 offset1:12
	v_add_co_u32_e32 v20, vcc, s7, v2
	v_addc_co_u32_e32 v21, vcc, v3, v6, vcc
	s_add_i32 s8, s8, 4
	s_waitcnt lgkmcnt(1)
	global_store_dwordx2 v[2:3], v[8:9], off
	global_store_dwordx2 v[16:17], v[10:11], off
	s_waitcnt lgkmcnt(0)
	global_store_dwordx2 v[18:19], v[12:13], off
	global_store_dwordx2 v[20:21], v[14:15], off
	v_add_co_u32_e32 v2, vcc, s0, v2
	v_add_u32_e32 v0, 0x80, v0
	s_cmp_lg_u32 s6, s8
	v_addc_co_u32_e32 v3, vcc, v3, v7, vcc
	s_cbranch_scc1 .LBB137_171
.LBB137_172:
	s_and_b32 s2, s16, 3
	s_cmp_eq_u32 s2, 0
	s_cbranch_scc1 .LBB137_175
; %bb.173:
	s_mul_hi_i32 s1, s14, s6
	s_mul_i32 s0, s14, s6
	s_lshl_b64 s[0:1], s[0:1], 3
	s_add_u32 s0, s24, s0
	s_addc_u32 s1, s25, s1
	s_add_u32 s0, s0, s26
	s_addc_u32 s1, s1, s27
	s_add_u32 s0, s0, s20
	s_addc_u32 s1, s1, s21
	s_add_u32 s0, s22, s0
	s_addc_u32 s1, s23, s1
	v_mov_b32_e32 v1, s1
	v_add_co_u32_e32 v0, vcc, s0, v4
	s_lshl_b64 s[0:1], s[14:15], 3
	v_lshl_or_b32 v2, s6, 5, v4
	v_addc_co_u32_e32 v1, vcc, 0, v1, vcc
	v_add_u32_e32 v2, 0x80, v2
	v_mov_b32_e32 v3, s1
.LBB137_174:                            ; =>This Inner Loop Header: Depth=1
	ds_read_b64 v[4:5], v2
	s_add_i32 s2, s2, -1
	v_add_u32_e32 v2, 32, v2
	s_cmp_lg_u32 s2, 0
	s_waitcnt lgkmcnt(0)
	global_store_dwordx2 v[0:1], v[4:5], off
	v_add_co_u32_e32 v0, vcc, s0, v0
	v_addc_co_u32_e32 v1, vcc, v1, v3, vcc
	s_cbranch_scc1 .LBB137_174
.LBB137_175:
	s_endpgm
	.section	.rodata,"a",@progbits
	.p2align	6, 0x0
	.amdhsa_kernel _ZL31rocblas_trsm_small_right_deviceI19rocblas_complex_numIfES1_PKS1_PS1_Li4EEv13rocblas_fill_18rocblas_operation_17rocblas_diagonal_iiT0_T1_lilT2_lili
		.amdhsa_group_segment_fixed_size 256
		.amdhsa_private_segment_fixed_size 0
		.amdhsa_kernarg_size 360
		.amdhsa_user_sgpr_count 6
		.amdhsa_user_sgpr_private_segment_buffer 1
		.amdhsa_user_sgpr_dispatch_ptr 0
		.amdhsa_user_sgpr_queue_ptr 0
		.amdhsa_user_sgpr_kernarg_segment_ptr 1
		.amdhsa_user_sgpr_dispatch_id 0
		.amdhsa_user_sgpr_flat_scratch_init 0
		.amdhsa_user_sgpr_kernarg_preload_length 0
		.amdhsa_user_sgpr_kernarg_preload_offset 0
		.amdhsa_user_sgpr_private_segment_size 0
		.amdhsa_uses_dynamic_stack 0
		.amdhsa_system_sgpr_private_segment_wavefront_offset 0
		.amdhsa_system_sgpr_workgroup_id_x 1
		.amdhsa_system_sgpr_workgroup_id_y 0
		.amdhsa_system_sgpr_workgroup_id_z 1
		.amdhsa_system_sgpr_workgroup_info 0
		.amdhsa_system_vgpr_workitem_id 0
		.amdhsa_next_free_vgpr 44
		.amdhsa_next_free_sgpr 60
		.amdhsa_accum_offset 44
		.amdhsa_reserve_vcc 1
		.amdhsa_reserve_flat_scratch 0
		.amdhsa_float_round_mode_32 0
		.amdhsa_float_round_mode_16_64 0
		.amdhsa_float_denorm_mode_32 3
		.amdhsa_float_denorm_mode_16_64 3
		.amdhsa_dx10_clamp 1
		.amdhsa_ieee_mode 1
		.amdhsa_fp16_overflow 0
		.amdhsa_tg_split 0
		.amdhsa_exception_fp_ieee_invalid_op 0
		.amdhsa_exception_fp_denorm_src 0
		.amdhsa_exception_fp_ieee_div_zero 0
		.amdhsa_exception_fp_ieee_overflow 0
		.amdhsa_exception_fp_ieee_underflow 0
		.amdhsa_exception_fp_ieee_inexact 0
		.amdhsa_exception_int_div_zero 0
	.end_amdhsa_kernel
	.section	.text._ZL31rocblas_trsm_small_right_deviceI19rocblas_complex_numIfES1_PKS1_PS1_Li4EEv13rocblas_fill_18rocblas_operation_17rocblas_diagonal_iiT0_T1_lilT2_lili,"axG",@progbits,_ZL31rocblas_trsm_small_right_deviceI19rocblas_complex_numIfES1_PKS1_PS1_Li4EEv13rocblas_fill_18rocblas_operation_17rocblas_diagonal_iiT0_T1_lilT2_lili,comdat
.Lfunc_end137:
	.size	_ZL31rocblas_trsm_small_right_deviceI19rocblas_complex_numIfES1_PKS1_PS1_Li4EEv13rocblas_fill_18rocblas_operation_17rocblas_diagonal_iiT0_T1_lilT2_lili, .Lfunc_end137-_ZL31rocblas_trsm_small_right_deviceI19rocblas_complex_numIfES1_PKS1_PS1_Li4EEv13rocblas_fill_18rocblas_operation_17rocblas_diagonal_iiT0_T1_lilT2_lili
                                        ; -- End function
	.section	.AMDGPU.csdata,"",@progbits
; Kernel info:
; codeLenInByte = 13128
; NumSgprs: 64
; NumVgprs: 44
; NumAgprs: 0
; TotalNumVgprs: 44
; ScratchSize: 0
; MemoryBound: 0
; FloatMode: 240
; IeeeMode: 1
; LDSByteSize: 256 bytes/workgroup (compile time only)
; SGPRBlocks: 7
; VGPRBlocks: 5
; NumSGPRsForWavesPerEU: 64
; NumVGPRsForWavesPerEU: 44
; AccumOffset: 44
; Occupancy: 8
; WaveLimiterHint : 0
; COMPUTE_PGM_RSRC2:SCRATCH_EN: 0
; COMPUTE_PGM_RSRC2:USER_SGPR: 6
; COMPUTE_PGM_RSRC2:TRAP_HANDLER: 0
; COMPUTE_PGM_RSRC2:TGID_X_EN: 1
; COMPUTE_PGM_RSRC2:TGID_Y_EN: 0
; COMPUTE_PGM_RSRC2:TGID_Z_EN: 1
; COMPUTE_PGM_RSRC2:TIDIG_COMP_CNT: 0
; COMPUTE_PGM_RSRC3_GFX90A:ACCUM_OFFSET: 10
; COMPUTE_PGM_RSRC3_GFX90A:TG_SPLIT: 0
	.section	.text._ZL38rocblas_trsm_small_left_device_sharedBILi8ELi8ELb0E19rocblas_complex_numIfES1_PKS1_PS1_Ev13rocblas_fill_18rocblas_operation_17rocblas_diagonal_iiT3_T4_lilT5_lili,"axG",@progbits,_ZL38rocblas_trsm_small_left_device_sharedBILi8ELi8ELb0E19rocblas_complex_numIfES1_PKS1_PS1_Ev13rocblas_fill_18rocblas_operation_17rocblas_diagonal_iiT3_T4_lilT5_lili,comdat
	.globl	_ZL38rocblas_trsm_small_left_device_sharedBILi8ELi8ELb0E19rocblas_complex_numIfES1_PKS1_PS1_Ev13rocblas_fill_18rocblas_operation_17rocblas_diagonal_iiT3_T4_lilT5_lili ; -- Begin function _ZL38rocblas_trsm_small_left_device_sharedBILi8ELi8ELb0E19rocblas_complex_numIfES1_PKS1_PS1_Ev13rocblas_fill_18rocblas_operation_17rocblas_diagonal_iiT3_T4_lilT5_lili
	.p2align	8
	.type	_ZL38rocblas_trsm_small_left_device_sharedBILi8ELi8ELb0E19rocblas_complex_numIfES1_PKS1_PS1_Ev13rocblas_fill_18rocblas_operation_17rocblas_diagonal_iiT3_T4_lilT5_lili,@function
_ZL38rocblas_trsm_small_left_device_sharedBILi8ELi8ELb0E19rocblas_complex_numIfES1_PKS1_PS1_Ev13rocblas_fill_18rocblas_operation_17rocblas_diagonal_iiT3_T4_lilT5_lili: ; @_ZL38rocblas_trsm_small_left_device_sharedBILi8ELi8ELb0E19rocblas_complex_numIfES1_PKS1_PS1_Ev13rocblas_fill_18rocblas_operation_17rocblas_diagonal_iiT3_T4_lilT5_lili
; %bb.0:
	s_load_dwordx4 s[12:15], s[6:7], 0x4
	s_load_dwordx2 s[10:11], s[6:7], 0x14
	s_load_dwordx4 s[16:19], s[6:7], 0x38
	s_load_dwordx2 s[24:25], s[6:7], 0x48
	s_load_dword s41, s[6:7], 0x68
	v_and_b32_e32 v8, 0x3ff, v0
	s_waitcnt lgkmcnt(0)
	s_min_i32 s40, s14, 8
	s_mov_b32 s42, 0
	s_add_i32 s33, s40, -1
	v_cmp_gt_i32_e32 vcc, s40, v8
	s_and_saveexec_b64 s[26:27], vcc
	s_cbranch_execz .LBB138_35
; %bb.1:
	s_load_dword s28, s[6:7], 0x30
	s_load_dwordx4 s[20:23], s[6:7], 0x20
	s_mul_i32 s0, s9, s17
	s_mul_hi_u32 s1, s9, s16
	s_mul_i32 s16, s9, s16
	s_waitcnt lgkmcnt(0)
	s_ashr_i32 s29, s28, 31
	s_cmpk_lg_i32 s12, 0x71
	s_cselect_b64 s[30:31], -1, 0
	s_add_i32 s17, s1, s0
	v_cndmask_b32_e64 v1, 0, 1, s[30:31]
	s_cmp_lt_u32 s33, 3
	v_cmp_ne_u32_e64 s[0:1], 1, v1
	s_cbranch_scc1 .LBB138_20
; %bb.2:
	s_lshl_b64 s[2:3], s[16:17], 3
	s_add_u32 s34, s20, s2
	s_addc_u32 s35, s21, s3
	s_lshl_b64 s[2:3], s[22:23], 3
	s_add_u32 s2, s34, s2
	s_addc_u32 s3, s35, s3
	v_lshlrev_b32_e32 v1, 3, v8
	v_mov_b32_e32 v3, s3
	v_add_co_u32_e32 v2, vcc, s2, v1
	s_mul_hi_i32 s2, s28, 24
	s_lshl_b64 s[34:35], s[28:29], 5
	s_lshl_b64 s[36:37], s[28:29], 4
	;; [unrolled: 1-line block ×3, first 2 shown]
	v_addc_co_u32_e32 v3, vcc, 0, v3, vcc
	s_and_b32 s42, s40, -4
	s_mul_i32 s43, s28, 24
	s_mov_b32 s44, 0
	v_mov_b32_e32 v9, s39
	v_mov_b32_e32 v10, s37
	v_mov_b32_e32 v11, s2
	v_mov_b32_e32 v12, s35
	s_branch .LBB138_4
.LBB138_3:                              ;   in Loop: Header=BB138_4 Depth=1
	global_load_dword v4, v[6:7], off
	s_add_i32 s44, s44, 4
	v_add_co_u32_e32 v2, vcc, s34, v2
	v_addc_co_u32_e32 v3, vcc, v3, v12, vcc
	s_cmp_eq_u32 s42, s44
	s_waitcnt vmcnt(0)
	ds_write_b64 v1, v[4:5] offset:192
	v_add_u32_e32 v1, 0x100, v1
	s_cbranch_scc1 .LBB138_20
.LBB138_4:                              ; =>This Inner Loop Header: Depth=1
	s_and_b64 vcc, exec, s[30:31]
	s_cbranch_vccz .LBB138_6
; %bb.5:                                ;   in Loop: Header=BB138_4 Depth=1
	global_load_dword v5, v[2:3], off offset:4
	s_cbranch_execz .LBB138_7
	s_branch .LBB138_8
.LBB138_6:                              ;   in Loop: Header=BB138_4 Depth=1
                                        ; implicit-def: $vgpr5
.LBB138_7:                              ;   in Loop: Header=BB138_4 Depth=1
	global_load_dword v4, v[2:3], off offset:4
	s_waitcnt vmcnt(0)
	v_xor_b32_e32 v5, 0x80000000, v4
.LBB138_8:                              ;   in Loop: Header=BB138_4 Depth=1
	global_load_dword v4, v[2:3], off
	v_add_co_u32_e64 v6, s[2:3], s38, v2
	s_and_b64 vcc, exec, s[0:1]
	v_addc_co_u32_e64 v7, s[2:3], v3, v9, s[2:3]
	s_waitcnt vmcnt(0)
	ds_write_b64 v1, v[4:5]
	s_cbranch_vccnz .LBB138_10
; %bb.9:                                ;   in Loop: Header=BB138_4 Depth=1
	global_load_dword v5, v[6:7], off offset:4
	s_cbranch_execz .LBB138_11
	s_branch .LBB138_12
.LBB138_10:                             ;   in Loop: Header=BB138_4 Depth=1
                                        ; implicit-def: $vgpr5
.LBB138_11:                             ;   in Loop: Header=BB138_4 Depth=1
	global_load_dword v4, v[6:7], off offset:4
	s_waitcnt vmcnt(0)
	v_xor_b32_e32 v5, 0x80000000, v4
.LBB138_12:                             ;   in Loop: Header=BB138_4 Depth=1
	global_load_dword v4, v[6:7], off
	v_add_co_u32_e64 v6, s[2:3], s36, v2
	s_and_b64 vcc, exec, s[0:1]
	v_addc_co_u32_e64 v7, s[2:3], v3, v10, s[2:3]
	s_waitcnt vmcnt(0)
	ds_write_b64 v1, v[4:5] offset:64
	s_cbranch_vccnz .LBB138_14
; %bb.13:                               ;   in Loop: Header=BB138_4 Depth=1
	global_load_dword v5, v[6:7], off offset:4
	s_cbranch_execz .LBB138_15
	s_branch .LBB138_16
.LBB138_14:                             ;   in Loop: Header=BB138_4 Depth=1
                                        ; implicit-def: $vgpr5
.LBB138_15:                             ;   in Loop: Header=BB138_4 Depth=1
	global_load_dword v4, v[6:7], off offset:4
	s_waitcnt vmcnt(0)
	v_xor_b32_e32 v5, 0x80000000, v4
.LBB138_16:                             ;   in Loop: Header=BB138_4 Depth=1
	global_load_dword v4, v[6:7], off
	v_add_co_u32_e64 v6, s[2:3], s43, v2
	s_and_b64 vcc, exec, s[0:1]
	v_addc_co_u32_e64 v7, s[2:3], v3, v11, s[2:3]
	s_waitcnt vmcnt(0)
	ds_write_b64 v1, v[4:5] offset:128
	s_cbranch_vccnz .LBB138_18
; %bb.17:                               ;   in Loop: Header=BB138_4 Depth=1
	global_load_dword v5, v[6:7], off offset:4
	s_cbranch_execnz .LBB138_3
	s_branch .LBB138_19
.LBB138_18:                             ;   in Loop: Header=BB138_4 Depth=1
                                        ; implicit-def: $vgpr5
.LBB138_19:                             ;   in Loop: Header=BB138_4 Depth=1
	global_load_dword v4, v[6:7], off offset:4
	s_waitcnt vmcnt(0)
	v_xor_b32_e32 v5, 0x80000000, v4
	s_branch .LBB138_3
.LBB138_20:
	s_and_b32 s30, s40, 3
	s_cmp_eq_u32 s30, 0
	s_cbranch_scc1 .LBB138_27
; %bb.21:
	s_lshl_b64 s[2:3], s[16:17], 3
	s_mul_i32 s16, s29, s42
	s_mul_hi_u32 s17, s28, s42
	s_add_i32 s17, s17, s16
	s_mul_i32 s16, s28, s42
	s_lshl_b64 s[16:17], s[16:17], 3
	s_add_u32 s16, s2, s16
	s_addc_u32 s17, s3, s17
	s_lshl_b64 s[2:3], s[22:23], 3
	s_add_u32 s2, s16, s2
	s_addc_u32 s3, s17, s3
	s_add_u32 s2, s20, s2
	v_lshlrev_b32_e32 v2, 3, v8
	s_addc_u32 s3, s21, s3
	v_lshl_or_b32 v1, s42, 6, v2
	v_mov_b32_e32 v3, s3
	v_add_co_u32_e32 v2, vcc, s2, v2
	v_addc_co_u32_e32 v3, vcc, 0, v3, vcc
	v_add_co_u32_e32 v2, vcc, 4, v2
	s_lshl_b64 s[2:3], s[28:29], 3
	v_addc_co_u32_e32 v3, vcc, 0, v3, vcc
	v_mov_b32_e32 v6, s3
	s_branch .LBB138_23
.LBB138_22:                             ;   in Loop: Header=BB138_23 Depth=1
	global_load_dword v4, v[2:3], off offset:-4
	s_add_i32 s30, s30, -1
	v_add_co_u32_e32 v2, vcc, s2, v2
	s_cmp_lg_u32 s30, 0
	v_addc_co_u32_e32 v3, vcc, v3, v6, vcc
	s_waitcnt vmcnt(0)
	ds_write_b64 v1, v[4:5]
	v_add_u32_e32 v1, 64, v1
	s_cbranch_scc0 .LBB138_27
.LBB138_23:                             ; =>This Inner Loop Header: Depth=1
	s_and_b64 vcc, exec, s[0:1]
	s_cbranch_vccnz .LBB138_25
; %bb.24:                               ;   in Loop: Header=BB138_23 Depth=1
	global_load_dword v5, v[2:3], off
	s_cbranch_execnz .LBB138_22
	s_branch .LBB138_26
.LBB138_25:                             ;   in Loop: Header=BB138_23 Depth=1
                                        ; implicit-def: $vgpr5
.LBB138_26:                             ;   in Loop: Header=BB138_23 Depth=1
	global_load_dword v4, v[2:3], off
	s_waitcnt vmcnt(0)
	v_xor_b32_e32 v5, 0x80000000, v4
	s_branch .LBB138_22
.LBB138_27:
	v_mul_u32_u24_e32 v1, 9, v8
	s_cmpk_lg_i32 s13, 0x84
	v_lshlrev_b32_e32 v1, 3, v1
	s_mov_b64 s[0:1], -1
	s_cbranch_scc0 .LBB138_33
; %bb.28:
	ds_read_b64 v[2:3], v1
	s_mov_b32 s0, 0
	s_waitcnt lgkmcnt(0)
	v_cmp_gt_f32_e32 vcc, 0, v3
	v_cndmask_b32_e64 v4, v3, -v3, vcc
	v_cmp_gt_f32_e32 vcc, 0, v2
	v_cndmask_b32_e64 v5, v2, -v2, vcc
	v_cmp_ngt_f32_e32 vcc, v5, v4
                                        ; implicit-def: $vgpr4_vgpr5
	s_and_saveexec_b64 s[2:3], vcc
	s_xor_b64 s[2:3], exec, s[2:3]
	s_cbranch_execz .LBB138_30
; %bb.29:
	v_div_scale_f32 v4, s[16:17], v3, v3, v2
	v_rcp_f32_e32 v5, v4
	v_div_scale_f32 v6, vcc, v2, v3, v2
	s_mov_b32 s1, -1.0
	v_fma_f32 v7, -v4, v5, 1.0
	v_fmac_f32_e32 v5, v7, v5
	v_mul_f32_e32 v7, v6, v5
	v_fma_f32 v9, -v4, v7, v6
	v_fmac_f32_e32 v7, v9, v5
	v_fma_f32 v4, -v4, v7, v6
	v_div_fmas_f32 v4, v4, v5, v7
	v_div_fixup_f32 v4, v4, v3, v2
	v_fmac_f32_e32 v3, v2, v4
	v_div_scale_f32 v2, s[16:17], v3, v3, 1.0
	v_rcp_f32_e32 v5, v2
	v_fma_f32 v6, -v2, v5, 1.0
	v_fmac_f32_e32 v5, v6, v5
	v_div_scale_f32 v6, vcc, 1.0, v3, 1.0
	v_mul_f32_e32 v7, v6, v5
	v_fma_f32 v9, -v2, v7, v6
	v_fmac_f32_e32 v7, v9, v5
	v_fma_f32 v2, -v2, v7, v6
	v_div_fmas_f32 v2, v2, v5, v7
	v_mul_f32_e32 v5, 0, v4
	v_div_fixup_f32 v2, v2, v3, 1.0
	v_pk_add_f32 v[4:5], v[4:5], s[0:1]
	v_pk_mul_f32 v[4:5], v[4:5], v[2:3] op_sel_hi:[1,0]
                                        ; implicit-def: $vgpr2_vgpr3
.LBB138_30:
	s_andn2_saveexec_b64 s[0:1], s[2:3]
	s_cbranch_execz .LBB138_32
; %bb.31:
	v_div_scale_f32 v4, s[2:3], v2, v2, v3
	v_rcp_f32_e32 v5, v4
	v_div_scale_f32 v6, vcc, v3, v2, v3
	v_fma_f32 v7, -v4, v5, 1.0
	v_fmac_f32_e32 v5, v7, v5
	v_mul_f32_e32 v7, v6, v5
	v_fma_f32 v9, -v4, v7, v6
	v_fmac_f32_e32 v7, v9, v5
	v_fma_f32 v4, -v4, v7, v6
	v_div_fmas_f32 v4, v4, v5, v7
	v_div_fixup_f32 v5, v4, v2, v3
	v_fmac_f32_e32 v2, v3, v5
	v_div_scale_f32 v3, s[2:3], v2, v2, 1.0
	v_rcp_f32_e32 v4, v3
	s_mov_b32 s2, 1.0
	s_mov_b32 s3, 0
	v_fma_f32 v6, -v3, v4, 1.0
	v_fmac_f32_e32 v4, v6, v4
	v_div_scale_f32 v6, vcc, 1.0, v2, 1.0
	v_mul_f32_e32 v7, v6, v4
	v_fma_f32 v9, -v3, v7, v6
	v_fmac_f32_e32 v7, v9, v4
	v_fma_f32 v3, -v3, v7, v6
	v_div_fmas_f32 v3, v3, v4, v7
	v_mul_f32_e32 v4, 0, v5
	v_pk_add_f32 v[6:7], v[4:5], s[2:3]
	v_pk_add_f32 v[4:5], v[4:5], s[2:3] neg_lo:[1,0] neg_hi:[1,0]
	v_div_fixup_f32 v2, v3, v2, 1.0
	v_mov_b32_e32 v7, v5
	v_pk_mul_f32 v[4:5], v[6:7], v[2:3] op_sel_hi:[1,0]
.LBB138_32:
	s_or_b64 exec, exec, s[0:1]
	s_mov_b64 s[0:1], 0
	ds_write_b64 v1, v[4:5]
.LBB138_33:
	s_and_b64 vcc, exec, s[0:1]
	s_cbranch_vccz .LBB138_35
; %bb.34:
	v_mov_b32_e32 v2, 1.0
	v_mov_b32_e32 v3, 0
	ds_write_b64 v1, v[2:3]
.LBB138_35:
	s_or_b64 exec, exec, s[26:27]
	s_load_dwordx2 s[0:1], s[6:7], 0x58
	s_load_dword s13, s[6:7], 0x50
	s_waitcnt lgkmcnt(0)
	s_mul_i32 s1, s9, s1
	s_mul_hi_u32 s2, s9, s0
	s_mul_i32 s0, s9, s0
	s_add_i32 s1, s2, s1
	s_lshl_b64 s[0:1], s[0:1], 3
	s_add_u32 s2, s18, s0
	s_addc_u32 s3, s19, s1
	s_lshl_b64 s[0:1], s[24:25], 3
	s_add_u32 s2, s2, s0
	s_addc_u32 s3, s3, s1
	s_lshl_b32 s0, s8, 3
	s_add_i32 s41, s41, -1
	s_sub_i32 s1, s15, s0
	s_cmp_ge_u32 s8, s41
	s_cselect_b32 s6, s1, 8
	s_mul_hi_i32 s1, s13, s0
	s_mul_i32 s0, s13, s0
	s_lshl_b64 s[0:1], s[0:1], 3
	s_add_u32 s15, s2, s0
	s_addc_u32 s16, s3, s1
	s_cmp_gt_i32 s14, 0
	v_cmp_gt_i32_e32 vcc, s6, v8
	s_cselect_b64 s[0:1], -1, 0
	s_and_b64 s[0:1], vcc, s[0:1]
	s_and_saveexec_b64 s[2:3], s[0:1]
	s_cbranch_execz .LBB138_44
; %bb.36:
	v_mad_i64_i32 v[2:3], s[6:7], s13, v8, 0
	v_lshlrev_b64 v[2:3], 3, v[2:3]
	v_mov_b32_e32 v1, s16
	v_add_co_u32_e32 v2, vcc, s15, v2
	v_addc_co_u32_e32 v3, vcc, v1, v3, vcc
	global_load_dwordx2 v[4:5], v[2:3], off
	v_lshlrev_b32_e32 v1, 3, v8
	s_cmp_eq_u32 s14, 1
	s_waitcnt vmcnt(0)
	v_mul_f32_e32 v6, s11, v5
	v_mul_f32_e32 v7, s10, v5
	v_fma_f32 v6, s10, v4, -v6
	v_fmac_f32_e32 v7, s11, v4
	ds_write_b64 v1, v[6:7] offset:512
	s_cbranch_scc1 .LBB138_44
; %bb.37:
	global_load_dwordx2 v[4:5], v[2:3], off offset:8
	v_or_b32_e32 v1, 0x200, v1
	s_cmp_eq_u32 s14, 2
	s_waitcnt vmcnt(0)
	v_mul_f32_e32 v6, s11, v5
	v_mul_f32_e32 v7, s10, v5
	v_fma_f32 v6, s10, v4, -v6
	v_fmac_f32_e32 v7, s11, v4
	ds_write_b64 v1, v[6:7] offset:64
	s_cbranch_scc1 .LBB138_44
; %bb.38:
	global_load_dwordx2 v[4:5], v[2:3], off offset:16
	s_cmp_eq_u32 s14, 3
	s_waitcnt vmcnt(0)
	v_mul_f32_e32 v6, s11, v5
	v_mul_f32_e32 v7, s10, v5
	v_fma_f32 v6, s10, v4, -v6
	v_fmac_f32_e32 v7, s11, v4
	ds_write_b64 v1, v[6:7] offset:128
	s_cbranch_scc1 .LBB138_44
; %bb.39:
	global_load_dwordx2 v[4:5], v[2:3], off offset:24
	;; [unrolled: 10-line block ×6, first 2 shown]
	s_waitcnt vmcnt(0)
	v_mul_f32_e32 v4, s11, v3
	v_mul_f32_e32 v5, s10, v3
	v_fma_f32 v4, s10, v2, -v4
	v_fmac_f32_e32 v5, s11, v2
	ds_write_b64 v1, v[4:5] offset:448
.LBB138_44:
	s_or_b64 exec, exec, s[2:3]
	s_load_dwordx2 s[2:3], s[4:5], 0x4
	v_bfe_u32 v1, v0, 10, 10
	v_bfe_u32 v2, v0, 20, 10
	v_mov_b32_e32 v0, 0x400
	s_waitcnt lgkmcnt(0)
	s_lshr_b32 s2, s2, 16
	s_mul_i32 s2, s2, s3
	v_mul_u32_u24_e32 v1, s3, v1
	v_mul_u32_u24_e32 v3, s2, v8
	v_add3_u32 v10, v3, v1, v2
	v_lshl_add_u32 v9, v10, 6, v0
	s_cmpk_eq_i32 s12, 0x6f
	s_mov_b64 s[2:3], -1
	; wave barrier
	s_cbranch_scc1 .LBB138_73
; %bb.45:
	v_mov_b32_e32 v1, 0x200
	s_mov_b32 s3, 0
	v_lshl_or_b32 v11, v8, 3, v1
	v_lshl_add_u32 v12, v10, 6, v0
	v_lshlrev_b32_e32 v13, 3, v8
	s_mov_b32 s2, s3
	s_mov_b32 s12, s3
	s_branch .LBB138_47
.LBB138_46:                             ;   in Loop: Header=BB138_47 Depth=1
	s_cmp_ge_i32 s12, s40
	s_cselect_b64 s[4:5], -1, 0
	s_add_i32 s2, s2, 1
	s_cmp_eq_u32 s2, 3
	s_cselect_b64 s[6:7], -1, 0
	s_or_b64 s[4:5], s[4:5], s[6:7]
	s_andn2_b64 vcc, exec, s[4:5]
	s_cbranch_vccz .LBB138_72
.LBB138_47:                             ; =>This Loop Header: Depth=1
                                        ;     Child Loop BB138_50 Depth 2
                                        ;       Child Loop BB138_51 Depth 3
                                        ;       Child Loop BB138_55 Depth 3
                                        ;         Child Loop BB138_57 Depth 4
                                        ;         Child Loop BB138_63 Depth 4
                                        ;       Child Loop BB138_66 Depth 3
                                        ;         Child Loop BB138_68 Depth 4
	s_lshl_b64 s[4:5], s[2:3], 2
	s_getpc_b64 s[6:7]
	s_add_u32 s6, s6, __const._ZL38rocblas_trsm_small_left_device_sharedBILi8ELi8ELb0E19rocblas_complex_numIfES1_PKS1_PS1_Ev13rocblas_fill_18rocblas_operation_17rocblas_diagonal_iiT3_T4_lilT5_lili.step_sizes@rel32@lo+4
	s_addc_u32 s7, s7, __const._ZL38rocblas_trsm_small_left_device_sharedBILi8ELi8ELb0E19rocblas_complex_numIfES1_PKS1_PS1_Ev13rocblas_fill_18rocblas_operation_17rocblas_diagonal_iiT3_T4_lilT5_lili.step_sizes@rel32@hi+12
	s_add_u32 s4, s4, s6
	s_addc_u32 s5, s5, s7
	s_load_dword s17, s[4:5], 0x0
	s_waitcnt lgkmcnt(0)
	s_add_i32 s18, s17, -1
	s_add_i32 s4, s18, s12
	s_cmp_ge_i32 s4, s40
	s_cbranch_scc1 .LBB138_46
; %bb.48:                               ;   in Loop: Header=BB138_47 Depth=1
	s_max_i32 s19, s17, 1
	s_cmp_lg_u32 s2, 2
	s_cselect_b64 s[4:5], -1, 0
	s_and_b32 s20, s19, 0x7ffffffe
	s_cmp_lg_u32 s19, s20
	s_cselect_b64 s[6:7], -1, 0
	v_lshl_add_u32 v14, s12, 6, v11
	s_lshl_b32 s21, s17, 6
	s_mul_i32 s22, s12, 0x48
	s_mul_i32 s23, s17, 0x48
	s_branch .LBB138_50
.LBB138_49:                             ;   in Loop: Header=BB138_50 Depth=2
	s_add_i32 s12, s12, s17
	s_add_i32 s8, s18, s12
	;; [unrolled: 1-line block ×3, first 2 shown]
	s_cmp_ge_i32 s8, s40
	v_add_u32_e32 v14, s21, v14
	s_cbranch_scc1 .LBB138_46
.LBB138_50:                             ;   Parent Loop BB138_47 Depth=1
                                        ; =>  This Loop Header: Depth=2
                                        ;       Child Loop BB138_51 Depth 3
                                        ;       Child Loop BB138_55 Depth 3
                                        ;         Child Loop BB138_57 Depth 4
                                        ;         Child Loop BB138_63 Depth 4
                                        ;       Child Loop BB138_66 Depth 3
                                        ;         Child Loop BB138_68 Depth 4
	v_mov_b32_e32 v0, v9
	v_mov_b32_e32 v1, v14
	s_mov_b32 s8, s19
.LBB138_51:                             ;   Parent Loop BB138_47 Depth=1
                                        ;     Parent Loop BB138_50 Depth=2
                                        ; =>    This Inner Loop Header: Depth=3
	ds_read_b64 v[2:3], v1
	s_add_i32 s8, s8, -1
	v_add_u32_e32 v1, 64, v1
	s_cmp_eq_u32 s8, 0
	s_waitcnt lgkmcnt(0)
	ds_write_b64 v0, v[2:3]
	v_add_u32_e32 v0, 8, v0
	s_cbranch_scc0 .LBB138_51
; %bb.52:                               ;   in Loop: Header=BB138_50 Depth=2
	s_cmp_lt_i32 s12, 1
	s_cbranch_scc1 .LBB138_64
; %bb.53:                               ;   in Loop: Header=BB138_50 Depth=2
	s_mov_b32 s24, s12
	s_mov_b32 s25, 0
	;; [unrolled: 1-line block ×3, first 2 shown]
	s_branch .LBB138_55
.LBB138_54:                             ;   in Loop: Header=BB138_55 Depth=3
	s_add_i32 s26, s26, 1
	s_add_i32 s25, s25, 8
	s_cmp_ge_i32 s26, s12
	s_cbranch_scc1 .LBB138_64
.LBB138_55:                             ;   Parent Loop BB138_47 Depth=1
                                        ;     Parent Loop BB138_50 Depth=2
                                        ; =>    This Loop Header: Depth=3
                                        ;         Child Loop BB138_57 Depth 4
                                        ;         Child Loop BB138_63 Depth 4
	s_waitcnt lgkmcnt(0)
	v_lshl_or_b32 v0, s26, 6, v13
	ds_read_b64 v[0:1], v0 offset:512
	s_and_b64 vcc, exec, s[4:5]
	s_cbranch_vccz .LBB138_59
; %bb.56:                               ;   in Loop: Header=BB138_55 Depth=3
	s_mov_b32 s8, s26
	s_waitcnt lgkmcnt(0)
	v_mov_b32_e32 v4, v0
	v_mov_b32_e32 v5, v0
	;; [unrolled: 1-line block ×5, first 2 shown]
	s_mov_b32 s9, 1
	s_mov_b32 s10, 0
	s_mov_b32 s11, s20
	v_mov_b32_e32 v3, v9
.LBB138_57:                             ;   Parent Loop BB138_47 Depth=1
                                        ;     Parent Loop BB138_50 Depth=2
                                        ;       Parent Loop BB138_55 Depth=3
                                        ; =>      This Inner Loop Header: Depth=4
	s_add_i32 s27, s9, s24
	s_add_i32 s28, s10, s12
	s_lshl_b32 s28, s28, 3
	s_lshl_b32 s27, s27, 3
	s_add_i32 s27, s27, s8
	s_add_i32 s28, s28, s26
	s_lshl_b32 s28, s28, 3
	s_lshl_b32 s27, s27, 3
	v_mov_b32_e32 v15, s28
	v_mov_b32_e32 v22, s27
	ds_read_b128 v[16:19], v3
	ds_read_b64 v[20:21], v15
	ds_read_b64 v[22:23], v22
	s_add_i32 s10, s10, 2
	s_add_i32 s9, s9, 2
	s_add_i32 s11, s11, -2
	s_waitcnt lgkmcnt(2)
	v_mov_b32_e32 v25, v18
	v_mov_b32_e32 v18, v17
	s_waitcnt lgkmcnt(0)
	v_mov_b32_e32 v17, v22
	v_mov_b32_e32 v22, v21
	;; [unrolled: 1-line block ×4, first 2 shown]
	v_pk_mul_f32 v[20:21], v[22:23], v[6:7]
	v_pk_mul_f32 v[22:23], v[22:23], v[4:5]
	v_pk_fma_f32 v[20:21], v[16:17], v[4:5], v[20:21] neg_lo:[0,0,1] neg_hi:[0,0,1]
	v_pk_fma_f32 v[16:17], v[16:17], v[6:7], v[22:23]
	v_pk_add_f32 v[20:21], v[24:25], v[20:21] neg_lo:[0,1] neg_hi:[0,1]
	v_pk_add_f32 v[18:19], v[18:19], v[16:17] neg_lo:[0,1] neg_hi:[0,1]
	v_mov_b32_e32 v16, v20
	v_mov_b32_e32 v17, v18
	;; [unrolled: 1-line block ×3, first 2 shown]
	s_cmp_lg_u32 s11, 0
	ds_write_b128 v3, v[16:19]
	v_add_u32_e32 v3, 16, v3
	s_cbranch_scc1 .LBB138_57
; %bb.58:                               ;   in Loop: Header=BB138_55 Depth=3
	s_mov_b64 s[8:9], s[6:7]
	s_mov_b32 s10, s20
	s_branch .LBB138_61
.LBB138_59:                             ;   in Loop: Header=BB138_55 Depth=3
	s_mov_b64 s[8:9], 0
                                        ; implicit-def: $vgpr2_vgpr3
	s_mov_b32 s10, s20
	s_cbranch_execz .LBB138_61
; %bb.60:                               ;   in Loop: Header=BB138_55 Depth=3
	s_waitcnt lgkmcnt(0)
	v_mov_b32_e32 v2, v1
	s_mov_b64 s[8:9], -1
	s_mov_b32 s10, 0
.LBB138_61:                             ;   in Loop: Header=BB138_55 Depth=3
	s_andn2_b64 vcc, exec, s[8:9]
	s_cbranch_vccnz .LBB138_54
; %bb.62:                               ;   in Loop: Header=BB138_55 Depth=3
	s_add_i32 s9, s12, s10
	s_lshl_b32 s9, s9, 6
	s_waitcnt lgkmcnt(0)
	v_mov_b32_e32 v3, v1
	v_mov_b32_e32 v1, v0
	s_sub_i32 s8, s19, s10
	s_add_i32 s9, s25, s9
	v_lshl_add_u32 v4, s10, 3, v12
.LBB138_63:                             ;   Parent Loop BB138_47 Depth=1
                                        ;     Parent Loop BB138_50 Depth=2
                                        ;       Parent Loop BB138_55 Depth=3
                                        ; =>      This Inner Loop Header: Depth=4
	v_mov_b32_e32 v5, s9
	ds_read_b64 v[16:17], v5
	ds_read_b64 v[6:7], v4
	s_add_i32 s8, s8, -1
	s_add_i32 s9, s9, 64
	s_cmp_eq_u32 s8, 0
	s_waitcnt lgkmcnt(1)
	v_pk_mul_f32 v[18:19], v[16:17], v[2:3]
	v_pk_fma_f32 v[20:21], v[16:17], v[0:1], v[18:19] op_sel:[0,0,1] op_sel_hi:[1,1,0] neg_lo:[0,0,1] neg_hi:[0,0,1]
	v_pk_fma_f32 v[16:17], v[16:17], v[0:1], v[18:19] op_sel:[0,0,1] op_sel_hi:[1,1,0]
	v_mov_b32_e32 v21, v17
	s_waitcnt lgkmcnt(0)
	v_pk_add_f32 v[6:7], v[6:7], v[20:21] neg_lo:[0,1] neg_hi:[0,1]
	ds_write_b64 v4, v[6:7]
	v_add_u32_e32 v4, 8, v4
	s_cbranch_scc0 .LBB138_63
	s_branch .LBB138_54
.LBB138_64:                             ;   in Loop: Header=BB138_50 Depth=2
	s_lshl_b32 s10, s12, 3
	s_mov_b32 s11, 0
	s_mov_b32 s24, s22
	s_branch .LBB138_66
.LBB138_65:                             ;   in Loop: Header=BB138_66 Depth=3
	s_mul_i32 s8, s26, 0x48
	v_mov_b32_e32 v3, s8
	ds_read_b64 v[4:5], v3
	s_add_i32 s11, s11, 1
	s_add_i32 s24, s24, 64
	v_add_lshl_u32 v3, s25, v8, 3
	s_cmp_eq_u32 s11, s19
	s_waitcnt lgkmcnt(0)
	v_mul_f32_e32 v6, v5, v1
	v_mul_f32_e32 v7, v4, v1
	v_fma_f32 v6, v4, v0, -v6
	v_fmac_f32_e32 v7, v5, v0
	ds_write_b64 v2, v[6:7]
	ds_write_b64 v3, v[6:7] offset:512
	s_cbranch_scc1 .LBB138_49
.LBB138_66:                             ;   Parent Loop BB138_47 Depth=1
                                        ;     Parent Loop BB138_50 Depth=2
                                        ; =>    This Loop Header: Depth=3
                                        ;         Child Loop BB138_68 Depth 4
	s_cmp_lg_u32 s11, 0
	v_lshl_add_u32 v2, s11, 3, v9
	s_cbranch_scc0 .LBB138_70
; %bb.67:                               ;   in Loop: Header=BB138_66 Depth=3
	s_waitcnt lgkmcnt(0)
	ds_read_b64 v[0:1], v2
	s_mov_b32 s8, 0
	s_mov_b32 s9, s24
	v_mov_b32_e32 v3, v9
.LBB138_68:                             ;   Parent Loop BB138_47 Depth=1
                                        ;     Parent Loop BB138_50 Depth=2
                                        ;       Parent Loop BB138_66 Depth=3
                                        ; =>      This Inner Loop Header: Depth=4
	v_mov_b32_e32 v6, s9
	ds_read_b64 v[4:5], v3
	ds_read_b64 v[6:7], v6
	s_add_i32 s8, s8, 1
	s_add_i32 s9, s9, 8
	v_add_u32_e32 v3, 8, v3
	s_cmp_ge_u32 s8, s11
	s_waitcnt lgkmcnt(0)
	v_pk_mul_f32 v[16:17], v[6:7], v[4:5] op_sel:[0,1]
	v_pk_fma_f32 v[18:19], v[6:7], v[4:5], v[16:17] op_sel:[0,0,1] op_sel_hi:[1,1,0] neg_lo:[0,0,1] neg_hi:[0,0,1]
	v_pk_fma_f32 v[4:5], v[6:7], v[4:5], v[16:17] op_sel:[0,0,1] op_sel_hi:[1,0,0]
	v_mov_b32_e32 v19, v5
	v_pk_add_f32 v[0:1], v[0:1], v[18:19] neg_lo:[0,1] neg_hi:[0,1]
	ds_write_b64 v2, v[0:1]
	s_cbranch_scc0 .LBB138_68
; %bb.69:                               ;   in Loop: Header=BB138_66 Depth=3
	s_add_i32 s26, s11, s12
	s_lshl_b32 s25, s26, 3
	s_branch .LBB138_65
.LBB138_70:                             ;   in Loop: Header=BB138_66 Depth=3
                                        ; implicit-def: $vgpr0
                                        ; implicit-def: $sgpr26
                                        ; implicit-def: $sgpr25
	s_cbranch_execz .LBB138_65
; %bb.71:                               ;   in Loop: Header=BB138_66 Depth=3
	s_waitcnt lgkmcnt(0)
	ds_read_b64 v[0:1], v9
	s_mov_b32 s25, s10
	s_mov_b32 s26, s12
	s_branch .LBB138_65
.LBB138_72:
	s_mov_b64 s[2:3], 0
.LBB138_73:
	s_and_b64 vcc, exec, s[2:3]
	s_cbranch_vccz .LBB138_100
; %bb.74:
	v_mov_b32_e32 v0, 0x200
	v_lshl_or_b32 v11, v8, 3, v0
	s_lshl_b32 s2, s40, 6
	v_mov_b32_e32 v0, 0x400
	s_mov_b32 s3, 0
	s_sub_i32 s12, s2, 64
	v_lshl_add_u32 v10, v10, 6, v0
	s_mov_b32 s2, s3
	s_mov_b32 s17, s33
	s_branch .LBB138_76
.LBB138_75:                             ;   in Loop: Header=BB138_76 Depth=1
	s_cmp_lt_i32 s17, 0
	s_cselect_b64 s[4:5], -1, 0
	s_add_i32 s2, s2, 1
	s_cmp_eq_u32 s2, 3
	s_cselect_b64 s[6:7], -1, 0
	s_or_b64 s[4:5], s[4:5], s[6:7]
	s_and_b64 vcc, exec, s[4:5]
	s_cbranch_vccnz .LBB138_100
.LBB138_76:                             ; =>This Loop Header: Depth=1
                                        ;     Child Loop BB138_79 Depth 2
                                        ;       Child Loop BB138_80 Depth 3
                                        ;       Child Loop BB138_91 Depth 3
                                        ;         Child Loop BB138_93 Depth 4
                                        ;         Child Loop BB138_99 Depth 4
                                        ;       Child Loop BB138_84 Depth 3
                                        ;         Child Loop BB138_86 Depth 4
	s_lshl_b64 s[4:5], s[2:3], 2
	s_getpc_b64 s[6:7]
	s_add_u32 s6, s6, __const._ZL38rocblas_trsm_small_left_device_sharedBILi8ELi8ELb0E19rocblas_complex_numIfES1_PKS1_PS1_Ev13rocblas_fill_18rocblas_operation_17rocblas_diagonal_iiT3_T4_lilT5_lili.step_sizes@rel32@lo+4
	s_addc_u32 s7, s7, __const._ZL38rocblas_trsm_small_left_device_sharedBILi8ELi8ELb0E19rocblas_complex_numIfES1_PKS1_PS1_Ev13rocblas_fill_18rocblas_operation_17rocblas_diagonal_iiT3_T4_lilT5_lili.step_sizes@rel32@hi+12
	s_add_u32 s4, s4, s6
	s_addc_u32 s5, s5, s7
	s_load_dword s18, s[4:5], 0x0
	s_waitcnt lgkmcnt(0)
	s_add_i32 s19, s18, -1
	s_cmp_lt_i32 s17, s19
	s_cbranch_scc1 .LBB138_75
; %bb.77:                               ;   in Loop: Header=BB138_76 Depth=1
	s_max_i32 s20, s18, 1
	s_cmp_lg_u32 s2, 2
	s_cselect_b64 s[4:5], -1, 0
	s_and_b32 s21, s20, 0x7ffffffe
	s_cmp_lg_u32 s20, s21
	s_cselect_b64 s[6:7], -1, 0
	s_lshl_b32 s8, s18, 6
	s_sub_i32 s22, 0, s8
	s_lshl_b32 s8, s17, 3
	s_add_i32 s23, s12, s8
	s_lshl_b32 s8, s18, 3
	v_lshl_add_u32 v12, s17, 6, v11
	s_sub_i32 s24, 0, s8
	s_mul_i32 s25, s17, 0x48
	s_mul_i32 s26, s18, 0xffffffb8
	s_branch .LBB138_79
.LBB138_78:                             ;   in Loop: Header=BB138_79 Depth=2
	s_sub_i32 s17, s17, s18
	s_add_i32 s23, s23, s24
	s_add_i32 s25, s25, s26
	s_cmp_lt_i32 s17, s19
	v_add_u32_e32 v12, s22, v12
	s_cbranch_scc1 .LBB138_75
.LBB138_79:                             ;   Parent Loop BB138_76 Depth=1
                                        ; =>  This Loop Header: Depth=2
                                        ;       Child Loop BB138_80 Depth 3
                                        ;       Child Loop BB138_91 Depth 3
                                        ;         Child Loop BB138_93 Depth 4
                                        ;         Child Loop BB138_99 Depth 4
                                        ;       Child Loop BB138_84 Depth 3
                                        ;         Child Loop BB138_86 Depth 4
	v_mov_b32_e32 v0, v9
	v_mov_b32_e32 v1, v12
	s_mov_b32 s8, s20
.LBB138_80:                             ;   Parent Loop BB138_76 Depth=1
                                        ;     Parent Loop BB138_79 Depth=2
                                        ; =>    This Inner Loop Header: Depth=3
	ds_read_b64 v[2:3], v1
	s_add_i32 s8, s8, -1
	v_subrev_u32_e32 v1, 64, v1
	s_cmp_eq_u32 s8, 0
	s_waitcnt lgkmcnt(0)
	ds_write_b64 v0, v[2:3]
	v_add_u32_e32 v0, 8, v0
	s_cbranch_scc0 .LBB138_80
; %bb.81:                               ;   in Loop: Header=BB138_79 Depth=2
	s_cmp_le_i32 s33, s17
	s_mov_b32 s27, s23
	s_mov_b32 s28, s33
	s_cbranch_scc0 .LBB138_91
.LBB138_82:                             ;   in Loop: Header=BB138_79 Depth=2
	s_mov_b32 s10, 0
	s_mov_b32 s11, s25
	s_branch .LBB138_84
.LBB138_83:                             ;   in Loop: Header=BB138_84 Depth=3
	s_mul_i32 s8, s27, 0x48
	v_mov_b32_e32 v3, s8
	ds_read_b64 v[4:5], v3
	v_lshlrev_b32_e32 v3, 3, v8
	s_add_i32 s10, s10, 1
	s_add_i32 s11, s11, -8
	v_lshl_or_b32 v3, s27, 6, v3
	s_waitcnt lgkmcnt(0)
	v_mul_f32_e32 v6, v5, v1
	v_mul_f32_e32 v7, v4, v1
	v_fma_f32 v6, v4, v0, -v6
	v_fmac_f32_e32 v7, v5, v0
	s_cmp_eq_u32 s10, s20
	ds_write_b64 v2, v[6:7]
	ds_write_b64 v3, v[6:7] offset:512
	s_cbranch_scc1 .LBB138_78
.LBB138_84:                             ;   Parent Loop BB138_76 Depth=1
                                        ;     Parent Loop BB138_79 Depth=2
                                        ; =>    This Loop Header: Depth=3
                                        ;         Child Loop BB138_86 Depth 4
	s_cmp_lg_u32 s10, 0
	v_lshl_add_u32 v2, s10, 3, v9
	s_cbranch_scc0 .LBB138_88
; %bb.85:                               ;   in Loop: Header=BB138_84 Depth=3
	s_waitcnt lgkmcnt(0)
	ds_read_b64 v[0:1], v2
	s_mov_b32 s8, 0
	v_mov_b32_e32 v3, v9
	s_mov_b32 s9, s11
.LBB138_86:                             ;   Parent Loop BB138_76 Depth=1
                                        ;     Parent Loop BB138_79 Depth=2
                                        ;       Parent Loop BB138_84 Depth=3
                                        ; =>      This Inner Loop Header: Depth=4
	v_mov_b32_e32 v6, s9
	ds_read_b64 v[4:5], v3
	ds_read_b64 v[6:7], v6
	s_add_i32 s8, s8, 1
	s_sub_i32 s9, s9, 64
	v_add_u32_e32 v3, 8, v3
	s_cmp_ge_u32 s8, s10
	s_waitcnt lgkmcnt(0)
	v_pk_mul_f32 v[14:15], v[6:7], v[4:5] op_sel:[0,1]
	v_pk_fma_f32 v[16:17], v[6:7], v[4:5], v[14:15] op_sel:[0,0,1] op_sel_hi:[1,1,0] neg_lo:[0,0,1] neg_hi:[0,0,1]
	v_pk_fma_f32 v[4:5], v[6:7], v[4:5], v[14:15] op_sel:[0,0,1] op_sel_hi:[1,0,0]
	v_mov_b32_e32 v17, v5
	v_pk_add_f32 v[0:1], v[0:1], v[16:17] neg_lo:[0,1] neg_hi:[0,1]
	ds_write_b64 v2, v[0:1]
	s_cbranch_scc0 .LBB138_86
; %bb.87:                               ;   in Loop: Header=BB138_84 Depth=3
	s_sub_i32 s27, s17, s10
	s_branch .LBB138_83
.LBB138_88:                             ;   in Loop: Header=BB138_84 Depth=3
                                        ; implicit-def: $vgpr0
                                        ; implicit-def: $sgpr27
	s_cbranch_execz .LBB138_83
; %bb.89:                               ;   in Loop: Header=BB138_84 Depth=3
	s_waitcnt lgkmcnt(0)
	ds_read_b64 v[0:1], v9
	s_mov_b32 s27, s17
	s_branch .LBB138_83
.LBB138_90:                             ;   in Loop: Header=BB138_91 Depth=3
	s_add_i32 s28, s28, -1
	s_sub_i32 s27, s27, 64
	s_cmp_le_i32 s28, s17
	s_cbranch_scc1 .LBB138_82
.LBB138_91:                             ;   Parent Loop BB138_76 Depth=1
                                        ;     Parent Loop BB138_79 Depth=2
                                        ; =>    This Loop Header: Depth=3
                                        ;         Child Loop BB138_93 Depth 4
                                        ;         Child Loop BB138_99 Depth 4
	s_lshl_b32 s8, s28, 3
	s_waitcnt lgkmcnt(0)
	v_or_b32_e32 v0, s8, v8
	v_lshlrev_b32_e32 v0, 3, v0
	ds_read_b64 v[0:1], v0 offset:512
	s_and_b64 vcc, exec, s[4:5]
	s_cbranch_vccz .LBB138_95
; %bb.92:                               ;   in Loop: Header=BB138_91 Depth=3
	s_add_i32 s8, s8, s17
	s_mov_b32 s9, s8
	s_waitcnt lgkmcnt(0)
	v_mov_b32_e32 v4, v0
	v_mov_b32_e32 v5, v0
	v_mov_b32_e32 v2, v1
	v_mov_b32_e32 v6, v1
	v_mov_b32_e32 v7, v1
	s_mov_b32 s10, 1
	s_mov_b32 s11, 0
	;; [unrolled: 1-line block ×3, first 2 shown]
	v_mov_b32_e32 v3, v9
.LBB138_93:                             ;   Parent Loop BB138_76 Depth=1
                                        ;     Parent Loop BB138_79 Depth=2
                                        ;       Parent Loop BB138_91 Depth=3
                                        ; =>      This Inner Loop Header: Depth=4
	s_sub_i32 s30, s9, s10
	s_sub_i32 s31, s8, s11
	s_lshl_b32 s31, s31, 3
	s_lshl_b32 s30, s30, 3
	v_mov_b32_e32 v13, s31
	v_mov_b32_e32 v20, s30
	ds_read_b128 v[14:17], v3
	ds_read_b64 v[18:19], v13
	ds_read_b64 v[20:21], v20
	s_add_i32 s11, s11, 2
	s_add_i32 s10, s10, 2
	s_add_i32 s29, s29, -2
	s_waitcnt lgkmcnt(2)
	v_mov_b32_e32 v23, v16
	v_mov_b32_e32 v16, v15
	s_waitcnt lgkmcnt(0)
	v_mov_b32_e32 v15, v20
	v_mov_b32_e32 v20, v19
	;; [unrolled: 1-line block ×4, first 2 shown]
	v_pk_mul_f32 v[18:19], v[20:21], v[6:7]
	v_pk_mul_f32 v[20:21], v[20:21], v[4:5]
	v_pk_fma_f32 v[18:19], v[14:15], v[4:5], v[18:19] neg_lo:[0,0,1] neg_hi:[0,0,1]
	v_pk_fma_f32 v[14:15], v[14:15], v[6:7], v[20:21]
	v_pk_add_f32 v[18:19], v[22:23], v[18:19] neg_lo:[0,1] neg_hi:[0,1]
	v_pk_add_f32 v[16:17], v[16:17], v[14:15] neg_lo:[0,1] neg_hi:[0,1]
	v_mov_b32_e32 v14, v18
	v_mov_b32_e32 v15, v16
	;; [unrolled: 1-line block ×3, first 2 shown]
	s_cmp_lg_u32 s29, 0
	ds_write_b128 v3, v[14:17]
	v_add_u32_e32 v3, 16, v3
	s_cbranch_scc1 .LBB138_93
; %bb.94:                               ;   in Loop: Header=BB138_91 Depth=3
	s_mov_b64 s[8:9], s[6:7]
	s_mov_b32 s10, s21
	s_branch .LBB138_97
.LBB138_95:                             ;   in Loop: Header=BB138_91 Depth=3
	s_mov_b64 s[8:9], 0
                                        ; implicit-def: $vgpr2_vgpr3
	s_mov_b32 s10, s21
	s_cbranch_execz .LBB138_97
; %bb.96:                               ;   in Loop: Header=BB138_91 Depth=3
	s_waitcnt lgkmcnt(0)
	v_mov_b32_e32 v2, v1
	s_mov_b64 s[8:9], -1
	s_mov_b32 s10, 0
.LBB138_97:                             ;   in Loop: Header=BB138_91 Depth=3
	s_andn2_b64 vcc, exec, s[8:9]
	s_cbranch_vccnz .LBB138_90
; %bb.98:                               ;   in Loop: Header=BB138_91 Depth=3
	s_lshl_b32 s11, s10, 3
	s_waitcnt lgkmcnt(0)
	v_mov_b32_e32 v3, v1
	v_mov_b32_e32 v1, v0
	s_sub_i32 s8, s27, s11
	s_sub_i32 s9, s20, s10
	v_add_u32_e32 v4, s11, v10
.LBB138_99:                             ;   Parent Loop BB138_76 Depth=1
                                        ;     Parent Loop BB138_79 Depth=2
                                        ;       Parent Loop BB138_91 Depth=3
                                        ; =>      This Inner Loop Header: Depth=4
	v_mov_b32_e32 v5, s8
	ds_read_b64 v[14:15], v5
	ds_read_b64 v[6:7], v4
	s_add_i32 s8, s8, -8
	s_add_i32 s9, s9, -1
	s_cmp_eq_u32 s9, 0
	s_waitcnt lgkmcnt(1)
	v_pk_mul_f32 v[16:17], v[14:15], v[2:3]
	v_pk_fma_f32 v[18:19], v[14:15], v[0:1], v[16:17] op_sel:[0,0,1] op_sel_hi:[1,1,0] neg_lo:[0,0,1] neg_hi:[0,0,1]
	v_pk_fma_f32 v[14:15], v[14:15], v[0:1], v[16:17] op_sel:[0,0,1] op_sel_hi:[1,1,0]
	v_mov_b32_e32 v19, v15
	s_waitcnt lgkmcnt(0)
	v_pk_add_f32 v[6:7], v[6:7], v[18:19] neg_lo:[0,1] neg_hi:[0,1]
	ds_write_b64 v4, v[6:7]
	v_add_u32_e32 v4, 8, v4
	s_cbranch_scc0 .LBB138_99
	s_branch .LBB138_90
.LBB138_100:
	s_waitcnt lgkmcnt(0)
	; wave barrier
	s_waitcnt lgkmcnt(0)
	s_and_saveexec_b64 s[2:3], s[0:1]
	s_cbranch_execz .LBB138_109
; %bb.101:
	v_lshlrev_b32_e32 v2, 3, v8
	ds_read_b64 v[4:5], v2 offset:512
	v_mad_i64_i32 v[0:1], s[0:1], s13, v8, 0
	v_lshlrev_b64 v[0:1], 3, v[0:1]
	v_mov_b32_e32 v3, s16
	v_add_co_u32_e32 v0, vcc, s15, v0
	v_addc_co_u32_e32 v1, vcc, v3, v1, vcc
	s_cmp_eq_u32 s14, 1
	s_waitcnt lgkmcnt(0)
	global_store_dwordx2 v[0:1], v[4:5], off
	s_cbranch_scc1 .LBB138_109
; %bb.102:
	v_or_b32_e32 v2, 0x200, v2
	ds_read_b64 v[4:5], v2 offset:64
	s_cmp_eq_u32 s14, 2
	s_waitcnt lgkmcnt(0)
	global_store_dwordx2 v[0:1], v[4:5], off offset:8
	s_cbranch_scc1 .LBB138_109
; %bb.103:
	ds_read_b64 v[4:5], v2 offset:128
	s_cmp_eq_u32 s14, 3
	s_waitcnt lgkmcnt(0)
	global_store_dwordx2 v[0:1], v[4:5], off offset:16
	s_cbranch_scc1 .LBB138_109
; %bb.104:
	ds_read_b64 v[4:5], v2 offset:192
	s_cmp_eq_u32 s14, 4
	s_waitcnt lgkmcnt(0)
	global_store_dwordx2 v[0:1], v[4:5], off offset:24
	s_cbranch_scc1 .LBB138_109
; %bb.105:
	ds_read_b64 v[4:5], v2 offset:256
	s_cmp_eq_u32 s14, 5
	s_waitcnt lgkmcnt(0)
	global_store_dwordx2 v[0:1], v[4:5], off offset:32
	s_cbranch_scc1 .LBB138_109
; %bb.106:
	ds_read_b64 v[4:5], v2 offset:320
	s_cmp_eq_u32 s14, 6
	s_waitcnt lgkmcnt(0)
	global_store_dwordx2 v[0:1], v[4:5], off offset:40
	s_cbranch_scc1 .LBB138_109
; %bb.107:
	ds_read_b64 v[4:5], v2 offset:384
	s_cmp_eq_u32 s14, 7
	s_waitcnt lgkmcnt(0)
	global_store_dwordx2 v[0:1], v[4:5], off offset:48
	s_cbranch_scc1 .LBB138_109
; %bb.108:
	ds_read_b64 v[2:3], v2 offset:448
	s_waitcnt lgkmcnt(0)
	global_store_dwordx2 v[0:1], v[2:3], off offset:56
.LBB138_109:
	s_endpgm
	.section	.rodata,"a",@progbits
	.p2align	6, 0x0
	.amdhsa_kernel _ZL38rocblas_trsm_small_left_device_sharedBILi8ELi8ELb0E19rocblas_complex_numIfES1_PKS1_PS1_Ev13rocblas_fill_18rocblas_operation_17rocblas_diagonal_iiT3_T4_lilT5_lili
		.amdhsa_group_segment_fixed_size 1536
		.amdhsa_private_segment_fixed_size 0
		.amdhsa_kernarg_size 360
		.amdhsa_user_sgpr_count 8
		.amdhsa_user_sgpr_private_segment_buffer 1
		.amdhsa_user_sgpr_dispatch_ptr 1
		.amdhsa_user_sgpr_queue_ptr 0
		.amdhsa_user_sgpr_kernarg_segment_ptr 1
		.amdhsa_user_sgpr_dispatch_id 0
		.amdhsa_user_sgpr_flat_scratch_init 0
		.amdhsa_user_sgpr_kernarg_preload_length 0
		.amdhsa_user_sgpr_kernarg_preload_offset 0
		.amdhsa_user_sgpr_private_segment_size 0
		.amdhsa_uses_dynamic_stack 0
		.amdhsa_system_sgpr_private_segment_wavefront_offset 0
		.amdhsa_system_sgpr_workgroup_id_x 1
		.amdhsa_system_sgpr_workgroup_id_y 0
		.amdhsa_system_sgpr_workgroup_id_z 1
		.amdhsa_system_sgpr_workgroup_info 0
		.amdhsa_system_vgpr_workitem_id 2
		.amdhsa_next_free_vgpr 26
		.amdhsa_next_free_sgpr 45
		.amdhsa_accum_offset 28
		.amdhsa_reserve_vcc 1
		.amdhsa_reserve_flat_scratch 0
		.amdhsa_float_round_mode_32 0
		.amdhsa_float_round_mode_16_64 0
		.amdhsa_float_denorm_mode_32 3
		.amdhsa_float_denorm_mode_16_64 3
		.amdhsa_dx10_clamp 1
		.amdhsa_ieee_mode 1
		.amdhsa_fp16_overflow 0
		.amdhsa_tg_split 0
		.amdhsa_exception_fp_ieee_invalid_op 0
		.amdhsa_exception_fp_denorm_src 0
		.amdhsa_exception_fp_ieee_div_zero 0
		.amdhsa_exception_fp_ieee_overflow 0
		.amdhsa_exception_fp_ieee_underflow 0
		.amdhsa_exception_fp_ieee_inexact 0
		.amdhsa_exception_int_div_zero 0
	.end_amdhsa_kernel
	.section	.text._ZL38rocblas_trsm_small_left_device_sharedBILi8ELi8ELb0E19rocblas_complex_numIfES1_PKS1_PS1_Ev13rocblas_fill_18rocblas_operation_17rocblas_diagonal_iiT3_T4_lilT5_lili,"axG",@progbits,_ZL38rocblas_trsm_small_left_device_sharedBILi8ELi8ELb0E19rocblas_complex_numIfES1_PKS1_PS1_Ev13rocblas_fill_18rocblas_operation_17rocblas_diagonal_iiT3_T4_lilT5_lili,comdat
.Lfunc_end138:
	.size	_ZL38rocblas_trsm_small_left_device_sharedBILi8ELi8ELb0E19rocblas_complex_numIfES1_PKS1_PS1_Ev13rocblas_fill_18rocblas_operation_17rocblas_diagonal_iiT3_T4_lilT5_lili, .Lfunc_end138-_ZL38rocblas_trsm_small_left_device_sharedBILi8ELi8ELb0E19rocblas_complex_numIfES1_PKS1_PS1_Ev13rocblas_fill_18rocblas_operation_17rocblas_diagonal_iiT3_T4_lilT5_lili
                                        ; -- End function
	.section	.AMDGPU.csdata,"",@progbits
; Kernel info:
; codeLenInByte = 4208
; NumSgprs: 49
; NumVgprs: 26
; NumAgprs: 0
; TotalNumVgprs: 26
; ScratchSize: 0
; MemoryBound: 0
; FloatMode: 240
; IeeeMode: 1
; LDSByteSize: 1536 bytes/workgroup (compile time only)
; SGPRBlocks: 6
; VGPRBlocks: 3
; NumSGPRsForWavesPerEU: 49
; NumVGPRsForWavesPerEU: 26
; AccumOffset: 28
; Occupancy: 8
; WaveLimiterHint : 0
; COMPUTE_PGM_RSRC2:SCRATCH_EN: 0
; COMPUTE_PGM_RSRC2:USER_SGPR: 8
; COMPUTE_PGM_RSRC2:TRAP_HANDLER: 0
; COMPUTE_PGM_RSRC2:TGID_X_EN: 1
; COMPUTE_PGM_RSRC2:TGID_Y_EN: 0
; COMPUTE_PGM_RSRC2:TGID_Z_EN: 1
; COMPUTE_PGM_RSRC2:TIDIG_COMP_CNT: 2
; COMPUTE_PGM_RSRC3_GFX90A:ACCUM_OFFSET: 6
; COMPUTE_PGM_RSRC3_GFX90A:TG_SPLIT: 0
	.section	.text._ZL30rocblas_trsm_small_left_deviceILi8ELi8ELb0E19rocblas_complex_numIfES1_PKS1_PS1_Ev13rocblas_fill_18rocblas_operation_17rocblas_diagonal_iiT3_T4_lilT5_lili,"axG",@progbits,_ZL30rocblas_trsm_small_left_deviceILi8ELi8ELb0E19rocblas_complex_numIfES1_PKS1_PS1_Ev13rocblas_fill_18rocblas_operation_17rocblas_diagonal_iiT3_T4_lilT5_lili,comdat
	.globl	_ZL30rocblas_trsm_small_left_deviceILi8ELi8ELb0E19rocblas_complex_numIfES1_PKS1_PS1_Ev13rocblas_fill_18rocblas_operation_17rocblas_diagonal_iiT3_T4_lilT5_lili ; -- Begin function _ZL30rocblas_trsm_small_left_deviceILi8ELi8ELb0E19rocblas_complex_numIfES1_PKS1_PS1_Ev13rocblas_fill_18rocblas_operation_17rocblas_diagonal_iiT3_T4_lilT5_lili
	.p2align	8
	.type	_ZL30rocblas_trsm_small_left_deviceILi8ELi8ELb0E19rocblas_complex_numIfES1_PKS1_PS1_Ev13rocblas_fill_18rocblas_operation_17rocblas_diagonal_iiT3_T4_lilT5_lili,@function
_ZL30rocblas_trsm_small_left_deviceILi8ELi8ELb0E19rocblas_complex_numIfES1_PKS1_PS1_Ev13rocblas_fill_18rocblas_operation_17rocblas_diagonal_iiT3_T4_lilT5_lili: ; @_ZL30rocblas_trsm_small_left_deviceILi8ELi8ELb0E19rocblas_complex_numIfES1_PKS1_PS1_Ev13rocblas_fill_18rocblas_operation_17rocblas_diagonal_iiT3_T4_lilT5_lili
; %bb.0:
	s_load_dwordx4 s[16:19], s[6:7], 0x4
	s_load_dwordx2 s[10:11], s[6:7], 0x14
	s_load_dwordx4 s[12:15], s[6:7], 0x38
	s_load_dwordx2 s[24:25], s[6:7], 0x48
	s_load_dword s41, s[6:7], 0x68
	v_and_b32_e32 v1, 0x3ff, v0
	s_waitcnt lgkmcnt(0)
	s_min_i32 s40, s18, 8
	s_mov_b32 s42, 0
	s_add_i32 s33, s40, -1
	v_cmp_gt_i32_e32 vcc, s40, v1
	s_and_saveexec_b64 s[26:27], vcc
	s_cbranch_execz .LBB139_35
; %bb.1:
	s_load_dword s28, s[6:7], 0x30
	s_load_dwordx4 s[20:23], s[6:7], 0x20
	s_mul_i32 s0, s9, s13
	s_mul_hi_u32 s1, s9, s12
	s_mul_i32 s12, s9, s12
	s_waitcnt lgkmcnt(0)
	s_ashr_i32 s29, s28, 31
	s_cmpk_lg_i32 s16, 0x71
	s_cselect_b64 s[30:31], -1, 0
	s_add_i32 s13, s1, s0
	v_cndmask_b32_e64 v2, 0, 1, s[30:31]
	s_cmp_lt_u32 s33, 3
	v_lshlrev_b32_e32 v8, 3, v1
	v_cmp_ne_u32_e64 s[0:1], 1, v2
	s_cbranch_scc1 .LBB139_20
; %bb.2:
	s_lshl_b64 s[2:3], s[12:13], 3
	s_add_u32 s18, s20, s2
	s_addc_u32 s34, s21, s3
	s_lshl_b64 s[2:3], s[22:23], 3
	s_add_u32 s2, s18, s2
	s_addc_u32 s3, s34, s3
	v_mov_b32_e32 v3, s3
	v_add_co_u32_e32 v2, vcc, s2, v8
	s_mul_hi_i32 s2, s28, 24
	s_lshl_b64 s[34:35], s[28:29], 5
	s_lshl_b64 s[36:37], s[28:29], 4
	;; [unrolled: 1-line block ×3, first 2 shown]
	v_addc_co_u32_e32 v3, vcc, 0, v3, vcc
	s_and_b32 s42, s40, -4
	s_mul_i32 s18, s28, 24
	s_mov_b32 s43, 0
	v_mov_b32_e32 v9, s39
	v_mov_b32_e32 v10, s37
	;; [unrolled: 1-line block ×5, first 2 shown]
	s_branch .LBB139_4
.LBB139_3:                              ;   in Loop: Header=BB139_4 Depth=1
	global_load_dword v4, v[6:7], off
	s_add_i32 s43, s43, 4
	v_add_co_u32_e32 v2, vcc, s34, v2
	v_addc_co_u32_e32 v3, vcc, v3, v12, vcc
	s_cmp_eq_u32 s42, s43
	s_waitcnt vmcnt(0)
	ds_write_b64 v13, v[4:5] offset:192
	v_add_u32_e32 v13, 0x100, v13
	s_cbranch_scc1 .LBB139_20
.LBB139_4:                              ; =>This Inner Loop Header: Depth=1
	s_and_b64 vcc, exec, s[30:31]
	s_cbranch_vccz .LBB139_6
; %bb.5:                                ;   in Loop: Header=BB139_4 Depth=1
	global_load_dword v5, v[2:3], off offset:4
	s_cbranch_execz .LBB139_7
	s_branch .LBB139_8
.LBB139_6:                              ;   in Loop: Header=BB139_4 Depth=1
                                        ; implicit-def: $vgpr5
.LBB139_7:                              ;   in Loop: Header=BB139_4 Depth=1
	global_load_dword v4, v[2:3], off offset:4
	s_waitcnt vmcnt(0)
	v_xor_b32_e32 v5, 0x80000000, v4
.LBB139_8:                              ;   in Loop: Header=BB139_4 Depth=1
	global_load_dword v4, v[2:3], off
	v_add_co_u32_e64 v6, s[2:3], s38, v2
	s_and_b64 vcc, exec, s[0:1]
	v_addc_co_u32_e64 v7, s[2:3], v3, v9, s[2:3]
	s_waitcnt vmcnt(0)
	ds_write_b64 v13, v[4:5]
	s_cbranch_vccnz .LBB139_10
; %bb.9:                                ;   in Loop: Header=BB139_4 Depth=1
	global_load_dword v5, v[6:7], off offset:4
	s_cbranch_execz .LBB139_11
	s_branch .LBB139_12
.LBB139_10:                             ;   in Loop: Header=BB139_4 Depth=1
                                        ; implicit-def: $vgpr5
.LBB139_11:                             ;   in Loop: Header=BB139_4 Depth=1
	global_load_dword v4, v[6:7], off offset:4
	s_waitcnt vmcnt(0)
	v_xor_b32_e32 v5, 0x80000000, v4
.LBB139_12:                             ;   in Loop: Header=BB139_4 Depth=1
	global_load_dword v4, v[6:7], off
	v_add_co_u32_e64 v6, s[2:3], s36, v2
	s_and_b64 vcc, exec, s[0:1]
	v_addc_co_u32_e64 v7, s[2:3], v3, v10, s[2:3]
	s_waitcnt vmcnt(0)
	ds_write_b64 v13, v[4:5] offset:64
	s_cbranch_vccnz .LBB139_14
; %bb.13:                               ;   in Loop: Header=BB139_4 Depth=1
	global_load_dword v5, v[6:7], off offset:4
	s_cbranch_execz .LBB139_15
	s_branch .LBB139_16
.LBB139_14:                             ;   in Loop: Header=BB139_4 Depth=1
                                        ; implicit-def: $vgpr5
.LBB139_15:                             ;   in Loop: Header=BB139_4 Depth=1
	global_load_dword v4, v[6:7], off offset:4
	s_waitcnt vmcnt(0)
	v_xor_b32_e32 v5, 0x80000000, v4
.LBB139_16:                             ;   in Loop: Header=BB139_4 Depth=1
	global_load_dword v4, v[6:7], off
	v_add_co_u32_e64 v6, s[2:3], s18, v2
	s_and_b64 vcc, exec, s[0:1]
	v_addc_co_u32_e64 v7, s[2:3], v3, v11, s[2:3]
	s_waitcnt vmcnt(0)
	ds_write_b64 v13, v[4:5] offset:128
	s_cbranch_vccnz .LBB139_18
; %bb.17:                               ;   in Loop: Header=BB139_4 Depth=1
	global_load_dword v5, v[6:7], off offset:4
	s_cbranch_execnz .LBB139_3
	s_branch .LBB139_19
.LBB139_18:                             ;   in Loop: Header=BB139_4 Depth=1
                                        ; implicit-def: $vgpr5
.LBB139_19:                             ;   in Loop: Header=BB139_4 Depth=1
	global_load_dword v4, v[6:7], off offset:4
	s_waitcnt vmcnt(0)
	v_xor_b32_e32 v5, 0x80000000, v4
	s_branch .LBB139_3
.LBB139_20:
	s_and_b32 s18, s40, 3
	s_cmp_eq_u32 s18, 0
	s_cbranch_scc1 .LBB139_27
; %bb.21:
	s_lshl_b64 s[2:3], s[12:13], 3
	s_mul_i32 s12, s29, s42
	s_mul_hi_u32 s13, s28, s42
	s_add_i32 s13, s13, s12
	s_mul_i32 s12, s28, s42
	s_lshl_b64 s[12:13], s[12:13], 3
	s_add_u32 s12, s2, s12
	s_addc_u32 s13, s3, s13
	s_lshl_b64 s[2:3], s[22:23], 3
	s_add_u32 s2, s12, s2
	s_addc_u32 s3, s13, s3
	s_add_u32 s2, s20, s2
	s_addc_u32 s3, s21, s3
	v_mov_b32_e32 v2, s3
	v_add_co_u32_e32 v3, vcc, s2, v8
	v_addc_co_u32_e32 v4, vcc, 0, v2, vcc
	v_add_co_u32_e32 v2, vcc, 4, v3
	s_lshl_b64 s[2:3], s[28:29], 3
	v_lshl_or_b32 v6, s42, 6, v8
	v_addc_co_u32_e32 v3, vcc, 0, v4, vcc
	v_mov_b32_e32 v7, s3
	s_branch .LBB139_23
.LBB139_22:                             ;   in Loop: Header=BB139_23 Depth=1
	global_load_dword v4, v[2:3], off offset:-4
	s_add_i32 s18, s18, -1
	v_add_co_u32_e32 v2, vcc, s2, v2
	s_cmp_lg_u32 s18, 0
	v_addc_co_u32_e32 v3, vcc, v3, v7, vcc
	s_waitcnt vmcnt(0)
	ds_write_b64 v6, v[4:5]
	v_add_u32_e32 v6, 64, v6
	s_cbranch_scc0 .LBB139_27
.LBB139_23:                             ; =>This Inner Loop Header: Depth=1
	s_and_b64 vcc, exec, s[0:1]
	s_cbranch_vccnz .LBB139_25
; %bb.24:                               ;   in Loop: Header=BB139_23 Depth=1
	global_load_dword v5, v[2:3], off
	s_cbranch_execnz .LBB139_22
	s_branch .LBB139_26
.LBB139_25:                             ;   in Loop: Header=BB139_23 Depth=1
                                        ; implicit-def: $vgpr5
.LBB139_26:                             ;   in Loop: Header=BB139_23 Depth=1
	global_load_dword v4, v[2:3], off
	s_waitcnt vmcnt(0)
	v_xor_b32_e32 v5, 0x80000000, v4
	s_branch .LBB139_22
.LBB139_27:
	v_mul_u32_u24_e32 v2, 9, v1
	s_cmpk_lg_i32 s17, 0x84
	v_lshlrev_b32_e32 v6, 3, v2
	s_mov_b64 s[0:1], -1
	s_cbranch_scc0 .LBB139_33
; %bb.28:
	ds_read_b64 v[2:3], v6
	s_mov_b32 s0, 0
	s_waitcnt lgkmcnt(0)
	v_cmp_gt_f32_e32 vcc, 0, v3
	v_cndmask_b32_e64 v4, v3, -v3, vcc
	v_cmp_gt_f32_e32 vcc, 0, v2
	v_cndmask_b32_e64 v5, v2, -v2, vcc
	v_cmp_ngt_f32_e32 vcc, v5, v4
                                        ; implicit-def: $vgpr4_vgpr5
	s_and_saveexec_b64 s[2:3], vcc
	s_xor_b64 s[2:3], exec, s[2:3]
	s_cbranch_execz .LBB139_30
; %bb.29:
	v_div_scale_f32 v4, s[12:13], v3, v3, v2
	v_rcp_f32_e32 v5, v4
	v_div_scale_f32 v7, vcc, v2, v3, v2
	s_mov_b32 s1, -1.0
	v_fma_f32 v8, -v4, v5, 1.0
	v_fmac_f32_e32 v5, v8, v5
	v_mul_f32_e32 v8, v7, v5
	v_fma_f32 v9, -v4, v8, v7
	v_fmac_f32_e32 v8, v9, v5
	v_fma_f32 v4, -v4, v8, v7
	v_div_fmas_f32 v4, v4, v5, v8
	v_div_fixup_f32 v4, v4, v3, v2
	v_fmac_f32_e32 v3, v2, v4
	v_div_scale_f32 v2, s[12:13], v3, v3, 1.0
	v_rcp_f32_e32 v5, v2
	v_fma_f32 v7, -v2, v5, 1.0
	v_fmac_f32_e32 v5, v7, v5
	v_div_scale_f32 v7, vcc, 1.0, v3, 1.0
	v_mul_f32_e32 v8, v7, v5
	v_fma_f32 v9, -v2, v8, v7
	v_fmac_f32_e32 v8, v9, v5
	v_fma_f32 v2, -v2, v8, v7
	v_div_fmas_f32 v2, v2, v5, v8
	v_mul_f32_e32 v5, 0, v4
	v_div_fixup_f32 v2, v2, v3, 1.0
	v_pk_add_f32 v[4:5], v[4:5], s[0:1]
	v_pk_mul_f32 v[4:5], v[4:5], v[2:3] op_sel_hi:[1,0]
                                        ; implicit-def: $vgpr2_vgpr3
.LBB139_30:
	s_andn2_saveexec_b64 s[0:1], s[2:3]
	s_cbranch_execz .LBB139_32
; %bb.31:
	v_div_scale_f32 v4, s[2:3], v2, v2, v3
	v_rcp_f32_e32 v5, v4
	v_div_scale_f32 v7, vcc, v3, v2, v3
	v_fma_f32 v8, -v4, v5, 1.0
	v_fmac_f32_e32 v5, v8, v5
	v_mul_f32_e32 v8, v7, v5
	v_fma_f32 v9, -v4, v8, v7
	v_fmac_f32_e32 v8, v9, v5
	v_fma_f32 v4, -v4, v8, v7
	v_div_fmas_f32 v4, v4, v5, v8
	v_div_fixup_f32 v5, v4, v2, v3
	v_fmac_f32_e32 v2, v3, v5
	v_div_scale_f32 v3, s[2:3], v2, v2, 1.0
	v_rcp_f32_e32 v4, v3
	s_mov_b32 s2, 1.0
	s_mov_b32 s3, 0
	v_fma_f32 v7, -v3, v4, 1.0
	v_fmac_f32_e32 v4, v7, v4
	v_div_scale_f32 v7, vcc, 1.0, v2, 1.0
	v_mul_f32_e32 v8, v7, v4
	v_fma_f32 v9, -v3, v8, v7
	v_fmac_f32_e32 v8, v9, v4
	v_fma_f32 v3, -v3, v8, v7
	v_div_fmas_f32 v3, v3, v4, v8
	v_mul_f32_e32 v4, 0, v5
	v_pk_add_f32 v[8:9], v[4:5], s[2:3]
	v_pk_add_f32 v[4:5], v[4:5], s[2:3] neg_lo:[1,0] neg_hi:[1,0]
	v_div_fixup_f32 v2, v3, v2, 1.0
	v_mov_b32_e32 v9, v5
	v_pk_mul_f32 v[4:5], v[8:9], v[2:3] op_sel_hi:[1,0]
.LBB139_32:
	s_or_b64 exec, exec, s[0:1]
	s_mov_b64 s[0:1], 0
	ds_write_b64 v6, v[4:5]
.LBB139_33:
	s_and_b64 vcc, exec, s[0:1]
	s_cbranch_vccz .LBB139_35
; %bb.34:
	v_mov_b32_e32 v2, 1.0
	v_mov_b32_e32 v3, 0
	ds_write_b64 v6, v[2:3]
.LBB139_35:
	s_or_b64 exec, exec, s[26:27]
	s_lshl_b32 s0, s8, 3
	s_add_i32 s41, s41, -1
	s_sub_i32 s1, s19, s0
	s_cmp_ge_u32 s8, s41
	s_cselect_b32 s1, s1, 8
	v_cmp_gt_i32_e32 vcc, s1, v1
	s_waitcnt lgkmcnt(0)
	; wave barrier
	s_waitcnt lgkmcnt(0)
	s_and_saveexec_b64 s[2:3], vcc
	s_cbranch_execz .LBB139_102
; %bb.36:
	s_load_dwordx2 s[2:3], s[4:5], 0x4
	s_load_dword s1, s[6:7], 0x50
	s_load_dwordx2 s[12:13], s[6:7], 0x58
	v_bfe_u32 v2, v0, 10, 10
	v_bfe_u32 v0, v0, 20, 10
	s_waitcnt lgkmcnt(0)
	s_lshr_b32 s2, s2, 16
	s_mul_i32 s2, s2, s3
	v_mul_u32_u24_e32 v2, s3, v2
	v_mul_u32_u24_e32 v3, s2, v1
	s_mul_i32 s2, s9, s13
	s_mul_hi_u32 s3, s9, s12
	s_add_i32 s3, s3, s2
	s_mul_i32 s2, s9, s12
	s_lshl_b64 s[2:3], s[2:3], 3
	s_add_u32 s6, s14, s2
	v_add3_u32 v13, v3, v2, v0
	s_addc_u32 s7, s15, s3
	s_lshl_b64 s[4:5], s[24:25], 3
	v_add_u32_e32 v0, s0, v1
	s_add_u32 s6, s6, s4
	v_mad_i64_i32 v[0:1], s[0:1], s1, v0, 0
	s_addc_u32 s7, s7, s5
	v_lshlrev_b64 v[0:1], 3, v[0:1]
	v_mov_b32_e32 v2, 0x200
	v_mov_b32_e32 v3, s7
	v_add_co_u32_e32 v11, vcc, s6, v0
	v_lshl_add_u32 v10, v13, 6, v2
	v_addc_co_u32_e32 v12, vcc, v3, v1, vcc
	s_cmpk_eq_i32 s16, 0x6f
	s_mov_b64 s[0:1], -1
	s_cbranch_scc1 .LBB139_70
; %bb.37:
	s_add_u32 s0, s14, s4
	s_addc_u32 s1, s15, s5
	s_add_u32 s0, s0, s2
	s_addc_u32 s1, s1, s3
	v_mov_b32_e32 v3, s1
	v_add_co_u32_e32 v4, vcc, s0, v0
	v_addc_co_u32_e32 v3, vcc, v3, v1, vcc
	v_add_co_u32_e32 v14, vcc, 4, v4
	s_mov_b32 s13, 0
	s_mov_b32 s6, s10
	;; [unrolled: 1-line block ×5, first 2 shown]
	v_addc_co_u32_e32 v15, vcc, 0, v3, vcc
	v_lshl_add_u32 v16, v13, 6, v2
	s_mov_b32 s12, s13
	s_mov_b32 s24, s13
	s_branch .LBB139_39
.LBB139_38:                             ;   in Loop: Header=BB139_39 Depth=1
	s_cmp_ge_i32 s24, s40
	s_cselect_b64 s[0:1], -1, 0
	s_add_i32 s12, s12, 1
	s_cmp_eq_u32 s12, 3
	s_cselect_b64 s[16:17], -1, 0
	s_or_b64 s[0:1], s[0:1], s[16:17]
	s_andn2_b64 vcc, exec, s[0:1]
	s_cbranch_vccz .LBB139_69
.LBB139_39:                             ; =>This Loop Header: Depth=1
                                        ;     Child Loop BB139_42 Depth 2
                                        ;       Child Loop BB139_44 Depth 3
                                        ;       Child Loop BB139_48 Depth 3
	;; [unrolled: 1-line block ×3, first 2 shown]
                                        ;         Child Loop BB139_54 Depth 4
                                        ;         Child Loop BB139_60 Depth 4
                                        ;       Child Loop BB139_63 Depth 3
                                        ;         Child Loop BB139_65 Depth 4
	s_lshl_b64 s[0:1], s[12:13], 2
	s_getpc_b64 s[16:17]
	s_add_u32 s16, s16, __const._ZL30rocblas_trsm_small_left_deviceILi8ELi8ELb0E19rocblas_complex_numIfES1_PKS1_PS1_Ev13rocblas_fill_18rocblas_operation_17rocblas_diagonal_iiT3_T4_lilT5_lili.step_sizes@rel32@lo+4
	s_addc_u32 s17, s17, __const._ZL30rocblas_trsm_small_left_deviceILi8ELi8ELb0E19rocblas_complex_numIfES1_PKS1_PS1_Ev13rocblas_fill_18rocblas_operation_17rocblas_diagonal_iiT3_T4_lilT5_lili.step_sizes@rel32@hi+12
	s_add_u32 s0, s0, s16
	s_addc_u32 s1, s1, s17
	s_load_dword s25, s[0:1], 0x0
	s_waitcnt lgkmcnt(0)
	s_add_i32 s26, s25, -1
	s_add_i32 s0, s26, s24
	s_cmp_ge_i32 s0, s40
	s_cbranch_scc1 .LBB139_38
; %bb.40:                               ;   in Loop: Header=BB139_39 Depth=1
	s_max_i32 s27, s25, 1
	s_cmp_lg_u32 s12, 2
	s_cselect_b64 s[16:17], -1, 0
	s_and_b32 s28, s27, 0x7ffffffe
	s_cmp_lg_u32 s27, s28
	s_cselect_b64 s[18:19], -1, 0
	s_ashr_i32 s29, s24, 31
	s_ashr_i32 s30, s25, 31
	s_mul_i32 s31, s24, 0x48
	s_mul_i32 s34, s25, 0x48
	s_branch .LBB139_42
.LBB139_41:                             ;   in Loop: Header=BB139_42 Depth=2
	s_add_u32 s24, s24, s25
	s_addc_u32 s29, s29, s30
	s_add_i32 s0, s26, s24
	s_add_i32 s31, s31, s34
	s_cmp_ge_i32 s0, s40
	s_cbranch_scc1 .LBB139_38
.LBB139_42:                             ;   Parent Loop BB139_39 Depth=1
                                        ; =>  This Loop Header: Depth=2
                                        ;       Child Loop BB139_44 Depth 3
                                        ;       Child Loop BB139_48 Depth 3
	;; [unrolled: 1-line block ×3, first 2 shown]
                                        ;         Child Loop BB139_54 Depth 4
                                        ;         Child Loop BB139_60 Depth 4
                                        ;       Child Loop BB139_63 Depth 3
                                        ;         Child Loop BB139_65 Depth 4
	s_and_b64 vcc, exec, s[16:17]
	s_cbranch_vccz .LBB139_46
; %bb.43:                               ;   in Loop: Header=BB139_42 Depth=2
	s_mov_b32 s20, s24
	s_mov_b32 s21, s24
	;; [unrolled: 1-line block ×5, first 2 shown]
	v_mov_b32_e32 v2, v10
.LBB139_44:                             ;   Parent Loop BB139_39 Depth=1
                                        ;     Parent Loop BB139_42 Depth=2
                                        ; =>    This Inner Loop Header: Depth=3
	s_add_i32 s0, s23, s20
	s_add_i32 s36, s22, s21
	s_ashr_i32 s1, s0, 31
	s_ashr_i32 s37, s36, 31
	s_lshl_b64 s[0:1], s[0:1], 3
	s_lshl_b64 s[36:37], s[36:37], 3
	v_mov_b32_e32 v3, s1
	v_add_co_u32_e64 v6, s[0:1], s0, v11
	v_mov_b32_e32 v5, s37
	v_add_co_u32_e32 v4, vcc, s36, v11
	v_addc_co_u32_e64 v7, s[0:1], v12, v3, s[0:1]
	v_addc_co_u32_e32 v5, vcc, v12, v5, vcc
	global_load_dwordx2 v[8:9], v[6:7], off
	global_load_dwordx2 v[18:19], v[4:5], off
	s_add_i32 s23, s23, 2
	s_add_i32 s22, s22, 2
	s_add_i32 s35, s35, -2
	s_mov_b32 s36, s28
	s_mov_b64 s[0:1], s[18:19]
	s_cmp_lg_u32 s35, 0
	s_waitcnt vmcnt(1)
	v_mov_b32_e32 v4, v8
	s_waitcnt vmcnt(0)
	v_mov_b32_e32 v5, v18
	v_mov_b32_e32 v18, v9
	v_pk_mul_f32 v[6:7], v[18:19], s[8:9]
	v_pk_mul_f32 v[8:9], v[18:19], s[6:7]
	v_pk_fma_f32 v[18:19], v[4:5], s[6:7], v[6:7] neg_lo:[0,0,1] neg_hi:[0,0,1]
	v_pk_fma_f32 v[6:7], v[4:5], s[8:9], v[8:9]
	v_mov_b32_e32 v4, v18
	v_mov_b32_e32 v5, v6
	;; [unrolled: 1-line block ×3, first 2 shown]
	ds_write_b128 v2, v[4:7]
	v_add_u32_e32 v2, 16, v2
	s_cbranch_scc1 .LBB139_44
; %bb.45:                               ;   in Loop: Header=BB139_42 Depth=2
	s_and_b64 vcc, exec, s[0:1]
	s_cbranch_vccnz .LBB139_47
	s_branch .LBB139_49
.LBB139_46:                             ;   in Loop: Header=BB139_42 Depth=2
	s_mov_b32 s36, 0
	s_cbranch_execz .LBB139_49
.LBB139_47:                             ;   in Loop: Header=BB139_42 Depth=2
	s_sub_i32 s0, s27, s36
	s_add_u32 s20, s24, s36
	s_addc_u32 s21, s29, 0
	s_lshl_b64 s[20:21], s[20:21], 3
	v_mov_b32_e32 v3, s21
	v_add_co_u32_e32 v2, vcc, s20, v14
	v_addc_co_u32_e32 v3, vcc, v15, v3, vcc
	v_lshl_add_u32 v4, s36, 3, v16
.LBB139_48:                             ;   Parent Loop BB139_39 Depth=1
                                        ;     Parent Loop BB139_42 Depth=2
                                        ; =>    This Inner Loop Header: Depth=3
	global_load_dwordx2 v[6:7], v[2:3], off offset:-4
	s_add_i32 s0, s0, -1
	v_add_co_u32_e32 v2, vcc, 8, v2
	v_addc_co_u32_e32 v3, vcc, 0, v3, vcc
	s_cmp_eq_u32 s0, 0
	s_waitcnt vmcnt(0)
	v_mul_f32_e32 v5, s11, v7
	v_mul_f32_e32 v9, s10, v7
	v_fma_f32 v8, v6, s10, -v5
	v_fmac_f32_e32 v9, s11, v6
	ds_write_b64 v4, v[8:9]
	v_add_u32_e32 v4, 8, v4
	s_cbranch_scc0 .LBB139_48
.LBB139_49:                             ;   in Loop: Header=BB139_42 Depth=2
	s_cmp_lt_i32 s24, 1
	s_cbranch_scc1 .LBB139_61
; %bb.50:                               ;   in Loop: Header=BB139_42 Depth=2
	s_mov_b32 s35, s24
	s_mov_b32 s36, s24
	;; [unrolled: 1-line block ×4, first 2 shown]
	s_branch .LBB139_52
.LBB139_51:                             ;   in Loop: Header=BB139_52 Depth=3
	s_add_i32 s0, s0, 1
	s_add_i32 s37, s37, 8
	s_cmp_ge_i32 s0, s24
	s_cbranch_scc1 .LBB139_61
.LBB139_52:                             ;   Parent Loop BB139_39 Depth=1
                                        ;     Parent Loop BB139_42 Depth=2
                                        ; =>    This Loop Header: Depth=3
                                        ;         Child Loop BB139_54 Depth 4
                                        ;         Child Loop BB139_60 Depth 4
	s_mov_b32 s1, s13
	s_lshl_b64 s[20:21], s[0:1], 3
	s_waitcnt vmcnt(0)
	v_mov_b32_e32 v3, s21
	v_add_co_u32_e32 v2, vcc, s20, v11
	v_addc_co_u32_e32 v3, vcc, v12, v3, vcc
	global_load_dwordx2 v[2:3], v[2:3], off
	s_and_b64 vcc, exec, s[16:17]
	s_cbranch_vccz .LBB139_56
; %bb.53:                               ;   in Loop: Header=BB139_52 Depth=3
	s_mov_b32 s1, s0
	s_waitcnt vmcnt(0)
	v_mov_b32_e32 v6, v2
	v_mov_b32_e32 v7, v2
	;; [unrolled: 1-line block ×5, first 2 shown]
	s_mov_b32 s20, 1
	s_mov_b32 s21, 0
	;; [unrolled: 1-line block ×3, first 2 shown]
	v_mov_b32_e32 v5, v10
.LBB139_54:                             ;   Parent Loop BB139_39 Depth=1
                                        ;     Parent Loop BB139_42 Depth=2
                                        ;       Parent Loop BB139_52 Depth=3
                                        ; =>      This Inner Loop Header: Depth=4
	s_add_i32 s23, s20, s36
	s_add_i32 s38, s21, s35
	s_lshl_b32 s38, s38, 3
	s_lshl_b32 s23, s23, 3
	s_add_i32 s23, s23, s1
	s_add_i32 s38, s38, s0
	s_lshl_b32 s38, s38, 3
	s_lshl_b32 s23, s23, 3
	v_mov_b32_e32 v17, s38
	v_mov_b32_e32 v24, s23
	ds_read_b128 v[18:21], v5
	ds_read_b64 v[22:23], v17
	ds_read_b64 v[24:25], v24
	s_add_i32 s21, s21, 2
	s_add_i32 s20, s20, 2
	s_add_i32 s22, s22, -2
	s_waitcnt lgkmcnt(2)
	v_mov_b32_e32 v27, v20
	v_mov_b32_e32 v20, v19
	s_waitcnt lgkmcnt(0)
	v_mov_b32_e32 v19, v24
	v_mov_b32_e32 v24, v23
	;; [unrolled: 1-line block ×4, first 2 shown]
	v_pk_mul_f32 v[22:23], v[24:25], v[8:9]
	v_pk_mul_f32 v[24:25], v[24:25], v[6:7]
	v_pk_fma_f32 v[22:23], v[18:19], v[6:7], v[22:23] neg_lo:[0,0,1] neg_hi:[0,0,1]
	v_pk_fma_f32 v[18:19], v[18:19], v[8:9], v[24:25]
	v_pk_add_f32 v[22:23], v[26:27], v[22:23] neg_lo:[0,1] neg_hi:[0,1]
	v_pk_add_f32 v[20:21], v[20:21], v[18:19] neg_lo:[0,1] neg_hi:[0,1]
	v_mov_b32_e32 v18, v22
	v_mov_b32_e32 v19, v20
	;; [unrolled: 1-line block ×3, first 2 shown]
	s_cmp_lg_u32 s22, 0
	ds_write_b128 v5, v[18:21]
	v_add_u32_e32 v5, 16, v5
	s_cbranch_scc1 .LBB139_54
; %bb.55:                               ;   in Loop: Header=BB139_52 Depth=3
	s_mov_b64 s[20:21], s[18:19]
	s_mov_b32 s22, s28
	s_branch .LBB139_58
.LBB139_56:                             ;   in Loop: Header=BB139_52 Depth=3
	s_mov_b64 s[20:21], 0
                                        ; implicit-def: $vgpr4_vgpr5
	s_mov_b32 s22, s28
	s_cbranch_execz .LBB139_58
; %bb.57:                               ;   in Loop: Header=BB139_52 Depth=3
	s_waitcnt vmcnt(0)
	v_mov_b32_e32 v4, v3
	s_mov_b64 s[20:21], -1
	s_mov_b32 s22, 0
.LBB139_58:                             ;   in Loop: Header=BB139_52 Depth=3
	s_andn2_b64 vcc, exec, s[20:21]
	s_cbranch_vccnz .LBB139_51
; %bb.59:                               ;   in Loop: Header=BB139_52 Depth=3
	s_add_i32 s20, s24, s22
	s_lshl_b32 s20, s20, 6
	s_waitcnt vmcnt(0)
	v_mov_b32_e32 v5, v3
	v_mov_b32_e32 v3, v2
	s_sub_i32 s1, s27, s22
	s_add_i32 s20, s37, s20
	v_lshl_add_u32 v6, s22, 3, v16
.LBB139_60:                             ;   Parent Loop BB139_39 Depth=1
                                        ;     Parent Loop BB139_42 Depth=2
                                        ;       Parent Loop BB139_52 Depth=3
                                        ; =>      This Inner Loop Header: Depth=4
	v_mov_b32_e32 v7, s20
	ds_read_b64 v[18:19], v7
	ds_read_b64 v[8:9], v6
	s_add_i32 s1, s1, -1
	s_add_i32 s20, s20, 64
	s_cmp_eq_u32 s1, 0
	s_waitcnt lgkmcnt(1)
	v_pk_mul_f32 v[20:21], v[18:19], v[4:5]
	v_pk_fma_f32 v[22:23], v[18:19], v[2:3], v[20:21] op_sel:[0,0,1] op_sel_hi:[1,1,0] neg_lo:[0,0,1] neg_hi:[0,0,1]
	v_pk_fma_f32 v[18:19], v[18:19], v[2:3], v[20:21] op_sel:[0,0,1] op_sel_hi:[1,1,0]
	v_mov_b32_e32 v23, v19
	s_waitcnt lgkmcnt(0)
	v_pk_add_f32 v[8:9], v[8:9], v[22:23] neg_lo:[0,1] neg_hi:[0,1]
	ds_write_b64 v6, v[8:9]
	v_add_u32_e32 v6, 8, v6
	s_cbranch_scc0 .LBB139_60
	s_branch .LBB139_51
.LBB139_61:                             ;   in Loop: Header=BB139_42 Depth=2
	s_mov_b32 s22, 0
	s_mov_b32 s23, s31
	s_waitcnt vmcnt(0)
	s_branch .LBB139_63
.LBB139_62:                             ;   in Loop: Header=BB139_63 Depth=3
	s_mul_i32 s1, s0, 0x48
	v_mov_b32_e32 v5, s1
	ds_read_b64 v[6:7], v5
	s_ashr_i32 s1, s0, 31
	s_lshl_b64 s[0:1], s[0:1], 3
	s_add_i32 s22, s22, 1
	s_add_i32 s23, s23, 64
	s_waitcnt lgkmcnt(0)
	v_mul_f32_e32 v5, v7, v3
	v_mul_f32_e32 v9, v6, v3
	v_fma_f32 v8, v6, v2, -v5
	v_fmac_f32_e32 v9, v7, v2
	v_mov_b32_e32 v3, s1
	v_add_co_u32_e32 v2, vcc, s0, v11
	v_addc_co_u32_e32 v3, vcc, v12, v3, vcc
	s_cmp_eq_u32 s22, s27
	ds_write_b64 v4, v[8:9]
	global_store_dwordx2 v[2:3], v[8:9], off
	s_cbranch_scc1 .LBB139_41
.LBB139_63:                             ;   Parent Loop BB139_39 Depth=1
                                        ;     Parent Loop BB139_42 Depth=2
                                        ; =>    This Loop Header: Depth=3
                                        ;         Child Loop BB139_65 Depth 4
	s_cmp_lg_u32 s22, 0
	v_lshl_add_u32 v4, s22, 3, v10
	s_cbranch_scc0 .LBB139_67
; %bb.64:                               ;   in Loop: Header=BB139_63 Depth=3
	ds_read_b64 v[2:3], v4
	s_mov_b32 s0, 0
	s_mov_b32 s1, s23
	v_mov_b32_e32 v5, v10
.LBB139_65:                             ;   Parent Loop BB139_39 Depth=1
                                        ;     Parent Loop BB139_42 Depth=2
                                        ;       Parent Loop BB139_63 Depth=3
                                        ; =>      This Inner Loop Header: Depth=4
	v_mov_b32_e32 v8, s1
	ds_read_b64 v[6:7], v5
	ds_read_b64 v[8:9], v8
	s_add_i32 s0, s0, 1
	s_add_i32 s1, s1, 8
	v_add_u32_e32 v5, 8, v5
	s_cmp_ge_u32 s0, s22
	s_waitcnt lgkmcnt(0)
	v_pk_mul_f32 v[18:19], v[8:9], v[6:7] op_sel:[0,1]
	v_pk_fma_f32 v[20:21], v[8:9], v[6:7], v[18:19] op_sel:[0,0,1] op_sel_hi:[1,1,0] neg_lo:[0,0,1] neg_hi:[0,0,1]
	v_pk_fma_f32 v[6:7], v[8:9], v[6:7], v[18:19] op_sel:[0,0,1] op_sel_hi:[1,0,0]
	v_mov_b32_e32 v21, v7
	v_pk_add_f32 v[2:3], v[2:3], v[20:21] neg_lo:[0,1] neg_hi:[0,1]
	ds_write_b64 v4, v[2:3]
	s_cbranch_scc0 .LBB139_65
; %bb.66:                               ;   in Loop: Header=BB139_63 Depth=3
	s_add_i32 s0, s22, s24
	s_branch .LBB139_62
.LBB139_67:                             ;   in Loop: Header=BB139_63 Depth=3
                                        ; implicit-def: $vgpr2
                                        ; implicit-def: $sgpr0
	s_cbranch_execz .LBB139_62
; %bb.68:                               ;   in Loop: Header=BB139_63 Depth=3
	ds_read_b64 v[2:3], v10
	s_mov_b32 s0, s24
	s_branch .LBB139_62
.LBB139_69:
	s_mov_b64 s[0:1], 0
.LBB139_70:
	s_and_b64 vcc, exec, s[0:1]
	s_cbranch_vccz .LBB139_102
; %bb.71:
	s_add_u32 s0, s14, s4
	s_addc_u32 s1, s15, s5
	s_add_u32 s0, s0, s2
	s_addc_u32 s1, s1, s3
	v_mov_b32_e32 v2, s1
	v_add_co_u32_e32 v0, vcc, s0, v0
	v_addc_co_u32_e32 v1, vcc, v2, v1, vcc
	v_add_co_u32_e32 v8, vcc, 4, v0
	v_mov_b32_e32 v0, 0x200
	s_lshl_b32 s0, s40, 6
	s_mov_b32 s3, 0
	s_mov_b32 s6, s10
	s_mov_b32 s7, s10
	s_mov_b32 s8, s11
	s_mov_b32 s9, s11
	v_addc_co_u32_e32 v9, vcc, 0, v1, vcc
	v_lshl_add_u32 v13, v13, 6, v0
	s_sub_i32 s22, s0, 64
	s_mov_b32 s4, s33
	s_mov_b32 s12, s3
	s_branch .LBB139_73
.LBB139_72:                             ;   in Loop: Header=BB139_73 Depth=1
	s_cmp_lt_i32 s4, 0
	s_cselect_b64 s[0:1], -1, 0
	s_add_i32 s12, s12, 1
	s_cmp_eq_u32 s12, 3
	s_cselect_b64 s[14:15], -1, 0
	s_or_b64 s[0:1], s[0:1], s[14:15]
	s_and_b64 vcc, exec, s[0:1]
	s_cbranch_vccnz .LBB139_102
.LBB139_73:                             ; =>This Loop Header: Depth=1
                                        ;     Child Loop BB139_76 Depth 2
                                        ;       Child Loop BB139_78 Depth 3
                                        ;       Child Loop BB139_82 Depth 3
	;; [unrolled: 1-line block ×3, first 2 shown]
                                        ;         Child Loop BB139_95 Depth 4
                                        ;         Child Loop BB139_101 Depth 4
                                        ;       Child Loop BB139_86 Depth 3
                                        ;         Child Loop BB139_88 Depth 4
	s_mov_b32 s13, s3
	s_lshl_b64 s[0:1], s[12:13], 2
	s_getpc_b64 s[14:15]
	s_add_u32 s14, s14, __const._ZL30rocblas_trsm_small_left_deviceILi8ELi8ELb0E19rocblas_complex_numIfES1_PKS1_PS1_Ev13rocblas_fill_18rocblas_operation_17rocblas_diagonal_iiT3_T4_lilT5_lili.step_sizes@rel32@lo+4
	s_addc_u32 s15, s15, __const._ZL30rocblas_trsm_small_left_deviceILi8ELi8ELb0E19rocblas_complex_numIfES1_PKS1_PS1_Ev13rocblas_fill_18rocblas_operation_17rocblas_diagonal_iiT3_T4_lilT5_lili.step_sizes@rel32@hi+12
	s_add_u32 s0, s0, s14
	s_addc_u32 s1, s1, s15
	s_load_dword s13, s[0:1], 0x0
	s_waitcnt lgkmcnt(0)
	s_add_i32 s23, s13, -1
	s_cmp_lt_i32 s4, s23
	s_cbranch_scc1 .LBB139_72
; %bb.74:                               ;   in Loop: Header=BB139_73 Depth=1
	s_max_i32 s24, s13, 1
	s_cmp_lg_u32 s12, 2
	s_cselect_b64 s[14:15], -1, 0
	s_and_b32 s25, s24, 0x7ffffffe
	s_cmp_lg_u32 s24, s25
	s_cselect_b64 s[16:17], -1, 0
	s_lshl_b32 s0, s4, 3
	s_add_i32 s26, s22, s0
	s_lshl_b32 s0, s13, 3
	s_sub_i32 s27, 0, s0
	s_mul_i32 s28, s4, 0x48
	s_mul_i32 s29, s13, 0xffffffb8
	s_branch .LBB139_76
.LBB139_75:                             ;   in Loop: Header=BB139_76 Depth=2
	s_sub_i32 s4, s4, s13
	s_add_i32 s26, s26, s27
	s_add_i32 s28, s28, s29
	s_cmp_lt_i32 s4, s23
	s_cbranch_scc1 .LBB139_72
.LBB139_76:                             ;   Parent Loop BB139_73 Depth=1
                                        ; =>  This Loop Header: Depth=2
                                        ;       Child Loop BB139_78 Depth 3
                                        ;       Child Loop BB139_82 Depth 3
                                        ;       Child Loop BB139_93 Depth 3
                                        ;         Child Loop BB139_95 Depth 4
                                        ;         Child Loop BB139_101 Depth 4
                                        ;       Child Loop BB139_86 Depth 3
                                        ;         Child Loop BB139_88 Depth 4
	s_and_b64 vcc, exec, s[14:15]
	s_cbranch_vccz .LBB139_80
; %bb.77:                               ;   in Loop: Header=BB139_76 Depth=2
	s_mov_b32 s5, s4
	s_mov_b32 s18, 1
	s_mov_b32 s19, 0
	s_mov_b32 s20, s25
	v_mov_b32_e32 v0, v10
.LBB139_78:                             ;   Parent Loop BB139_73 Depth=1
                                        ;     Parent Loop BB139_76 Depth=2
                                        ; =>    This Inner Loop Header: Depth=3
	s_sub_i32 s0, s4, s19
	s_sub_i32 s30, s5, s18
	s_ashr_i32 s1, s0, 31
	s_ashr_i32 s31, s30, 31
	s_lshl_b64 s[0:1], s[0:1], 3
	s_lshl_b64 s[30:31], s[30:31], 3
	v_mov_b32_e32 v1, s1
	v_add_co_u32_e64 v4, s[0:1], s0, v11
	v_mov_b32_e32 v3, s31
	v_add_co_u32_e32 v2, vcc, s30, v11
	v_addc_co_u32_e64 v5, s[0:1], v12, v1, s[0:1]
	v_addc_co_u32_e32 v3, vcc, v12, v3, vcc
	global_load_dwordx2 v[6:7], v[4:5], off
	global_load_dwordx2 v[14:15], v[2:3], off
	s_add_i32 s19, s19, 2
	s_add_i32 s18, s18, 2
	s_add_i32 s20, s20, -2
	s_mov_b32 s2, s25
	s_mov_b64 s[0:1], s[16:17]
	s_cmp_lg_u32 s20, 0
	s_waitcnt vmcnt(1)
	v_mov_b32_e32 v2, v6
	s_waitcnt vmcnt(0)
	v_mov_b32_e32 v3, v14
	v_mov_b32_e32 v14, v7
	v_pk_mul_f32 v[4:5], v[14:15], s[8:9]
	v_pk_mul_f32 v[6:7], v[14:15], s[6:7]
	v_pk_fma_f32 v[14:15], v[2:3], s[6:7], v[4:5] neg_lo:[0,0,1] neg_hi:[0,0,1]
	v_pk_fma_f32 v[4:5], v[2:3], s[8:9], v[6:7]
	v_mov_b32_e32 v2, v14
	v_mov_b32_e32 v3, v4
	;; [unrolled: 1-line block ×3, first 2 shown]
	ds_write_b128 v0, v[2:5]
	v_add_u32_e32 v0, 16, v0
	s_cbranch_scc1 .LBB139_78
; %bb.79:                               ;   in Loop: Header=BB139_76 Depth=2
	s_ashr_i32 s5, s4, 31
	s_and_b64 vcc, exec, s[0:1]
	s_cbranch_vccnz .LBB139_81
	s_branch .LBB139_83
.LBB139_80:                             ;   in Loop: Header=BB139_76 Depth=2
	s_mov_b32 s2, 0
	s_ashr_i32 s5, s4, 31
	s_cbranch_execz .LBB139_83
.LBB139_81:                             ;   in Loop: Header=BB139_76 Depth=2
	s_lshl_b64 s[18:19], s[4:5], 3
	s_sub_i32 s0, s24, s2
	s_lshl_b64 s[20:21], s[2:3], 3
	s_sub_u32 s1, s18, s20
	s_subb_u32 s18, s19, s21
	v_mov_b32_e32 v1, s18
	v_add_co_u32_e32 v0, vcc, s1, v8
	v_addc_co_u32_e32 v1, vcc, v9, v1, vcc
	v_lshl_add_u32 v2, s2, 3, v13
.LBB139_82:                             ;   Parent Loop BB139_73 Depth=1
                                        ;     Parent Loop BB139_76 Depth=2
                                        ; =>    This Inner Loop Header: Depth=3
	global_load_dwordx2 v[4:5], v[0:1], off offset:-4
	s_add_i32 s0, s0, -1
	v_add_co_u32_e32 v0, vcc, -8, v0
	v_addc_co_u32_e32 v1, vcc, -1, v1, vcc
	s_cmp_eq_u32 s0, 0
	s_waitcnt vmcnt(0)
	v_mul_f32_e32 v3, s11, v5
	v_mul_f32_e32 v7, s10, v5
	v_fma_f32 v6, v4, s10, -v3
	v_fmac_f32_e32 v7, s11, v4
	ds_write_b64 v2, v[6:7]
	v_add_u32_e32 v2, 8, v2
	s_cbranch_scc0 .LBB139_82
.LBB139_83:                             ;   in Loop: Header=BB139_76 Depth=2
	s_cmp_le_i32 s33, s4
	s_mov_b32 s2, s26
	s_mov_b32 s0, s33
	s_cbranch_scc0 .LBB139_93
.LBB139_84:                             ;   in Loop: Header=BB139_76 Depth=2
	s_mov_b32 s2, 0
	s_mov_b32 s30, s28
	s_waitcnt vmcnt(0)
	s_branch .LBB139_86
.LBB139_85:                             ;   in Loop: Header=BB139_86 Depth=3
	s_mulk_i32 s18, 0x48
	v_mov_b32_e32 v3, s18
	ds_read_b64 v[4:5], v3
	s_lshl_b64 s[0:1], s[0:1], 3
	v_mov_b32_e32 v3, s1
	s_add_i32 s2, s2, 1
	s_add_i32 s30, s30, -8
	s_waitcnt lgkmcnt(0)
	v_mul_f32_e32 v6, v5, v1
	v_mul_f32_e32 v7, v4, v1
	v_fma_f32 v6, v4, v0, -v6
	v_fmac_f32_e32 v7, v5, v0
	v_add_co_u32_e32 v0, vcc, s0, v11
	v_addc_co_u32_e32 v1, vcc, v12, v3, vcc
	s_cmp_eq_u32 s2, s24
	ds_write_b64 v2, v[6:7]
	global_store_dwordx2 v[0:1], v[6:7], off
	s_cbranch_scc1 .LBB139_75
.LBB139_86:                             ;   Parent Loop BB139_73 Depth=1
                                        ;     Parent Loop BB139_76 Depth=2
                                        ; =>    This Loop Header: Depth=3
                                        ;         Child Loop BB139_88 Depth 4
	s_cmp_lg_u32 s2, 0
	v_lshl_add_u32 v2, s2, 3, v10
	s_cbranch_scc0 .LBB139_90
; %bb.87:                               ;   in Loop: Header=BB139_86 Depth=3
	ds_read_b64 v[0:1], v2
	s_mov_b32 s0, 0
	v_mov_b32_e32 v3, v10
	s_mov_b32 s1, s30
.LBB139_88:                             ;   Parent Loop BB139_73 Depth=1
                                        ;     Parent Loop BB139_76 Depth=2
                                        ;       Parent Loop BB139_86 Depth=3
                                        ; =>      This Inner Loop Header: Depth=4
	v_mov_b32_e32 v6, s1
	ds_read_b64 v[4:5], v3
	ds_read_b64 v[6:7], v6
	s_add_i32 s0, s0, 1
	s_sub_i32 s1, s1, 64
	v_add_u32_e32 v3, 8, v3
	s_cmp_ge_u32 s0, s2
	s_waitcnt lgkmcnt(0)
	v_pk_mul_f32 v[14:15], v[6:7], v[4:5] op_sel:[0,1]
	v_pk_fma_f32 v[16:17], v[6:7], v[4:5], v[14:15] op_sel:[0,0,1] op_sel_hi:[1,1,0] neg_lo:[0,0,1] neg_hi:[0,0,1]
	v_pk_fma_f32 v[4:5], v[6:7], v[4:5], v[14:15] op_sel:[0,0,1] op_sel_hi:[1,0,0]
	v_mov_b32_e32 v17, v5
	v_pk_add_f32 v[0:1], v[0:1], v[16:17] neg_lo:[0,1] neg_hi:[0,1]
	ds_write_b64 v2, v[0:1]
	s_cbranch_scc0 .LBB139_88
; %bb.89:                               ;   in Loop: Header=BB139_86 Depth=3
	s_sub_i32 s18, s4, s2
	s_ashr_i32 s19, s18, 31
	s_mov_b64 s[0:1], s[18:19]
	s_branch .LBB139_85
.LBB139_90:                             ;   in Loop: Header=BB139_86 Depth=3
                                        ; implicit-def: $vgpr0
                                        ; implicit-def: $sgpr18
                                        ; implicit-def: $sgpr0_sgpr1
	s_cbranch_execz .LBB139_85
; %bb.91:                               ;   in Loop: Header=BB139_86 Depth=3
	ds_read_b64 v[0:1], v10
	s_mov_b64 s[0:1], s[4:5]
	s_mov_b32 s18, s4
	s_branch .LBB139_85
.LBB139_92:                             ;   in Loop: Header=BB139_93 Depth=3
	s_add_i32 s0, s0, -1
	s_sub_i32 s2, s2, 64
	s_cmp_le_i32 s0, s4
	s_cbranch_scc1 .LBB139_84
.LBB139_93:                             ;   Parent Loop BB139_73 Depth=1
                                        ;     Parent Loop BB139_76 Depth=2
                                        ; =>    This Loop Header: Depth=3
                                        ;         Child Loop BB139_95 Depth 4
                                        ;         Child Loop BB139_101 Depth 4
	s_ashr_i32 s1, s0, 31
	s_lshl_b64 s[18:19], s[0:1], 3
	s_waitcnt vmcnt(0)
	v_mov_b32_e32 v1, s19
	v_add_co_u32_e32 v0, vcc, s18, v11
	v_addc_co_u32_e32 v1, vcc, v12, v1, vcc
	global_load_dwordx2 v[0:1], v[0:1], off
	s_and_b64 vcc, exec, s[14:15]
	s_cbranch_vccz .LBB139_97
; %bb.94:                               ;   in Loop: Header=BB139_93 Depth=3
	s_lshl_b32 s1, s0, 3
	s_add_i32 s1, s1, s4
	s_mov_b32 s18, s1
	s_waitcnt vmcnt(0)
	v_mov_b32_e32 v4, v0
	v_mov_b32_e32 v5, v0
	;; [unrolled: 1-line block ×5, first 2 shown]
	s_mov_b32 s19, 1
	s_mov_b32 s20, 0
	;; [unrolled: 1-line block ×3, first 2 shown]
	v_mov_b32_e32 v3, v10
.LBB139_95:                             ;   Parent Loop BB139_73 Depth=1
                                        ;     Parent Loop BB139_76 Depth=2
                                        ;       Parent Loop BB139_93 Depth=3
                                        ; =>      This Inner Loop Header: Depth=4
	s_sub_i32 s30, s18, s19
	s_sub_i32 s31, s1, s20
	s_lshl_b32 s31, s31, 3
	s_lshl_b32 s30, s30, 3
	v_mov_b32_e32 v18, s31
	v_mov_b32_e32 v20, s30
	ds_read_b128 v[14:17], v3
	ds_read_b64 v[18:19], v18
	ds_read_b64 v[20:21], v20
	s_add_i32 s20, s20, 2
	s_add_i32 s19, s19, 2
	s_add_i32 s21, s21, -2
	s_waitcnt lgkmcnt(2)
	v_mov_b32_e32 v23, v16
	v_mov_b32_e32 v16, v15
	s_waitcnt lgkmcnt(0)
	v_mov_b32_e32 v15, v20
	v_mov_b32_e32 v20, v19
	v_mov_b32_e32 v22, v14
	v_mov_b32_e32 v14, v18
	v_pk_mul_f32 v[18:19], v[20:21], v[6:7]
	v_pk_mul_f32 v[20:21], v[20:21], v[4:5]
	v_pk_fma_f32 v[18:19], v[14:15], v[4:5], v[18:19] neg_lo:[0,0,1] neg_hi:[0,0,1]
	v_pk_fma_f32 v[14:15], v[14:15], v[6:7], v[20:21]
	v_pk_add_f32 v[18:19], v[22:23], v[18:19] neg_lo:[0,1] neg_hi:[0,1]
	v_pk_add_f32 v[16:17], v[16:17], v[14:15] neg_lo:[0,1] neg_hi:[0,1]
	v_mov_b32_e32 v14, v18
	v_mov_b32_e32 v15, v16
	;; [unrolled: 1-line block ×3, first 2 shown]
	s_cmp_lg_u32 s21, 0
	ds_write_b128 v3, v[14:17]
	v_add_u32_e32 v3, 16, v3
	s_cbranch_scc1 .LBB139_95
; %bb.96:                               ;   in Loop: Header=BB139_93 Depth=3
	s_mov_b64 s[18:19], s[16:17]
	s_mov_b32 s20, s25
	s_branch .LBB139_99
.LBB139_97:                             ;   in Loop: Header=BB139_93 Depth=3
	s_mov_b64 s[18:19], 0
                                        ; implicit-def: $vgpr2_vgpr3
	s_mov_b32 s20, s25
	s_cbranch_execz .LBB139_99
; %bb.98:                               ;   in Loop: Header=BB139_93 Depth=3
	s_waitcnt vmcnt(0)
	v_mov_b32_e32 v2, v1
	s_mov_b64 s[18:19], -1
	s_mov_b32 s20, 0
.LBB139_99:                             ;   in Loop: Header=BB139_93 Depth=3
	s_andn2_b64 vcc, exec, s[18:19]
	s_cbranch_vccnz .LBB139_92
; %bb.100:                              ;   in Loop: Header=BB139_93 Depth=3
	s_lshl_b32 s19, s20, 3
	s_waitcnt vmcnt(0)
	v_mov_b32_e32 v3, v1
	v_mov_b32_e32 v1, v0
	s_sub_i32 s1, s2, s19
	s_sub_i32 s18, s24, s20
	v_add_u32_e32 v4, s19, v13
.LBB139_101:                            ;   Parent Loop BB139_73 Depth=1
                                        ;     Parent Loop BB139_76 Depth=2
                                        ;       Parent Loop BB139_93 Depth=3
                                        ; =>      This Inner Loop Header: Depth=4
	v_mov_b32_e32 v5, s1
	ds_read_b64 v[14:15], v5
	ds_read_b64 v[6:7], v4
	s_add_i32 s1, s1, -8
	s_add_i32 s18, s18, -1
	s_cmp_eq_u32 s18, 0
	s_waitcnt lgkmcnt(1)
	v_pk_mul_f32 v[16:17], v[14:15], v[2:3]
	v_pk_fma_f32 v[18:19], v[14:15], v[0:1], v[16:17] op_sel:[0,0,1] op_sel_hi:[1,1,0] neg_lo:[0,0,1] neg_hi:[0,0,1]
	v_pk_fma_f32 v[14:15], v[14:15], v[0:1], v[16:17] op_sel:[0,0,1] op_sel_hi:[1,1,0]
	v_mov_b32_e32 v19, v15
	s_waitcnt lgkmcnt(0)
	v_pk_add_f32 v[6:7], v[6:7], v[18:19] neg_lo:[0,1] neg_hi:[0,1]
	ds_write_b64 v4, v[6:7]
	v_add_u32_e32 v4, 8, v4
	s_cbranch_scc0 .LBB139_101
	s_branch .LBB139_92
.LBB139_102:
	s_endpgm
	.section	.rodata,"a",@progbits
	.p2align	6, 0x0
	.amdhsa_kernel _ZL30rocblas_trsm_small_left_deviceILi8ELi8ELb0E19rocblas_complex_numIfES1_PKS1_PS1_Ev13rocblas_fill_18rocblas_operation_17rocblas_diagonal_iiT3_T4_lilT5_lili
		.amdhsa_group_segment_fixed_size 1024
		.amdhsa_private_segment_fixed_size 0
		.amdhsa_kernarg_size 360
		.amdhsa_user_sgpr_count 8
		.amdhsa_user_sgpr_private_segment_buffer 1
		.amdhsa_user_sgpr_dispatch_ptr 1
		.amdhsa_user_sgpr_queue_ptr 0
		.amdhsa_user_sgpr_kernarg_segment_ptr 1
		.amdhsa_user_sgpr_dispatch_id 0
		.amdhsa_user_sgpr_flat_scratch_init 0
		.amdhsa_user_sgpr_kernarg_preload_length 0
		.amdhsa_user_sgpr_kernarg_preload_offset 0
		.amdhsa_user_sgpr_private_segment_size 0
		.amdhsa_uses_dynamic_stack 0
		.amdhsa_system_sgpr_private_segment_wavefront_offset 0
		.amdhsa_system_sgpr_workgroup_id_x 1
		.amdhsa_system_sgpr_workgroup_id_y 0
		.amdhsa_system_sgpr_workgroup_id_z 1
		.amdhsa_system_sgpr_workgroup_info 0
		.amdhsa_system_vgpr_workitem_id 2
		.amdhsa_next_free_vgpr 28
		.amdhsa_next_free_sgpr 44
		.amdhsa_accum_offset 28
		.amdhsa_reserve_vcc 1
		.amdhsa_reserve_flat_scratch 0
		.amdhsa_float_round_mode_32 0
		.amdhsa_float_round_mode_16_64 0
		.amdhsa_float_denorm_mode_32 3
		.amdhsa_float_denorm_mode_16_64 3
		.amdhsa_dx10_clamp 1
		.amdhsa_ieee_mode 1
		.amdhsa_fp16_overflow 0
		.amdhsa_tg_split 0
		.amdhsa_exception_fp_ieee_invalid_op 0
		.amdhsa_exception_fp_denorm_src 0
		.amdhsa_exception_fp_ieee_div_zero 0
		.amdhsa_exception_fp_ieee_overflow 0
		.amdhsa_exception_fp_ieee_underflow 0
		.amdhsa_exception_fp_ieee_inexact 0
		.amdhsa_exception_int_div_zero 0
	.end_amdhsa_kernel
	.section	.text._ZL30rocblas_trsm_small_left_deviceILi8ELi8ELb0E19rocblas_complex_numIfES1_PKS1_PS1_Ev13rocblas_fill_18rocblas_operation_17rocblas_diagonal_iiT3_T4_lilT5_lili,"axG",@progbits,_ZL30rocblas_trsm_small_left_deviceILi8ELi8ELb0E19rocblas_complex_numIfES1_PKS1_PS1_Ev13rocblas_fill_18rocblas_operation_17rocblas_diagonal_iiT3_T4_lilT5_lili,comdat
.Lfunc_end139:
	.size	_ZL30rocblas_trsm_small_left_deviceILi8ELi8ELb0E19rocblas_complex_numIfES1_PKS1_PS1_Ev13rocblas_fill_18rocblas_operation_17rocblas_diagonal_iiT3_T4_lilT5_lili, .Lfunc_end139-_ZL30rocblas_trsm_small_left_deviceILi8ELi8ELb0E19rocblas_complex_numIfES1_PKS1_PS1_Ev13rocblas_fill_18rocblas_operation_17rocblas_diagonal_iiT3_T4_lilT5_lili
                                        ; -- End function
	.section	.AMDGPU.csdata,"",@progbits
; Kernel info:
; codeLenInByte = 4160
; NumSgprs: 48
; NumVgprs: 28
; NumAgprs: 0
; TotalNumVgprs: 28
; ScratchSize: 0
; MemoryBound: 0
; FloatMode: 240
; IeeeMode: 1
; LDSByteSize: 1024 bytes/workgroup (compile time only)
; SGPRBlocks: 5
; VGPRBlocks: 3
; NumSGPRsForWavesPerEU: 48
; NumVGPRsForWavesPerEU: 28
; AccumOffset: 28
; Occupancy: 8
; WaveLimiterHint : 0
; COMPUTE_PGM_RSRC2:SCRATCH_EN: 0
; COMPUTE_PGM_RSRC2:USER_SGPR: 8
; COMPUTE_PGM_RSRC2:TRAP_HANDLER: 0
; COMPUTE_PGM_RSRC2:TGID_X_EN: 1
; COMPUTE_PGM_RSRC2:TGID_Y_EN: 0
; COMPUTE_PGM_RSRC2:TGID_Z_EN: 1
; COMPUTE_PGM_RSRC2:TIDIG_COMP_CNT: 2
; COMPUTE_PGM_RSRC3_GFX90A:ACCUM_OFFSET: 6
; COMPUTE_PGM_RSRC3_GFX90A:TG_SPLIT: 0
	.section	.text._ZL38rocblas_trsm_small_left_device_sharedBILi8ELi8ELb1E19rocblas_complex_numIfES1_PKS1_PS1_Ev13rocblas_fill_18rocblas_operation_17rocblas_diagonal_iiT3_T4_lilT5_lili,"axG",@progbits,_ZL38rocblas_trsm_small_left_device_sharedBILi8ELi8ELb1E19rocblas_complex_numIfES1_PKS1_PS1_Ev13rocblas_fill_18rocblas_operation_17rocblas_diagonal_iiT3_T4_lilT5_lili,comdat
	.globl	_ZL38rocblas_trsm_small_left_device_sharedBILi8ELi8ELb1E19rocblas_complex_numIfES1_PKS1_PS1_Ev13rocblas_fill_18rocblas_operation_17rocblas_diagonal_iiT3_T4_lilT5_lili ; -- Begin function _ZL38rocblas_trsm_small_left_device_sharedBILi8ELi8ELb1E19rocblas_complex_numIfES1_PKS1_PS1_Ev13rocblas_fill_18rocblas_operation_17rocblas_diagonal_iiT3_T4_lilT5_lili
	.p2align	8
	.type	_ZL38rocblas_trsm_small_left_device_sharedBILi8ELi8ELb1E19rocblas_complex_numIfES1_PKS1_PS1_Ev13rocblas_fill_18rocblas_operation_17rocblas_diagonal_iiT3_T4_lilT5_lili,@function
_ZL38rocblas_trsm_small_left_device_sharedBILi8ELi8ELb1E19rocblas_complex_numIfES1_PKS1_PS1_Ev13rocblas_fill_18rocblas_operation_17rocblas_diagonal_iiT3_T4_lilT5_lili: ; @_ZL38rocblas_trsm_small_left_device_sharedBILi8ELi8ELb1E19rocblas_complex_numIfES1_PKS1_PS1_Ev13rocblas_fill_18rocblas_operation_17rocblas_diagonal_iiT3_T4_lilT5_lili
; %bb.0:
	s_load_dwordx4 s[12:15], s[6:7], 0x4
	s_load_dwordx2 s[10:11], s[6:7], 0x14
	s_load_dwordx4 s[16:19], s[6:7], 0x38
	s_load_dwordx2 s[24:25], s[6:7], 0x48
	s_load_dword s41, s[6:7], 0x68
	v_and_b32_e32 v8, 0x3ff, v0
	s_waitcnt lgkmcnt(0)
	s_min_i32 s33, s14, 8
	s_mov_b32 s42, 0
	s_add_i32 s40, s33, -1
	v_cmp_gt_i32_e32 vcc, s33, v8
	s_and_saveexec_b64 s[26:27], vcc
	s_cbranch_execz .LBB140_35
; %bb.1:
	s_load_dword s28, s[6:7], 0x30
	s_load_dwordx4 s[20:23], s[6:7], 0x20
	s_mul_i32 s0, s9, s17
	s_mul_hi_u32 s1, s9, s16
	s_mul_i32 s16, s9, s16
	s_waitcnt lgkmcnt(0)
	s_ashr_i32 s29, s28, 31
	s_cmpk_lg_i32 s12, 0x71
	s_cselect_b64 s[30:31], -1, 0
	s_add_i32 s17, s1, s0
	v_cndmask_b32_e64 v1, 0, 1, s[30:31]
	s_cmp_lt_u32 s40, 3
	v_cmp_ne_u32_e64 s[0:1], 1, v1
	s_cbranch_scc1 .LBB140_20
; %bb.2:
	s_lshl_b64 s[2:3], s[16:17], 3
	s_add_u32 s34, s20, s2
	s_addc_u32 s35, s21, s3
	s_lshl_b64 s[2:3], s[22:23], 3
	s_add_u32 s2, s34, s2
	s_addc_u32 s3, s35, s3
	v_lshlrev_b32_e32 v1, 3, v8
	v_mov_b32_e32 v3, s3
	v_add_co_u32_e32 v2, vcc, s2, v1
	s_mul_hi_i32 s2, s28, 24
	s_lshl_b64 s[34:35], s[28:29], 5
	s_lshl_b64 s[36:37], s[28:29], 4
	;; [unrolled: 1-line block ×3, first 2 shown]
	v_addc_co_u32_e32 v3, vcc, 0, v3, vcc
	s_and_b32 s42, s33, -4
	s_mul_i32 s43, s28, 24
	s_mov_b32 s44, 0
	v_mov_b32_e32 v9, s39
	v_mov_b32_e32 v10, s37
	;; [unrolled: 1-line block ×4, first 2 shown]
	s_branch .LBB140_4
.LBB140_3:                              ;   in Loop: Header=BB140_4 Depth=1
	global_load_dword v4, v[6:7], off
	s_add_i32 s44, s44, 4
	v_add_co_u32_e32 v2, vcc, s34, v2
	v_addc_co_u32_e32 v3, vcc, v3, v12, vcc
	s_cmp_eq_u32 s42, s44
	s_waitcnt vmcnt(0)
	ds_write_b64 v1, v[4:5] offset:192
	v_add_u32_e32 v1, 0x100, v1
	s_cbranch_scc1 .LBB140_20
.LBB140_4:                              ; =>This Inner Loop Header: Depth=1
	s_and_b64 vcc, exec, s[30:31]
	s_cbranch_vccz .LBB140_6
; %bb.5:                                ;   in Loop: Header=BB140_4 Depth=1
	global_load_dword v5, v[2:3], off offset:4
	s_cbranch_execz .LBB140_7
	s_branch .LBB140_8
.LBB140_6:                              ;   in Loop: Header=BB140_4 Depth=1
                                        ; implicit-def: $vgpr5
.LBB140_7:                              ;   in Loop: Header=BB140_4 Depth=1
	global_load_dword v4, v[2:3], off offset:4
	s_waitcnt vmcnt(0)
	v_xor_b32_e32 v5, 0x80000000, v4
.LBB140_8:                              ;   in Loop: Header=BB140_4 Depth=1
	global_load_dword v4, v[2:3], off
	v_add_co_u32_e64 v6, s[2:3], s38, v2
	s_and_b64 vcc, exec, s[0:1]
	v_addc_co_u32_e64 v7, s[2:3], v3, v9, s[2:3]
	s_waitcnt vmcnt(0)
	ds_write_b64 v1, v[4:5]
	s_cbranch_vccnz .LBB140_10
; %bb.9:                                ;   in Loop: Header=BB140_4 Depth=1
	global_load_dword v5, v[6:7], off offset:4
	s_cbranch_execz .LBB140_11
	s_branch .LBB140_12
.LBB140_10:                             ;   in Loop: Header=BB140_4 Depth=1
                                        ; implicit-def: $vgpr5
.LBB140_11:                             ;   in Loop: Header=BB140_4 Depth=1
	global_load_dword v4, v[6:7], off offset:4
	s_waitcnt vmcnt(0)
	v_xor_b32_e32 v5, 0x80000000, v4
.LBB140_12:                             ;   in Loop: Header=BB140_4 Depth=1
	global_load_dword v4, v[6:7], off
	v_add_co_u32_e64 v6, s[2:3], s36, v2
	s_and_b64 vcc, exec, s[0:1]
	v_addc_co_u32_e64 v7, s[2:3], v3, v10, s[2:3]
	s_waitcnt vmcnt(0)
	ds_write_b64 v1, v[4:5] offset:64
	s_cbranch_vccnz .LBB140_14
; %bb.13:                               ;   in Loop: Header=BB140_4 Depth=1
	global_load_dword v5, v[6:7], off offset:4
	s_cbranch_execz .LBB140_15
	s_branch .LBB140_16
.LBB140_14:                             ;   in Loop: Header=BB140_4 Depth=1
                                        ; implicit-def: $vgpr5
.LBB140_15:                             ;   in Loop: Header=BB140_4 Depth=1
	global_load_dword v4, v[6:7], off offset:4
	s_waitcnt vmcnt(0)
	v_xor_b32_e32 v5, 0x80000000, v4
.LBB140_16:                             ;   in Loop: Header=BB140_4 Depth=1
	global_load_dword v4, v[6:7], off
	v_add_co_u32_e64 v6, s[2:3], s43, v2
	s_and_b64 vcc, exec, s[0:1]
	v_addc_co_u32_e64 v7, s[2:3], v3, v11, s[2:3]
	s_waitcnt vmcnt(0)
	ds_write_b64 v1, v[4:5] offset:128
	s_cbranch_vccnz .LBB140_18
; %bb.17:                               ;   in Loop: Header=BB140_4 Depth=1
	global_load_dword v5, v[6:7], off offset:4
	s_cbranch_execnz .LBB140_3
	s_branch .LBB140_19
.LBB140_18:                             ;   in Loop: Header=BB140_4 Depth=1
                                        ; implicit-def: $vgpr5
.LBB140_19:                             ;   in Loop: Header=BB140_4 Depth=1
	global_load_dword v4, v[6:7], off offset:4
	s_waitcnt vmcnt(0)
	v_xor_b32_e32 v5, 0x80000000, v4
	s_branch .LBB140_3
.LBB140_20:
	s_and_b32 s30, s33, 3
	s_cmp_eq_u32 s30, 0
	s_cbranch_scc1 .LBB140_27
; %bb.21:
	s_lshl_b64 s[2:3], s[16:17], 3
	s_mul_i32 s16, s29, s42
	s_mul_hi_u32 s17, s28, s42
	s_add_i32 s17, s17, s16
	s_mul_i32 s16, s28, s42
	s_lshl_b64 s[16:17], s[16:17], 3
	s_add_u32 s16, s2, s16
	s_addc_u32 s17, s3, s17
	s_lshl_b64 s[2:3], s[22:23], 3
	s_add_u32 s2, s16, s2
	s_addc_u32 s3, s17, s3
	s_add_u32 s2, s20, s2
	v_lshlrev_b32_e32 v2, 3, v8
	s_addc_u32 s3, s21, s3
	v_lshl_or_b32 v1, s42, 6, v2
	v_mov_b32_e32 v3, s3
	v_add_co_u32_e32 v2, vcc, s2, v2
	v_addc_co_u32_e32 v3, vcc, 0, v3, vcc
	v_add_co_u32_e32 v2, vcc, 4, v2
	s_lshl_b64 s[2:3], s[28:29], 3
	v_addc_co_u32_e32 v3, vcc, 0, v3, vcc
	v_mov_b32_e32 v6, s3
	s_branch .LBB140_23
.LBB140_22:                             ;   in Loop: Header=BB140_23 Depth=1
	global_load_dword v4, v[2:3], off offset:-4
	s_add_i32 s30, s30, -1
	v_add_co_u32_e32 v2, vcc, s2, v2
	s_cmp_lg_u32 s30, 0
	v_addc_co_u32_e32 v3, vcc, v3, v6, vcc
	s_waitcnt vmcnt(0)
	ds_write_b64 v1, v[4:5]
	v_add_u32_e32 v1, 64, v1
	s_cbranch_scc0 .LBB140_27
.LBB140_23:                             ; =>This Inner Loop Header: Depth=1
	s_and_b64 vcc, exec, s[0:1]
	s_cbranch_vccnz .LBB140_25
; %bb.24:                               ;   in Loop: Header=BB140_23 Depth=1
	global_load_dword v5, v[2:3], off
	s_cbranch_execnz .LBB140_22
	s_branch .LBB140_26
.LBB140_25:                             ;   in Loop: Header=BB140_23 Depth=1
                                        ; implicit-def: $vgpr5
.LBB140_26:                             ;   in Loop: Header=BB140_23 Depth=1
	global_load_dword v4, v[2:3], off
	s_waitcnt vmcnt(0)
	v_xor_b32_e32 v5, 0x80000000, v4
	s_branch .LBB140_22
.LBB140_27:
	v_mul_u32_u24_e32 v1, 9, v8
	s_cmpk_lg_i32 s13, 0x84
	v_lshlrev_b32_e32 v1, 3, v1
	s_mov_b64 s[0:1], -1
	s_cbranch_scc0 .LBB140_33
; %bb.28:
	ds_read_b64 v[2:3], v1
	s_mov_b32 s0, 0
	s_waitcnt lgkmcnt(0)
	v_cmp_gt_f32_e32 vcc, 0, v3
	v_cndmask_b32_e64 v4, v3, -v3, vcc
	v_cmp_gt_f32_e32 vcc, 0, v2
	v_cndmask_b32_e64 v5, v2, -v2, vcc
	v_cmp_ngt_f32_e32 vcc, v5, v4
                                        ; implicit-def: $vgpr4_vgpr5
	s_and_saveexec_b64 s[2:3], vcc
	s_xor_b64 s[2:3], exec, s[2:3]
	s_cbranch_execz .LBB140_30
; %bb.29:
	v_div_scale_f32 v4, s[16:17], v3, v3, v2
	v_rcp_f32_e32 v5, v4
	v_div_scale_f32 v6, vcc, v2, v3, v2
	s_mov_b32 s1, -1.0
	v_fma_f32 v7, -v4, v5, 1.0
	v_fmac_f32_e32 v5, v7, v5
	v_mul_f32_e32 v7, v6, v5
	v_fma_f32 v9, -v4, v7, v6
	v_fmac_f32_e32 v7, v9, v5
	v_fma_f32 v4, -v4, v7, v6
	v_div_fmas_f32 v4, v4, v5, v7
	v_div_fixup_f32 v4, v4, v3, v2
	v_fmac_f32_e32 v3, v2, v4
	v_div_scale_f32 v2, s[16:17], v3, v3, 1.0
	v_rcp_f32_e32 v5, v2
	v_fma_f32 v6, -v2, v5, 1.0
	v_fmac_f32_e32 v5, v6, v5
	v_div_scale_f32 v6, vcc, 1.0, v3, 1.0
	v_mul_f32_e32 v7, v6, v5
	v_fma_f32 v9, -v2, v7, v6
	v_fmac_f32_e32 v7, v9, v5
	v_fma_f32 v2, -v2, v7, v6
	v_div_fmas_f32 v2, v2, v5, v7
	v_mul_f32_e32 v5, 0, v4
	v_div_fixup_f32 v2, v2, v3, 1.0
	v_pk_add_f32 v[4:5], v[4:5], s[0:1]
	v_pk_mul_f32 v[4:5], v[4:5], v[2:3] op_sel_hi:[1,0]
                                        ; implicit-def: $vgpr2_vgpr3
.LBB140_30:
	s_andn2_saveexec_b64 s[0:1], s[2:3]
	s_cbranch_execz .LBB140_32
; %bb.31:
	v_div_scale_f32 v4, s[2:3], v2, v2, v3
	v_rcp_f32_e32 v5, v4
	v_div_scale_f32 v6, vcc, v3, v2, v3
	v_fma_f32 v7, -v4, v5, 1.0
	v_fmac_f32_e32 v5, v7, v5
	v_mul_f32_e32 v7, v6, v5
	v_fma_f32 v9, -v4, v7, v6
	v_fmac_f32_e32 v7, v9, v5
	v_fma_f32 v4, -v4, v7, v6
	v_div_fmas_f32 v4, v4, v5, v7
	v_div_fixup_f32 v5, v4, v2, v3
	v_fmac_f32_e32 v2, v3, v5
	v_div_scale_f32 v3, s[2:3], v2, v2, 1.0
	v_rcp_f32_e32 v4, v3
	s_mov_b32 s2, 1.0
	s_mov_b32 s3, 0
	v_fma_f32 v6, -v3, v4, 1.0
	v_fmac_f32_e32 v4, v6, v4
	v_div_scale_f32 v6, vcc, 1.0, v2, 1.0
	v_mul_f32_e32 v7, v6, v4
	v_fma_f32 v9, -v3, v7, v6
	v_fmac_f32_e32 v7, v9, v4
	v_fma_f32 v3, -v3, v7, v6
	v_div_fmas_f32 v3, v3, v4, v7
	v_mul_f32_e32 v4, 0, v5
	v_pk_add_f32 v[6:7], v[4:5], s[2:3]
	v_pk_add_f32 v[4:5], v[4:5], s[2:3] neg_lo:[1,0] neg_hi:[1,0]
	v_div_fixup_f32 v2, v3, v2, 1.0
	v_mov_b32_e32 v7, v5
	v_pk_mul_f32 v[4:5], v[6:7], v[2:3] op_sel_hi:[1,0]
.LBB140_32:
	s_or_b64 exec, exec, s[0:1]
	s_mov_b64 s[0:1], 0
	ds_write_b64 v1, v[4:5]
.LBB140_33:
	s_and_b64 vcc, exec, s[0:1]
	s_cbranch_vccz .LBB140_35
; %bb.34:
	v_mov_b32_e32 v2, 1.0
	v_mov_b32_e32 v3, 0
	ds_write_b64 v1, v[2:3]
.LBB140_35:
	s_or_b64 exec, exec, s[26:27]
	s_load_dwordx2 s[0:1], s[6:7], 0x58
	s_load_dword s13, s[6:7], 0x50
	s_waitcnt lgkmcnt(0)
	s_mul_i32 s1, s9, s1
	s_mul_hi_u32 s2, s9, s0
	s_mul_i32 s0, s9, s0
	s_add_i32 s1, s2, s1
	s_lshl_b64 s[0:1], s[0:1], 3
	s_add_u32 s2, s18, s0
	s_addc_u32 s3, s19, s1
	s_lshl_b64 s[0:1], s[24:25], 3
	s_add_u32 s2, s2, s0
	s_addc_u32 s3, s3, s1
	s_lshl_b32 s0, s8, 3
	s_add_i32 s41, s41, -1
	s_sub_i32 s1, s15, s0
	s_cmp_ge_u32 s8, s41
	s_cselect_b32 s6, s1, 8
	s_mul_hi_i32 s1, s13, s0
	s_mul_i32 s0, s13, s0
	s_lshl_b64 s[0:1], s[0:1], 3
	s_add_u32 s15, s2, s0
	s_addc_u32 s16, s3, s1
	s_cmp_gt_i32 s14, 0
	v_cmp_gt_i32_e32 vcc, s6, v8
	s_cselect_b64 s[0:1], -1, 0
	s_and_b64 s[0:1], vcc, s[0:1]
	s_and_saveexec_b64 s[2:3], s[0:1]
	s_cbranch_execz .LBB140_44
; %bb.36:
	v_mad_i64_i32 v[2:3], s[6:7], s13, v8, 0
	v_lshlrev_b64 v[2:3], 3, v[2:3]
	v_mov_b32_e32 v1, s16
	v_add_co_u32_e32 v2, vcc, s15, v2
	v_addc_co_u32_e32 v3, vcc, v1, v3, vcc
	global_load_dwordx2 v[4:5], v[2:3], off
	v_lshlrev_b32_e32 v1, 3, v8
	s_cmp_eq_u32 s14, 1
	s_waitcnt vmcnt(0)
	v_mul_f32_e32 v6, s11, v5
	v_mul_f32_e32 v7, s10, v5
	v_fma_f32 v6, s10, v4, -v6
	v_fmac_f32_e32 v7, s11, v4
	ds_write_b64 v1, v[6:7] offset:512
	s_cbranch_scc1 .LBB140_44
; %bb.37:
	global_load_dwordx2 v[4:5], v[2:3], off offset:8
	v_or_b32_e32 v1, 0x200, v1
	s_cmp_eq_u32 s14, 2
	s_waitcnt vmcnt(0)
	v_mul_f32_e32 v6, s11, v5
	v_mul_f32_e32 v7, s10, v5
	v_fma_f32 v6, s10, v4, -v6
	v_fmac_f32_e32 v7, s11, v4
	ds_write_b64 v1, v[6:7] offset:64
	s_cbranch_scc1 .LBB140_44
; %bb.38:
	global_load_dwordx2 v[4:5], v[2:3], off offset:16
	s_cmp_eq_u32 s14, 3
	s_waitcnt vmcnt(0)
	v_mul_f32_e32 v6, s11, v5
	v_mul_f32_e32 v7, s10, v5
	v_fma_f32 v6, s10, v4, -v6
	v_fmac_f32_e32 v7, s11, v4
	ds_write_b64 v1, v[6:7] offset:128
	s_cbranch_scc1 .LBB140_44
; %bb.39:
	global_load_dwordx2 v[4:5], v[2:3], off offset:24
	;; [unrolled: 10-line block ×6, first 2 shown]
	s_waitcnt vmcnt(0)
	v_mul_f32_e32 v4, s11, v3
	v_mul_f32_e32 v5, s10, v3
	v_fma_f32 v4, s10, v2, -v4
	v_fmac_f32_e32 v5, s11, v2
	ds_write_b64 v1, v[4:5] offset:448
.LBB140_44:
	s_or_b64 exec, exec, s[2:3]
	s_load_dwordx2 s[2:3], s[4:5], 0x4
	v_bfe_u32 v1, v0, 10, 10
	v_bfe_u32 v2, v0, 20, 10
	v_mov_b32_e32 v0, 0x400
	s_waitcnt lgkmcnt(0)
	s_lshr_b32 s2, s2, 16
	s_mul_i32 s2, s2, s3
	v_mul_u32_u24_e32 v1, s3, v1
	v_mul_u32_u24_e32 v3, s2, v8
	v_add3_u32 v10, v3, v1, v2
	v_lshl_add_u32 v9, v10, 6, v0
	s_cmpk_eq_i32 s12, 0x6f
	s_mov_b64 s[2:3], -1
	; wave barrier
	s_cbranch_scc1 .LBB140_73
; %bb.45:
	v_mov_b32_e32 v1, 0x200
	s_lshl_b32 s12, s33, 3
	s_mov_b32 s3, 0
	v_lshl_or_b32 v11, v8, 3, v1
	s_add_i32 s12, s12, -8
	v_lshl_add_u32 v12, v10, 6, v0
	v_lshlrev_b32_e32 v13, 3, v8
	s_mov_b32 s2, s3
	s_mov_b32 s17, s40
	s_branch .LBB140_47
.LBB140_46:                             ;   in Loop: Header=BB140_47 Depth=1
	s_cmp_lt_i32 s17, 0
	s_cselect_b64 s[4:5], -1, 0
	s_add_i32 s2, s2, 1
	s_cmp_eq_u32 s2, 3
	s_cselect_b64 s[6:7], -1, 0
	s_or_b64 s[4:5], s[4:5], s[6:7]
	s_andn2_b64 vcc, exec, s[4:5]
	s_cbranch_vccz .LBB140_72
.LBB140_47:                             ; =>This Loop Header: Depth=1
                                        ;     Child Loop BB140_50 Depth 2
                                        ;       Child Loop BB140_51 Depth 3
                                        ;       Child Loop BB140_55 Depth 3
                                        ;         Child Loop BB140_57 Depth 4
                                        ;         Child Loop BB140_63 Depth 4
                                        ;       Child Loop BB140_66 Depth 3
                                        ;         Child Loop BB140_68 Depth 4
	s_lshl_b64 s[4:5], s[2:3], 2
	s_getpc_b64 s[6:7]
	s_add_u32 s6, s6, __const._ZL38rocblas_trsm_small_left_device_sharedBILi8ELi8ELb1E19rocblas_complex_numIfES1_PKS1_PS1_Ev13rocblas_fill_18rocblas_operation_17rocblas_diagonal_iiT3_T4_lilT5_lili.step_sizes@rel32@lo+4
	s_addc_u32 s7, s7, __const._ZL38rocblas_trsm_small_left_device_sharedBILi8ELi8ELb1E19rocblas_complex_numIfES1_PKS1_PS1_Ev13rocblas_fill_18rocblas_operation_17rocblas_diagonal_iiT3_T4_lilT5_lili.step_sizes@rel32@hi+12
	s_add_u32 s4, s4, s6
	s_addc_u32 s5, s5, s7
	s_load_dword s18, s[4:5], 0x0
	s_waitcnt lgkmcnt(0)
	s_add_i32 s19, s18, -1
	s_cmp_lt_i32 s17, s19
	s_cbranch_scc1 .LBB140_46
; %bb.48:                               ;   in Loop: Header=BB140_47 Depth=1
	s_max_i32 s20, s18, 1
	s_cmp_lg_u32 s2, 2
	s_cselect_b64 s[4:5], -1, 0
	s_and_b32 s21, s20, 0x7ffffffe
	s_cmp_lg_u32 s20, s21
	s_cselect_b64 s[6:7], -1, 0
	s_lshl_b32 s8, s17, 6
	s_lshl_b32 s9, s18, 6
	v_add_u32_e32 v14, s8, v11
	s_sub_i32 s22, 0, s9
	s_add_i32 s23, s12, s8
	s_mul_i32 s24, s17, 0x48
	s_mul_i32 s25, s18, 0xffffffb8
	s_branch .LBB140_50
.LBB140_49:                             ;   in Loop: Header=BB140_50 Depth=2
	s_sub_i32 s17, s17, s18
	s_add_i32 s23, s23, s22
	s_add_i32 s24, s24, s25
	s_cmp_lt_i32 s17, s19
	v_add_u32_e32 v14, s22, v14
	s_cbranch_scc1 .LBB140_46
.LBB140_50:                             ;   Parent Loop BB140_47 Depth=1
                                        ; =>  This Loop Header: Depth=2
                                        ;       Child Loop BB140_51 Depth 3
                                        ;       Child Loop BB140_55 Depth 3
                                        ;         Child Loop BB140_57 Depth 4
                                        ;         Child Loop BB140_63 Depth 4
                                        ;       Child Loop BB140_66 Depth 3
                                        ;         Child Loop BB140_68 Depth 4
	v_mov_b32_e32 v0, v9
	v_mov_b32_e32 v1, v14
	s_mov_b32 s8, s20
.LBB140_51:                             ;   Parent Loop BB140_47 Depth=1
                                        ;     Parent Loop BB140_50 Depth=2
                                        ; =>    This Inner Loop Header: Depth=3
	ds_read_b64 v[2:3], v1
	s_add_i32 s8, s8, -1
	v_subrev_u32_e32 v1, 64, v1
	s_cmp_eq_u32 s8, 0
	s_waitcnt lgkmcnt(0)
	ds_write_b64 v0, v[2:3]
	v_add_u32_e32 v0, 8, v0
	s_cbranch_scc0 .LBB140_51
; %bb.52:                               ;   in Loop: Header=BB140_50 Depth=2
	s_cmp_le_i32 s40, s17
	s_cbranch_scc1 .LBB140_64
; %bb.53:                               ;   in Loop: Header=BB140_50 Depth=2
	s_mov_b32 s26, s17
	s_mov_b32 s27, s23
	s_mov_b32 s28, s40
	s_branch .LBB140_55
.LBB140_54:                             ;   in Loop: Header=BB140_55 Depth=3
	s_add_i32 s28, s28, -1
	s_add_i32 s27, s27, -8
	s_cmp_le_i32 s28, s17
	s_cbranch_scc1 .LBB140_64
.LBB140_55:                             ;   Parent Loop BB140_47 Depth=1
                                        ;     Parent Loop BB140_50 Depth=2
                                        ; =>    This Loop Header: Depth=3
                                        ;         Child Loop BB140_57 Depth 4
                                        ;         Child Loop BB140_63 Depth 4
	s_waitcnt lgkmcnt(0)
	v_lshl_or_b32 v0, s28, 6, v13
	ds_read_b64 v[0:1], v0 offset:512
	s_and_b64 vcc, exec, s[4:5]
	s_cbranch_vccz .LBB140_59
; %bb.56:                               ;   in Loop: Header=BB140_55 Depth=3
	s_mov_b32 s8, s28
	s_waitcnt lgkmcnt(0)
	v_mov_b32_e32 v4, v0
	v_mov_b32_e32 v5, v0
	;; [unrolled: 1-line block ×5, first 2 shown]
	s_mov_b32 s9, 1
	s_mov_b32 s10, 0
	;; [unrolled: 1-line block ×3, first 2 shown]
	v_mov_b32_e32 v3, v9
.LBB140_57:                             ;   Parent Loop BB140_47 Depth=1
                                        ;     Parent Loop BB140_50 Depth=2
                                        ;       Parent Loop BB140_55 Depth=3
                                        ; =>      This Inner Loop Header: Depth=4
	s_sub_i32 s29, s26, s9
	s_sub_i32 s30, s17, s10
	s_lshl_b32 s30, s30, 3
	s_lshl_b32 s29, s29, 3
	s_add_i32 s29, s29, s8
	s_add_i32 s30, s30, s28
	s_lshl_b32 s30, s30, 3
	s_lshl_b32 s29, s29, 3
	v_mov_b32_e32 v15, s30
	v_mov_b32_e32 v22, s29
	ds_read_b128 v[16:19], v3
	ds_read_b64 v[20:21], v15
	ds_read_b64 v[22:23], v22
	s_add_i32 s10, s10, 2
	s_add_i32 s9, s9, 2
	s_add_i32 s11, s11, -2
	s_waitcnt lgkmcnt(2)
	v_mov_b32_e32 v25, v18
	v_mov_b32_e32 v18, v17
	s_waitcnt lgkmcnt(0)
	v_mov_b32_e32 v17, v22
	v_mov_b32_e32 v22, v21
	;; [unrolled: 1-line block ×4, first 2 shown]
	v_pk_mul_f32 v[20:21], v[22:23], v[6:7]
	v_pk_mul_f32 v[22:23], v[22:23], v[4:5]
	v_pk_fma_f32 v[20:21], v[16:17], v[4:5], v[20:21] neg_lo:[0,0,1] neg_hi:[0,0,1]
	v_pk_fma_f32 v[16:17], v[16:17], v[6:7], v[22:23]
	v_pk_add_f32 v[20:21], v[24:25], v[20:21] neg_lo:[0,1] neg_hi:[0,1]
	v_pk_add_f32 v[18:19], v[18:19], v[16:17] neg_lo:[0,1] neg_hi:[0,1]
	v_mov_b32_e32 v16, v20
	v_mov_b32_e32 v17, v18
	v_mov_b32_e32 v18, v21
	s_cmp_lg_u32 s11, 0
	ds_write_b128 v3, v[16:19]
	v_add_u32_e32 v3, 16, v3
	s_cbranch_scc1 .LBB140_57
; %bb.58:                               ;   in Loop: Header=BB140_55 Depth=3
	s_mov_b64 s[8:9], s[6:7]
	s_mov_b32 s10, s21
	s_branch .LBB140_61
.LBB140_59:                             ;   in Loop: Header=BB140_55 Depth=3
	s_mov_b64 s[8:9], 0
                                        ; implicit-def: $vgpr2_vgpr3
	s_mov_b32 s10, s21
	s_cbranch_execz .LBB140_61
; %bb.60:                               ;   in Loop: Header=BB140_55 Depth=3
	s_waitcnt lgkmcnt(0)
	v_mov_b32_e32 v2, v1
	s_mov_b64 s[8:9], -1
	s_mov_b32 s10, 0
.LBB140_61:                             ;   in Loop: Header=BB140_55 Depth=3
	s_andn2_b64 vcc, exec, s[8:9]
	s_cbranch_vccnz .LBB140_54
; %bb.62:                               ;   in Loop: Header=BB140_55 Depth=3
	s_lshl_b32 s9, s10, 6
	s_waitcnt lgkmcnt(0)
	v_mov_b32_e32 v3, v1
	v_mov_b32_e32 v1, v0
	s_sub_i32 s8, s20, s10
	s_sub_i32 s9, s27, s9
	v_lshl_add_u32 v4, s10, 3, v12
.LBB140_63:                             ;   Parent Loop BB140_47 Depth=1
                                        ;     Parent Loop BB140_50 Depth=2
                                        ;       Parent Loop BB140_55 Depth=3
                                        ; =>      This Inner Loop Header: Depth=4
	v_mov_b32_e32 v5, s9
	ds_read_b64 v[16:17], v5
	ds_read_b64 v[6:7], v4
	s_add_i32 s8, s8, -1
	s_sub_i32 s9, s9, 64
	s_cmp_eq_u32 s8, 0
	s_waitcnt lgkmcnt(1)
	v_pk_mul_f32 v[18:19], v[16:17], v[2:3]
	v_pk_fma_f32 v[20:21], v[16:17], v[0:1], v[18:19] op_sel:[0,0,1] op_sel_hi:[1,1,0] neg_lo:[0,0,1] neg_hi:[0,0,1]
	v_pk_fma_f32 v[16:17], v[16:17], v[0:1], v[18:19] op_sel:[0,0,1] op_sel_hi:[1,1,0]
	v_mov_b32_e32 v21, v17
	s_waitcnt lgkmcnt(0)
	v_pk_add_f32 v[6:7], v[6:7], v[20:21] neg_lo:[0,1] neg_hi:[0,1]
	ds_write_b64 v4, v[6:7]
	v_add_u32_e32 v4, 8, v4
	s_cbranch_scc0 .LBB140_63
	s_branch .LBB140_54
.LBB140_64:                             ;   in Loop: Header=BB140_50 Depth=2
	s_lshl_b32 s10, s17, 3
	s_mov_b32 s11, 0
	s_mov_b32 s26, s24
	s_branch .LBB140_66
.LBB140_65:                             ;   in Loop: Header=BB140_66 Depth=3
	s_mul_i32 s8, s28, 0x48
	v_mov_b32_e32 v3, s8
	ds_read_b64 v[4:5], v3
	s_add_i32 s11, s11, 1
	s_sub_i32 s26, s26, 64
	v_add_lshl_u32 v3, s27, v8, 3
	s_cmp_eq_u32 s11, s20
	s_waitcnt lgkmcnt(0)
	v_mul_f32_e32 v6, v5, v1
	v_mul_f32_e32 v7, v4, v1
	v_fma_f32 v6, v4, v0, -v6
	v_fmac_f32_e32 v7, v5, v0
	ds_write_b64 v2, v[6:7]
	ds_write_b64 v3, v[6:7] offset:512
	s_cbranch_scc1 .LBB140_49
.LBB140_66:                             ;   Parent Loop BB140_47 Depth=1
                                        ;     Parent Loop BB140_50 Depth=2
                                        ; =>    This Loop Header: Depth=3
                                        ;         Child Loop BB140_68 Depth 4
	s_cmp_lg_u32 s11, 0
	v_lshl_add_u32 v2, s11, 3, v9
	s_cbranch_scc0 .LBB140_70
; %bb.67:                               ;   in Loop: Header=BB140_66 Depth=3
	s_waitcnt lgkmcnt(0)
	ds_read_b64 v[0:1], v2
	s_mov_b32 s8, 0
	v_mov_b32_e32 v3, v9
	s_mov_b32 s9, s26
.LBB140_68:                             ;   Parent Loop BB140_47 Depth=1
                                        ;     Parent Loop BB140_50 Depth=2
                                        ;       Parent Loop BB140_66 Depth=3
                                        ; =>      This Inner Loop Header: Depth=4
	v_mov_b32_e32 v6, s9
	ds_read_b64 v[4:5], v3
	ds_read_b64 v[6:7], v6
	s_add_i32 s8, s8, 1
	s_add_i32 s9, s9, -8
	v_add_u32_e32 v3, 8, v3
	s_cmp_ge_u32 s8, s11
	s_waitcnt lgkmcnt(0)
	v_pk_mul_f32 v[16:17], v[6:7], v[4:5] op_sel:[0,1]
	v_pk_fma_f32 v[18:19], v[6:7], v[4:5], v[16:17] op_sel:[0,0,1] op_sel_hi:[1,1,0] neg_lo:[0,0,1] neg_hi:[0,0,1]
	v_pk_fma_f32 v[4:5], v[6:7], v[4:5], v[16:17] op_sel:[0,0,1] op_sel_hi:[1,0,0]
	v_mov_b32_e32 v19, v5
	v_pk_add_f32 v[0:1], v[0:1], v[18:19] neg_lo:[0,1] neg_hi:[0,1]
	ds_write_b64 v2, v[0:1]
	s_cbranch_scc0 .LBB140_68
; %bb.69:                               ;   in Loop: Header=BB140_66 Depth=3
	s_sub_i32 s28, s17, s11
	s_lshl_b32 s27, s28, 3
	s_branch .LBB140_65
.LBB140_70:                             ;   in Loop: Header=BB140_66 Depth=3
                                        ; implicit-def: $vgpr0
                                        ; implicit-def: $sgpr28
                                        ; implicit-def: $sgpr27
	s_cbranch_execz .LBB140_65
; %bb.71:                               ;   in Loop: Header=BB140_66 Depth=3
	s_waitcnt lgkmcnt(0)
	ds_read_b64 v[0:1], v9
	s_mov_b32 s27, s10
	s_mov_b32 s28, s17
	s_branch .LBB140_65
.LBB140_72:
	s_mov_b64 s[2:3], 0
.LBB140_73:
	s_and_b64 vcc, exec, s[2:3]
	s_cbranch_vccz .LBB140_101
; %bb.74:
	v_mov_b32_e32 v0, 0x200
	v_lshl_or_b32 v11, v8, 3, v0
	v_mov_b32_e32 v0, 0x400
	s_mov_b32 s3, 0
	v_lshl_add_u32 v10, v10, 6, v0
	s_mov_b32 s2, s3
	s_mov_b32 s12, s3
	s_branch .LBB140_76
.LBB140_75:                             ;   in Loop: Header=BB140_76 Depth=1
	s_cmp_ge_i32 s12, s33
	s_cselect_b64 s[4:5], -1, 0
	s_add_i32 s2, s2, 1
	s_cmp_eq_u32 s2, 3
	s_cselect_b64 s[6:7], -1, 0
	s_or_b64 s[4:5], s[4:5], s[6:7]
	s_and_b64 vcc, exec, s[4:5]
	s_cbranch_vccnz .LBB140_101
.LBB140_76:                             ; =>This Loop Header: Depth=1
                                        ;     Child Loop BB140_79 Depth 2
                                        ;       Child Loop BB140_80 Depth 3
                                        ;       Child Loop BB140_84 Depth 3
                                        ;         Child Loop BB140_86 Depth 4
                                        ;         Child Loop BB140_92 Depth 4
                                        ;       Child Loop BB140_95 Depth 3
                                        ;         Child Loop BB140_97 Depth 4
	s_lshl_b64 s[4:5], s[2:3], 2
	s_getpc_b64 s[6:7]
	s_add_u32 s6, s6, __const._ZL38rocblas_trsm_small_left_device_sharedBILi8ELi8ELb1E19rocblas_complex_numIfES1_PKS1_PS1_Ev13rocblas_fill_18rocblas_operation_17rocblas_diagonal_iiT3_T4_lilT5_lili.step_sizes@rel32@lo+4
	s_addc_u32 s7, s7, __const._ZL38rocblas_trsm_small_left_device_sharedBILi8ELi8ELb1E19rocblas_complex_numIfES1_PKS1_PS1_Ev13rocblas_fill_18rocblas_operation_17rocblas_diagonal_iiT3_T4_lilT5_lili.step_sizes@rel32@hi+12
	s_add_u32 s4, s4, s6
	s_addc_u32 s5, s5, s7
	s_load_dword s17, s[4:5], 0x0
	s_waitcnt lgkmcnt(0)
	s_add_i32 s18, s17, -1
	s_add_i32 s4, s18, s12
	s_cmp_ge_i32 s4, s33
	s_cbranch_scc1 .LBB140_75
; %bb.77:                               ;   in Loop: Header=BB140_76 Depth=1
	s_max_i32 s19, s17, 1
	s_cmp_lg_u32 s2, 2
	s_cselect_b64 s[4:5], -1, 0
	s_and_b32 s20, s19, 0x7ffffffe
	s_cmp_lg_u32 s19, s20
	s_cselect_b64 s[6:7], -1, 0
	v_lshl_add_u32 v12, s12, 6, v11
	s_lshl_b32 s21, s17, 6
	s_mul_i32 s22, s12, 0x48
	s_mul_i32 s23, s17, 0x48
	s_branch .LBB140_79
.LBB140_78:                             ;   in Loop: Header=BB140_79 Depth=2
	s_add_i32 s12, s12, s17
	s_add_i32 s8, s18, s12
	s_add_i32 s22, s22, s23
	s_cmp_ge_i32 s8, s33
	v_add_u32_e32 v12, s21, v12
	s_cbranch_scc1 .LBB140_75
.LBB140_79:                             ;   Parent Loop BB140_76 Depth=1
                                        ; =>  This Loop Header: Depth=2
                                        ;       Child Loop BB140_80 Depth 3
                                        ;       Child Loop BB140_84 Depth 3
                                        ;         Child Loop BB140_86 Depth 4
                                        ;         Child Loop BB140_92 Depth 4
                                        ;       Child Loop BB140_95 Depth 3
                                        ;         Child Loop BB140_97 Depth 4
	v_mov_b32_e32 v0, v9
	v_mov_b32_e32 v1, v12
	s_mov_b32 s8, s19
.LBB140_80:                             ;   Parent Loop BB140_76 Depth=1
                                        ;     Parent Loop BB140_79 Depth=2
                                        ; =>    This Inner Loop Header: Depth=3
	ds_read_b64 v[2:3], v1
	s_add_i32 s8, s8, -1
	v_add_u32_e32 v1, 64, v1
	s_cmp_eq_u32 s8, 0
	s_waitcnt lgkmcnt(0)
	ds_write_b64 v0, v[2:3]
	v_add_u32_e32 v0, 8, v0
	s_cbranch_scc0 .LBB140_80
; %bb.81:                               ;   in Loop: Header=BB140_79 Depth=2
	s_cmp_lt_i32 s12, 1
	s_cbranch_scc1 .LBB140_93
; %bb.82:                               ;   in Loop: Header=BB140_79 Depth=2
	s_mov_b32 s24, 0
	s_mov_b32 s25, s12
	s_branch .LBB140_84
.LBB140_83:                             ;   in Loop: Header=BB140_84 Depth=3
	s_add_i32 s24, s24, 1
	s_add_i32 s25, s25, 8
	s_cmp_ge_i32 s24, s12
	s_cbranch_scc1 .LBB140_93
.LBB140_84:                             ;   Parent Loop BB140_76 Depth=1
                                        ;     Parent Loop BB140_79 Depth=2
                                        ; =>    This Loop Header: Depth=3
                                        ;         Child Loop BB140_86 Depth 4
                                        ;         Child Loop BB140_92 Depth 4
	s_lshl_b32 s8, s24, 3
	s_waitcnt lgkmcnt(0)
	v_or_b32_e32 v0, s8, v8
	v_lshlrev_b32_e32 v0, 3, v0
	ds_read_b64 v[0:1], v0 offset:512
	s_and_b64 vcc, exec, s[4:5]
	s_cbranch_vccz .LBB140_88
; %bb.85:                               ;   in Loop: Header=BB140_84 Depth=3
	s_add_i32 s8, s8, s12
	s_mov_b32 s9, s8
	s_waitcnt lgkmcnt(0)
	v_mov_b32_e32 v4, v0
	v_mov_b32_e32 v5, v0
	;; [unrolled: 1-line block ×5, first 2 shown]
	s_mov_b32 s10, 1
	s_mov_b32 s11, 0
	;; [unrolled: 1-line block ×3, first 2 shown]
	v_mov_b32_e32 v3, v9
.LBB140_86:                             ;   Parent Loop BB140_76 Depth=1
                                        ;     Parent Loop BB140_79 Depth=2
                                        ;       Parent Loop BB140_84 Depth=3
                                        ; =>      This Inner Loop Header: Depth=4
	s_add_i32 s27, s9, s10
	s_add_i32 s28, s8, s11
	s_lshl_b32 s28, s28, 3
	s_lshl_b32 s27, s27, 3
	v_mov_b32_e32 v13, s28
	v_mov_b32_e32 v20, s27
	ds_read_b128 v[14:17], v3
	ds_read_b64 v[18:19], v13
	ds_read_b64 v[20:21], v20
	s_add_i32 s11, s11, 2
	s_add_i32 s10, s10, 2
	s_add_i32 s26, s26, -2
	s_waitcnt lgkmcnt(2)
	v_mov_b32_e32 v23, v16
	v_mov_b32_e32 v16, v15
	s_waitcnt lgkmcnt(0)
	v_mov_b32_e32 v15, v20
	v_mov_b32_e32 v20, v19
	;; [unrolled: 1-line block ×4, first 2 shown]
	v_pk_mul_f32 v[18:19], v[20:21], v[6:7]
	v_pk_mul_f32 v[20:21], v[20:21], v[4:5]
	v_pk_fma_f32 v[18:19], v[14:15], v[4:5], v[18:19] neg_lo:[0,0,1] neg_hi:[0,0,1]
	v_pk_fma_f32 v[14:15], v[14:15], v[6:7], v[20:21]
	v_pk_add_f32 v[18:19], v[22:23], v[18:19] neg_lo:[0,1] neg_hi:[0,1]
	v_pk_add_f32 v[16:17], v[16:17], v[14:15] neg_lo:[0,1] neg_hi:[0,1]
	v_mov_b32_e32 v14, v18
	v_mov_b32_e32 v15, v16
	;; [unrolled: 1-line block ×3, first 2 shown]
	s_cmp_lg_u32 s26, 0
	ds_write_b128 v3, v[14:17]
	v_add_u32_e32 v3, 16, v3
	s_cbranch_scc1 .LBB140_86
; %bb.87:                               ;   in Loop: Header=BB140_84 Depth=3
	s_mov_b64 s[8:9], s[6:7]
	s_mov_b32 s10, s20
	s_branch .LBB140_90
.LBB140_88:                             ;   in Loop: Header=BB140_84 Depth=3
	s_mov_b64 s[8:9], 0
                                        ; implicit-def: $vgpr2_vgpr3
	s_mov_b32 s10, s20
	s_cbranch_execz .LBB140_90
; %bb.89:                               ;   in Loop: Header=BB140_84 Depth=3
	s_waitcnt lgkmcnt(0)
	v_mov_b32_e32 v2, v1
	s_mov_b64 s[8:9], -1
	s_mov_b32 s10, 0
.LBB140_90:                             ;   in Loop: Header=BB140_84 Depth=3
	s_andn2_b64 vcc, exec, s[8:9]
	s_cbranch_vccnz .LBB140_83
; %bb.91:                               ;   in Loop: Header=BB140_84 Depth=3
	s_add_i32 s9, s10, s25
	s_waitcnt lgkmcnt(0)
	v_mov_b32_e32 v3, v1
	v_mov_b32_e32 v1, v0
	s_sub_i32 s8, s19, s10
	s_lshl_b32 s9, s9, 3
	v_lshl_add_u32 v4, s10, 3, v10
.LBB140_92:                             ;   Parent Loop BB140_76 Depth=1
                                        ;     Parent Loop BB140_79 Depth=2
                                        ;       Parent Loop BB140_84 Depth=3
                                        ; =>      This Inner Loop Header: Depth=4
	v_mov_b32_e32 v5, s9
	ds_read_b64 v[14:15], v5
	ds_read_b64 v[6:7], v4
	s_add_i32 s8, s8, -1
	s_add_i32 s9, s9, 8
	s_cmp_eq_u32 s8, 0
	s_waitcnt lgkmcnt(1)
	v_pk_mul_f32 v[16:17], v[14:15], v[2:3]
	v_pk_fma_f32 v[18:19], v[14:15], v[0:1], v[16:17] op_sel:[0,0,1] op_sel_hi:[1,1,0] neg_lo:[0,0,1] neg_hi:[0,0,1]
	v_pk_fma_f32 v[14:15], v[14:15], v[0:1], v[16:17] op_sel:[0,0,1] op_sel_hi:[1,1,0]
	v_mov_b32_e32 v19, v15
	s_waitcnt lgkmcnt(0)
	v_pk_add_f32 v[6:7], v[6:7], v[18:19] neg_lo:[0,1] neg_hi:[0,1]
	ds_write_b64 v4, v[6:7]
	v_add_u32_e32 v4, 8, v4
	s_cbranch_scc0 .LBB140_92
	s_branch .LBB140_83
.LBB140_93:                             ;   in Loop: Header=BB140_79 Depth=2
	s_mov_b32 s10, 0
	s_mov_b32 s11, s22
	s_branch .LBB140_95
.LBB140_94:                             ;   in Loop: Header=BB140_95 Depth=3
	s_mul_i32 s8, s24, 0x48
	v_mov_b32_e32 v3, s8
	ds_read_b64 v[4:5], v3
	v_lshlrev_b32_e32 v3, 3, v8
	s_add_i32 s10, s10, 1
	s_add_i32 s11, s11, 8
	v_lshl_or_b32 v3, s24, 6, v3
	s_waitcnt lgkmcnt(0)
	v_mul_f32_e32 v6, v5, v1
	v_mul_f32_e32 v7, v4, v1
	v_fma_f32 v6, v4, v0, -v6
	v_fmac_f32_e32 v7, v5, v0
	s_cmp_eq_u32 s10, s19
	ds_write_b64 v2, v[6:7]
	ds_write_b64 v3, v[6:7] offset:512
	s_cbranch_scc1 .LBB140_78
.LBB140_95:                             ;   Parent Loop BB140_76 Depth=1
                                        ;     Parent Loop BB140_79 Depth=2
                                        ; =>    This Loop Header: Depth=3
                                        ;         Child Loop BB140_97 Depth 4
	s_cmp_lg_u32 s10, 0
	v_lshl_add_u32 v2, s10, 3, v9
	s_cbranch_scc0 .LBB140_99
; %bb.96:                               ;   in Loop: Header=BB140_95 Depth=3
	s_waitcnt lgkmcnt(0)
	ds_read_b64 v[0:1], v2
	s_mov_b32 s8, 0
	v_mov_b32_e32 v3, v9
	s_mov_b32 s9, s11
.LBB140_97:                             ;   Parent Loop BB140_76 Depth=1
                                        ;     Parent Loop BB140_79 Depth=2
                                        ;       Parent Loop BB140_95 Depth=3
                                        ; =>      This Inner Loop Header: Depth=4
	v_mov_b32_e32 v6, s9
	ds_read_b64 v[4:5], v3
	ds_read_b64 v[6:7], v6
	s_add_i32 s8, s8, 1
	s_add_i32 s9, s9, 64
	v_add_u32_e32 v3, 8, v3
	s_cmp_ge_u32 s8, s10
	s_waitcnt lgkmcnt(0)
	v_pk_mul_f32 v[14:15], v[6:7], v[4:5] op_sel:[0,1]
	v_pk_fma_f32 v[16:17], v[6:7], v[4:5], v[14:15] op_sel:[0,0,1] op_sel_hi:[1,1,0] neg_lo:[0,0,1] neg_hi:[0,0,1]
	v_pk_fma_f32 v[4:5], v[6:7], v[4:5], v[14:15] op_sel:[0,0,1] op_sel_hi:[1,0,0]
	v_mov_b32_e32 v17, v5
	v_pk_add_f32 v[0:1], v[0:1], v[16:17] neg_lo:[0,1] neg_hi:[0,1]
	ds_write_b64 v2, v[0:1]
	s_cbranch_scc0 .LBB140_97
; %bb.98:                               ;   in Loop: Header=BB140_95 Depth=3
	s_add_i32 s24, s10, s12
	s_branch .LBB140_94
.LBB140_99:                             ;   in Loop: Header=BB140_95 Depth=3
                                        ; implicit-def: $vgpr0
                                        ; implicit-def: $sgpr24
	s_cbranch_execz .LBB140_94
; %bb.100:                              ;   in Loop: Header=BB140_95 Depth=3
	s_waitcnt lgkmcnt(0)
	ds_read_b64 v[0:1], v9
	s_mov_b32 s24, s12
	s_branch .LBB140_94
.LBB140_101:
	s_waitcnt lgkmcnt(0)
	; wave barrier
	s_waitcnt lgkmcnt(0)
	s_and_saveexec_b64 s[2:3], s[0:1]
	s_cbranch_execz .LBB140_110
; %bb.102:
	v_lshlrev_b32_e32 v2, 3, v8
	ds_read_b64 v[4:5], v2 offset:512
	v_mad_i64_i32 v[0:1], s[0:1], s13, v8, 0
	v_lshlrev_b64 v[0:1], 3, v[0:1]
	v_mov_b32_e32 v3, s16
	v_add_co_u32_e32 v0, vcc, s15, v0
	v_addc_co_u32_e32 v1, vcc, v3, v1, vcc
	s_cmp_eq_u32 s14, 1
	s_waitcnt lgkmcnt(0)
	global_store_dwordx2 v[0:1], v[4:5], off
	s_cbranch_scc1 .LBB140_110
; %bb.103:
	v_or_b32_e32 v2, 0x200, v2
	ds_read_b64 v[4:5], v2 offset:64
	s_cmp_eq_u32 s14, 2
	s_waitcnt lgkmcnt(0)
	global_store_dwordx2 v[0:1], v[4:5], off offset:8
	s_cbranch_scc1 .LBB140_110
; %bb.104:
	ds_read_b64 v[4:5], v2 offset:128
	s_cmp_eq_u32 s14, 3
	s_waitcnt lgkmcnt(0)
	global_store_dwordx2 v[0:1], v[4:5], off offset:16
	s_cbranch_scc1 .LBB140_110
; %bb.105:
	;; [unrolled: 6-line block ×6, first 2 shown]
	ds_read_b64 v[2:3], v2 offset:448
	s_waitcnt lgkmcnt(0)
	global_store_dwordx2 v[0:1], v[2:3], off offset:56
.LBB140_110:
	s_endpgm
	.section	.rodata,"a",@progbits
	.p2align	6, 0x0
	.amdhsa_kernel _ZL38rocblas_trsm_small_left_device_sharedBILi8ELi8ELb1E19rocblas_complex_numIfES1_PKS1_PS1_Ev13rocblas_fill_18rocblas_operation_17rocblas_diagonal_iiT3_T4_lilT5_lili
		.amdhsa_group_segment_fixed_size 1536
		.amdhsa_private_segment_fixed_size 0
		.amdhsa_kernarg_size 360
		.amdhsa_user_sgpr_count 8
		.amdhsa_user_sgpr_private_segment_buffer 1
		.amdhsa_user_sgpr_dispatch_ptr 1
		.amdhsa_user_sgpr_queue_ptr 0
		.amdhsa_user_sgpr_kernarg_segment_ptr 1
		.amdhsa_user_sgpr_dispatch_id 0
		.amdhsa_user_sgpr_flat_scratch_init 0
		.amdhsa_user_sgpr_kernarg_preload_length 0
		.amdhsa_user_sgpr_kernarg_preload_offset 0
		.amdhsa_user_sgpr_private_segment_size 0
		.amdhsa_uses_dynamic_stack 0
		.amdhsa_system_sgpr_private_segment_wavefront_offset 0
		.amdhsa_system_sgpr_workgroup_id_x 1
		.amdhsa_system_sgpr_workgroup_id_y 0
		.amdhsa_system_sgpr_workgroup_id_z 1
		.amdhsa_system_sgpr_workgroup_info 0
		.amdhsa_system_vgpr_workitem_id 2
		.amdhsa_next_free_vgpr 26
		.amdhsa_next_free_sgpr 45
		.amdhsa_accum_offset 28
		.amdhsa_reserve_vcc 1
		.amdhsa_reserve_flat_scratch 0
		.amdhsa_float_round_mode_32 0
		.amdhsa_float_round_mode_16_64 0
		.amdhsa_float_denorm_mode_32 3
		.amdhsa_float_denorm_mode_16_64 3
		.amdhsa_dx10_clamp 1
		.amdhsa_ieee_mode 1
		.amdhsa_fp16_overflow 0
		.amdhsa_tg_split 0
		.amdhsa_exception_fp_ieee_invalid_op 0
		.amdhsa_exception_fp_denorm_src 0
		.amdhsa_exception_fp_ieee_div_zero 0
		.amdhsa_exception_fp_ieee_overflow 0
		.amdhsa_exception_fp_ieee_underflow 0
		.amdhsa_exception_fp_ieee_inexact 0
		.amdhsa_exception_int_div_zero 0
	.end_amdhsa_kernel
	.section	.text._ZL38rocblas_trsm_small_left_device_sharedBILi8ELi8ELb1E19rocblas_complex_numIfES1_PKS1_PS1_Ev13rocblas_fill_18rocblas_operation_17rocblas_diagonal_iiT3_T4_lilT5_lili,"axG",@progbits,_ZL38rocblas_trsm_small_left_device_sharedBILi8ELi8ELb1E19rocblas_complex_numIfES1_PKS1_PS1_Ev13rocblas_fill_18rocblas_operation_17rocblas_diagonal_iiT3_T4_lilT5_lili,comdat
.Lfunc_end140:
	.size	_ZL38rocblas_trsm_small_left_device_sharedBILi8ELi8ELb1E19rocblas_complex_numIfES1_PKS1_PS1_Ev13rocblas_fill_18rocblas_operation_17rocblas_diagonal_iiT3_T4_lilT5_lili, .Lfunc_end140-_ZL38rocblas_trsm_small_left_device_sharedBILi8ELi8ELb1E19rocblas_complex_numIfES1_PKS1_PS1_Ev13rocblas_fill_18rocblas_operation_17rocblas_diagonal_iiT3_T4_lilT5_lili
                                        ; -- End function
	.section	.AMDGPU.csdata,"",@progbits
; Kernel info:
; codeLenInByte = 4200
; NumSgprs: 49
; NumVgprs: 26
; NumAgprs: 0
; TotalNumVgprs: 26
; ScratchSize: 0
; MemoryBound: 0
; FloatMode: 240
; IeeeMode: 1
; LDSByteSize: 1536 bytes/workgroup (compile time only)
; SGPRBlocks: 6
; VGPRBlocks: 3
; NumSGPRsForWavesPerEU: 49
; NumVGPRsForWavesPerEU: 26
; AccumOffset: 28
; Occupancy: 8
; WaveLimiterHint : 0
; COMPUTE_PGM_RSRC2:SCRATCH_EN: 0
; COMPUTE_PGM_RSRC2:USER_SGPR: 8
; COMPUTE_PGM_RSRC2:TRAP_HANDLER: 0
; COMPUTE_PGM_RSRC2:TGID_X_EN: 1
; COMPUTE_PGM_RSRC2:TGID_Y_EN: 0
; COMPUTE_PGM_RSRC2:TGID_Z_EN: 1
; COMPUTE_PGM_RSRC2:TIDIG_COMP_CNT: 2
; COMPUTE_PGM_RSRC3_GFX90A:ACCUM_OFFSET: 6
; COMPUTE_PGM_RSRC3_GFX90A:TG_SPLIT: 0
	.section	.text._ZL30rocblas_trsm_small_left_deviceILi8ELi8ELb1E19rocblas_complex_numIfES1_PKS1_PS1_Ev13rocblas_fill_18rocblas_operation_17rocblas_diagonal_iiT3_T4_lilT5_lili,"axG",@progbits,_ZL30rocblas_trsm_small_left_deviceILi8ELi8ELb1E19rocblas_complex_numIfES1_PKS1_PS1_Ev13rocblas_fill_18rocblas_operation_17rocblas_diagonal_iiT3_T4_lilT5_lili,comdat
	.globl	_ZL30rocblas_trsm_small_left_deviceILi8ELi8ELb1E19rocblas_complex_numIfES1_PKS1_PS1_Ev13rocblas_fill_18rocblas_operation_17rocblas_diagonal_iiT3_T4_lilT5_lili ; -- Begin function _ZL30rocblas_trsm_small_left_deviceILi8ELi8ELb1E19rocblas_complex_numIfES1_PKS1_PS1_Ev13rocblas_fill_18rocblas_operation_17rocblas_diagonal_iiT3_T4_lilT5_lili
	.p2align	8
	.type	_ZL30rocblas_trsm_small_left_deviceILi8ELi8ELb1E19rocblas_complex_numIfES1_PKS1_PS1_Ev13rocblas_fill_18rocblas_operation_17rocblas_diagonal_iiT3_T4_lilT5_lili,@function
_ZL30rocblas_trsm_small_left_deviceILi8ELi8ELb1E19rocblas_complex_numIfES1_PKS1_PS1_Ev13rocblas_fill_18rocblas_operation_17rocblas_diagonal_iiT3_T4_lilT5_lili: ; @_ZL30rocblas_trsm_small_left_deviceILi8ELi8ELb1E19rocblas_complex_numIfES1_PKS1_PS1_Ev13rocblas_fill_18rocblas_operation_17rocblas_diagonal_iiT3_T4_lilT5_lili
; %bb.0:
	s_load_dwordx4 s[16:19], s[6:7], 0x4
	s_load_dwordx2 s[10:11], s[6:7], 0x14
	s_load_dwordx4 s[12:15], s[6:7], 0x38
	s_load_dwordx2 s[24:25], s[6:7], 0x48
	s_load_dword s41, s[6:7], 0x68
	v_and_b32_e32 v1, 0x3ff, v0
	s_waitcnt lgkmcnt(0)
	s_min_i32 s33, s18, 8
	s_mov_b32 s42, 0
	s_add_i32 s40, s33, -1
	v_cmp_gt_i32_e32 vcc, s33, v1
	s_and_saveexec_b64 s[26:27], vcc
	s_cbranch_execz .LBB141_35
; %bb.1:
	s_load_dword s28, s[6:7], 0x30
	s_load_dwordx4 s[20:23], s[6:7], 0x20
	s_mul_i32 s0, s9, s13
	s_mul_hi_u32 s1, s9, s12
	s_mul_i32 s12, s9, s12
	s_waitcnt lgkmcnt(0)
	s_ashr_i32 s29, s28, 31
	s_cmpk_lg_i32 s16, 0x71
	s_cselect_b64 s[30:31], -1, 0
	s_add_i32 s13, s1, s0
	v_cndmask_b32_e64 v2, 0, 1, s[30:31]
	s_cmp_lt_u32 s40, 3
	v_lshlrev_b32_e32 v8, 3, v1
	v_cmp_ne_u32_e64 s[0:1], 1, v2
	s_cbranch_scc1 .LBB141_20
; %bb.2:
	s_lshl_b64 s[2:3], s[12:13], 3
	s_add_u32 s18, s20, s2
	s_addc_u32 s34, s21, s3
	s_lshl_b64 s[2:3], s[22:23], 3
	s_add_u32 s2, s18, s2
	s_addc_u32 s3, s34, s3
	v_mov_b32_e32 v3, s3
	v_add_co_u32_e32 v2, vcc, s2, v8
	s_mul_hi_i32 s2, s28, 24
	s_lshl_b64 s[34:35], s[28:29], 5
	s_lshl_b64 s[36:37], s[28:29], 4
	;; [unrolled: 1-line block ×3, first 2 shown]
	v_addc_co_u32_e32 v3, vcc, 0, v3, vcc
	s_and_b32 s42, s33, -4
	s_mul_i32 s18, s28, 24
	s_mov_b32 s43, 0
	v_mov_b32_e32 v9, s39
	v_mov_b32_e32 v10, s37
	;; [unrolled: 1-line block ×5, first 2 shown]
	s_branch .LBB141_4
.LBB141_3:                              ;   in Loop: Header=BB141_4 Depth=1
	global_load_dword v4, v[6:7], off
	s_add_i32 s43, s43, 4
	v_add_co_u32_e32 v2, vcc, s34, v2
	v_addc_co_u32_e32 v3, vcc, v3, v12, vcc
	s_cmp_eq_u32 s42, s43
	s_waitcnt vmcnt(0)
	ds_write_b64 v13, v[4:5] offset:192
	v_add_u32_e32 v13, 0x100, v13
	s_cbranch_scc1 .LBB141_20
.LBB141_4:                              ; =>This Inner Loop Header: Depth=1
	s_and_b64 vcc, exec, s[30:31]
	s_cbranch_vccz .LBB141_6
; %bb.5:                                ;   in Loop: Header=BB141_4 Depth=1
	global_load_dword v5, v[2:3], off offset:4
	s_cbranch_execz .LBB141_7
	s_branch .LBB141_8
.LBB141_6:                              ;   in Loop: Header=BB141_4 Depth=1
                                        ; implicit-def: $vgpr5
.LBB141_7:                              ;   in Loop: Header=BB141_4 Depth=1
	global_load_dword v4, v[2:3], off offset:4
	s_waitcnt vmcnt(0)
	v_xor_b32_e32 v5, 0x80000000, v4
.LBB141_8:                              ;   in Loop: Header=BB141_4 Depth=1
	global_load_dword v4, v[2:3], off
	v_add_co_u32_e64 v6, s[2:3], s38, v2
	s_and_b64 vcc, exec, s[0:1]
	v_addc_co_u32_e64 v7, s[2:3], v3, v9, s[2:3]
	s_waitcnt vmcnt(0)
	ds_write_b64 v13, v[4:5]
	s_cbranch_vccnz .LBB141_10
; %bb.9:                                ;   in Loop: Header=BB141_4 Depth=1
	global_load_dword v5, v[6:7], off offset:4
	s_cbranch_execz .LBB141_11
	s_branch .LBB141_12
.LBB141_10:                             ;   in Loop: Header=BB141_4 Depth=1
                                        ; implicit-def: $vgpr5
.LBB141_11:                             ;   in Loop: Header=BB141_4 Depth=1
	global_load_dword v4, v[6:7], off offset:4
	s_waitcnt vmcnt(0)
	v_xor_b32_e32 v5, 0x80000000, v4
.LBB141_12:                             ;   in Loop: Header=BB141_4 Depth=1
	global_load_dword v4, v[6:7], off
	v_add_co_u32_e64 v6, s[2:3], s36, v2
	s_and_b64 vcc, exec, s[0:1]
	v_addc_co_u32_e64 v7, s[2:3], v3, v10, s[2:3]
	s_waitcnt vmcnt(0)
	ds_write_b64 v13, v[4:5] offset:64
	s_cbranch_vccnz .LBB141_14
; %bb.13:                               ;   in Loop: Header=BB141_4 Depth=1
	global_load_dword v5, v[6:7], off offset:4
	s_cbranch_execz .LBB141_15
	s_branch .LBB141_16
.LBB141_14:                             ;   in Loop: Header=BB141_4 Depth=1
                                        ; implicit-def: $vgpr5
.LBB141_15:                             ;   in Loop: Header=BB141_4 Depth=1
	global_load_dword v4, v[6:7], off offset:4
	s_waitcnt vmcnt(0)
	v_xor_b32_e32 v5, 0x80000000, v4
.LBB141_16:                             ;   in Loop: Header=BB141_4 Depth=1
	global_load_dword v4, v[6:7], off
	v_add_co_u32_e64 v6, s[2:3], s18, v2
	s_and_b64 vcc, exec, s[0:1]
	v_addc_co_u32_e64 v7, s[2:3], v3, v11, s[2:3]
	s_waitcnt vmcnt(0)
	ds_write_b64 v13, v[4:5] offset:128
	s_cbranch_vccnz .LBB141_18
; %bb.17:                               ;   in Loop: Header=BB141_4 Depth=1
	global_load_dword v5, v[6:7], off offset:4
	s_cbranch_execnz .LBB141_3
	s_branch .LBB141_19
.LBB141_18:                             ;   in Loop: Header=BB141_4 Depth=1
                                        ; implicit-def: $vgpr5
.LBB141_19:                             ;   in Loop: Header=BB141_4 Depth=1
	global_load_dword v4, v[6:7], off offset:4
	s_waitcnt vmcnt(0)
	v_xor_b32_e32 v5, 0x80000000, v4
	s_branch .LBB141_3
.LBB141_20:
	s_and_b32 s18, s33, 3
	s_cmp_eq_u32 s18, 0
	s_cbranch_scc1 .LBB141_27
; %bb.21:
	s_lshl_b64 s[2:3], s[12:13], 3
	s_mul_i32 s12, s29, s42
	s_mul_hi_u32 s13, s28, s42
	s_add_i32 s13, s13, s12
	s_mul_i32 s12, s28, s42
	s_lshl_b64 s[12:13], s[12:13], 3
	s_add_u32 s12, s2, s12
	s_addc_u32 s13, s3, s13
	s_lshl_b64 s[2:3], s[22:23], 3
	s_add_u32 s2, s12, s2
	s_addc_u32 s3, s13, s3
	s_add_u32 s2, s20, s2
	s_addc_u32 s3, s21, s3
	v_mov_b32_e32 v2, s3
	v_add_co_u32_e32 v3, vcc, s2, v8
	v_addc_co_u32_e32 v4, vcc, 0, v2, vcc
	v_add_co_u32_e32 v2, vcc, 4, v3
	s_lshl_b64 s[2:3], s[28:29], 3
	v_lshl_or_b32 v6, s42, 6, v8
	v_addc_co_u32_e32 v3, vcc, 0, v4, vcc
	v_mov_b32_e32 v7, s3
	s_branch .LBB141_23
.LBB141_22:                             ;   in Loop: Header=BB141_23 Depth=1
	global_load_dword v4, v[2:3], off offset:-4
	s_add_i32 s18, s18, -1
	v_add_co_u32_e32 v2, vcc, s2, v2
	s_cmp_lg_u32 s18, 0
	v_addc_co_u32_e32 v3, vcc, v3, v7, vcc
	s_waitcnt vmcnt(0)
	ds_write_b64 v6, v[4:5]
	v_add_u32_e32 v6, 64, v6
	s_cbranch_scc0 .LBB141_27
.LBB141_23:                             ; =>This Inner Loop Header: Depth=1
	s_and_b64 vcc, exec, s[0:1]
	s_cbranch_vccnz .LBB141_25
; %bb.24:                               ;   in Loop: Header=BB141_23 Depth=1
	global_load_dword v5, v[2:3], off
	s_cbranch_execnz .LBB141_22
	s_branch .LBB141_26
.LBB141_25:                             ;   in Loop: Header=BB141_23 Depth=1
                                        ; implicit-def: $vgpr5
.LBB141_26:                             ;   in Loop: Header=BB141_23 Depth=1
	global_load_dword v4, v[2:3], off
	s_waitcnt vmcnt(0)
	v_xor_b32_e32 v5, 0x80000000, v4
	s_branch .LBB141_22
.LBB141_27:
	v_mul_u32_u24_e32 v2, 9, v1
	s_cmpk_lg_i32 s17, 0x84
	v_lshlrev_b32_e32 v6, 3, v2
	s_mov_b64 s[0:1], -1
	s_cbranch_scc0 .LBB141_33
; %bb.28:
	ds_read_b64 v[2:3], v6
	s_mov_b32 s0, 0
	s_waitcnt lgkmcnt(0)
	v_cmp_gt_f32_e32 vcc, 0, v3
	v_cndmask_b32_e64 v4, v3, -v3, vcc
	v_cmp_gt_f32_e32 vcc, 0, v2
	v_cndmask_b32_e64 v5, v2, -v2, vcc
	v_cmp_ngt_f32_e32 vcc, v5, v4
                                        ; implicit-def: $vgpr4_vgpr5
	s_and_saveexec_b64 s[2:3], vcc
	s_xor_b64 s[2:3], exec, s[2:3]
	s_cbranch_execz .LBB141_30
; %bb.29:
	v_div_scale_f32 v4, s[12:13], v3, v3, v2
	v_rcp_f32_e32 v5, v4
	v_div_scale_f32 v7, vcc, v2, v3, v2
	s_mov_b32 s1, -1.0
	v_fma_f32 v8, -v4, v5, 1.0
	v_fmac_f32_e32 v5, v8, v5
	v_mul_f32_e32 v8, v7, v5
	v_fma_f32 v9, -v4, v8, v7
	v_fmac_f32_e32 v8, v9, v5
	v_fma_f32 v4, -v4, v8, v7
	v_div_fmas_f32 v4, v4, v5, v8
	v_div_fixup_f32 v4, v4, v3, v2
	v_fmac_f32_e32 v3, v2, v4
	v_div_scale_f32 v2, s[12:13], v3, v3, 1.0
	v_rcp_f32_e32 v5, v2
	v_fma_f32 v7, -v2, v5, 1.0
	v_fmac_f32_e32 v5, v7, v5
	v_div_scale_f32 v7, vcc, 1.0, v3, 1.0
	v_mul_f32_e32 v8, v7, v5
	v_fma_f32 v9, -v2, v8, v7
	v_fmac_f32_e32 v8, v9, v5
	v_fma_f32 v2, -v2, v8, v7
	v_div_fmas_f32 v2, v2, v5, v8
	v_mul_f32_e32 v5, 0, v4
	v_div_fixup_f32 v2, v2, v3, 1.0
	v_pk_add_f32 v[4:5], v[4:5], s[0:1]
	v_pk_mul_f32 v[4:5], v[4:5], v[2:3] op_sel_hi:[1,0]
                                        ; implicit-def: $vgpr2_vgpr3
.LBB141_30:
	s_andn2_saveexec_b64 s[0:1], s[2:3]
	s_cbranch_execz .LBB141_32
; %bb.31:
	v_div_scale_f32 v4, s[2:3], v2, v2, v3
	v_rcp_f32_e32 v5, v4
	v_div_scale_f32 v7, vcc, v3, v2, v3
	v_fma_f32 v8, -v4, v5, 1.0
	v_fmac_f32_e32 v5, v8, v5
	v_mul_f32_e32 v8, v7, v5
	v_fma_f32 v9, -v4, v8, v7
	v_fmac_f32_e32 v8, v9, v5
	v_fma_f32 v4, -v4, v8, v7
	v_div_fmas_f32 v4, v4, v5, v8
	v_div_fixup_f32 v5, v4, v2, v3
	v_fmac_f32_e32 v2, v3, v5
	v_div_scale_f32 v3, s[2:3], v2, v2, 1.0
	v_rcp_f32_e32 v4, v3
	s_mov_b32 s2, 1.0
	s_mov_b32 s3, 0
	v_fma_f32 v7, -v3, v4, 1.0
	v_fmac_f32_e32 v4, v7, v4
	v_div_scale_f32 v7, vcc, 1.0, v2, 1.0
	v_mul_f32_e32 v8, v7, v4
	v_fma_f32 v9, -v3, v8, v7
	v_fmac_f32_e32 v8, v9, v4
	v_fma_f32 v3, -v3, v8, v7
	v_div_fmas_f32 v3, v3, v4, v8
	v_mul_f32_e32 v4, 0, v5
	v_pk_add_f32 v[8:9], v[4:5], s[2:3]
	v_pk_add_f32 v[4:5], v[4:5], s[2:3] neg_lo:[1,0] neg_hi:[1,0]
	v_div_fixup_f32 v2, v3, v2, 1.0
	v_mov_b32_e32 v9, v5
	v_pk_mul_f32 v[4:5], v[8:9], v[2:3] op_sel_hi:[1,0]
.LBB141_32:
	s_or_b64 exec, exec, s[0:1]
	s_mov_b64 s[0:1], 0
	ds_write_b64 v6, v[4:5]
.LBB141_33:
	s_and_b64 vcc, exec, s[0:1]
	s_cbranch_vccz .LBB141_35
; %bb.34:
	v_mov_b32_e32 v2, 1.0
	v_mov_b32_e32 v3, 0
	ds_write_b64 v6, v[2:3]
.LBB141_35:
	s_or_b64 exec, exec, s[26:27]
	s_lshl_b32 s0, s8, 3
	s_add_i32 s41, s41, -1
	s_sub_i32 s1, s19, s0
	s_cmp_ge_u32 s8, s41
	s_cselect_b32 s1, s1, 8
	v_cmp_gt_i32_e32 vcc, s1, v1
	s_waitcnt lgkmcnt(0)
	; wave barrier
	s_waitcnt lgkmcnt(0)
	s_and_saveexec_b64 s[2:3], vcc
	s_cbranch_execz .LBB141_103
; %bb.36:
	s_load_dwordx2 s[2:3], s[4:5], 0x4
	s_load_dword s1, s[6:7], 0x50
	s_load_dwordx2 s[12:13], s[6:7], 0x58
	v_bfe_u32 v2, v0, 10, 10
	v_bfe_u32 v0, v0, 20, 10
	s_waitcnt lgkmcnt(0)
	s_lshr_b32 s2, s2, 16
	s_mul_i32 s2, s2, s3
	v_mul_u32_u24_e32 v2, s3, v2
	v_mul_u32_u24_e32 v3, s2, v1
	s_mul_i32 s2, s9, s13
	s_mul_hi_u32 s3, s9, s12
	s_add_i32 s3, s3, s2
	s_mul_i32 s2, s9, s12
	s_lshl_b64 s[2:3], s[2:3], 3
	s_add_u32 s6, s14, s2
	v_add3_u32 v13, v3, v2, v0
	s_addc_u32 s7, s15, s3
	s_lshl_b64 s[4:5], s[24:25], 3
	v_add_u32_e32 v0, s0, v1
	s_add_u32 s6, s6, s4
	v_mad_i64_i32 v[0:1], s[0:1], s1, v0, 0
	s_addc_u32 s7, s7, s5
	v_lshlrev_b64 v[0:1], 3, v[0:1]
	v_mov_b32_e32 v2, 0x200
	v_mov_b32_e32 v3, s7
	v_add_co_u32_e32 v11, vcc, s6, v0
	v_lshl_add_u32 v10, v13, 6, v2
	v_addc_co_u32_e32 v12, vcc, v3, v1, vcc
	s_cmpk_eq_i32 s16, 0x6f
	s_mov_b64 s[0:1], -1
	s_cbranch_scc1 .LBB141_70
; %bb.37:
	s_add_u32 s0, s14, s4
	s_addc_u32 s1, s15, s5
	s_add_u32 s0, s0, s2
	s_addc_u32 s1, s1, s3
	v_mov_b32_e32 v3, s1
	v_add_co_u32_e32 v4, vcc, s0, v0
	v_addc_co_u32_e32 v3, vcc, v3, v1, vcc
	v_add_co_u32_e32 v14, vcc, 4, v4
	s_lshl_b32 s28, s33, 3
	s_mov_b32 s13, 0
	s_mov_b32 s6, s10
	;; [unrolled: 1-line block ×5, first 2 shown]
	v_addc_co_u32_e32 v15, vcc, 0, v3, vcc
	v_lshl_add_u32 v16, v13, 6, v2
	s_add_i32 s28, s28, -8
	s_mov_b32 s16, s13
	s_mov_b32 s18, s40
	s_branch .LBB141_39
.LBB141_38:                             ;   in Loop: Header=BB141_39 Depth=1
	s_cmp_lt_i32 s18, 0
	s_cselect_b64 s[0:1], -1, 0
	s_add_i32 s16, s16, 1
	s_cmp_eq_u32 s16, 3
	s_cselect_b64 s[20:21], -1, 0
	s_or_b64 s[0:1], s[0:1], s[20:21]
	s_andn2_b64 vcc, exec, s[0:1]
	s_cbranch_vccz .LBB141_69
.LBB141_39:                             ; =>This Loop Header: Depth=1
                                        ;     Child Loop BB141_42 Depth 2
                                        ;       Child Loop BB141_44 Depth 3
                                        ;       Child Loop BB141_48 Depth 3
	;; [unrolled: 1-line block ×3, first 2 shown]
                                        ;         Child Loop BB141_54 Depth 4
                                        ;         Child Loop BB141_60 Depth 4
                                        ;       Child Loop BB141_63 Depth 3
                                        ;         Child Loop BB141_65 Depth 4
	s_mov_b32 s17, s13
	s_lshl_b64 s[0:1], s[16:17], 2
	s_getpc_b64 s[20:21]
	s_add_u32 s20, s20, __const._ZL30rocblas_trsm_small_left_deviceILi8ELi8ELb1E19rocblas_complex_numIfES1_PKS1_PS1_Ev13rocblas_fill_18rocblas_operation_17rocblas_diagonal_iiT3_T4_lilT5_lili.step_sizes@rel32@lo+4
	s_addc_u32 s21, s21, __const._ZL30rocblas_trsm_small_left_deviceILi8ELi8ELb1E19rocblas_complex_numIfES1_PKS1_PS1_Ev13rocblas_fill_18rocblas_operation_17rocblas_diagonal_iiT3_T4_lilT5_lili.step_sizes@rel32@hi+12
	s_add_u32 s0, s0, s20
	s_addc_u32 s1, s1, s21
	s_load_dword s17, s[0:1], 0x0
	s_waitcnt lgkmcnt(0)
	s_add_i32 s29, s17, -1
	s_cmp_lt_i32 s18, s29
	s_cbranch_scc1 .LBB141_38
; %bb.40:                               ;   in Loop: Header=BB141_39 Depth=1
	s_max_i32 s30, s17, 1
	s_cmp_lg_u32 s16, 2
	s_cselect_b64 s[20:21], -1, 0
	s_and_b32 s31, s30, 0x7ffffffe
	s_cmp_lg_u32 s30, s31
	s_cselect_b64 s[22:23], -1, 0
	s_lshl_b32 s0, s18, 6
	s_add_i32 s34, s28, s0
	s_lshl_b32 s0, s17, 6
	s_sub_i32 s35, 0, s0
	s_mul_i32 s36, s18, 0x48
	s_mul_i32 s37, s17, 0xffffffb8
	s_branch .LBB141_42
.LBB141_41:                             ;   in Loop: Header=BB141_42 Depth=2
	s_sub_i32 s18, s18, s17
	s_add_i32 s34, s34, s35
	s_add_i32 s36, s36, s37
	s_cmp_lt_i32 s18, s29
	s_cbranch_scc1 .LBB141_38
.LBB141_42:                             ;   Parent Loop BB141_39 Depth=1
                                        ; =>  This Loop Header: Depth=2
                                        ;       Child Loop BB141_44 Depth 3
                                        ;       Child Loop BB141_48 Depth 3
	;; [unrolled: 1-line block ×3, first 2 shown]
                                        ;         Child Loop BB141_54 Depth 4
                                        ;         Child Loop BB141_60 Depth 4
                                        ;       Child Loop BB141_63 Depth 3
                                        ;         Child Loop BB141_65 Depth 4
	s_and_b64 vcc, exec, s[20:21]
	s_cbranch_vccz .LBB141_46
; %bb.43:                               ;   in Loop: Header=BB141_42 Depth=2
	s_mov_b32 s19, s18
	s_mov_b32 s24, 1
	;; [unrolled: 1-line block ×4, first 2 shown]
	v_mov_b32_e32 v2, v10
.LBB141_44:                             ;   Parent Loop BB141_39 Depth=1
                                        ;     Parent Loop BB141_42 Depth=2
                                        ; =>    This Inner Loop Header: Depth=3
	s_sub_i32 s0, s18, s25
	s_sub_i32 s38, s19, s24
	s_ashr_i32 s1, s0, 31
	s_ashr_i32 s39, s38, 31
	s_lshl_b64 s[0:1], s[0:1], 3
	s_lshl_b64 s[38:39], s[38:39], 3
	v_mov_b32_e32 v3, s1
	v_add_co_u32_e64 v6, s[0:1], s0, v11
	v_mov_b32_e32 v5, s39
	v_add_co_u32_e32 v4, vcc, s38, v11
	v_addc_co_u32_e64 v7, s[0:1], v12, v3, s[0:1]
	v_addc_co_u32_e32 v5, vcc, v12, v5, vcc
	global_load_dwordx2 v[8:9], v[6:7], off
	global_load_dwordx2 v[18:19], v[4:5], off
	s_add_i32 s25, s25, 2
	s_add_i32 s24, s24, 2
	s_add_i32 s26, s26, -2
	s_mov_b32 s12, s31
	s_mov_b64 s[0:1], s[22:23]
	s_cmp_lg_u32 s26, 0
	s_waitcnt vmcnt(1)
	v_mov_b32_e32 v4, v8
	s_waitcnt vmcnt(0)
	v_mov_b32_e32 v5, v18
	v_mov_b32_e32 v18, v9
	v_pk_mul_f32 v[6:7], v[18:19], s[8:9]
	v_pk_mul_f32 v[8:9], v[18:19], s[6:7]
	v_pk_fma_f32 v[18:19], v[4:5], s[6:7], v[6:7] neg_lo:[0,0,1] neg_hi:[0,0,1]
	v_pk_fma_f32 v[6:7], v[4:5], s[8:9], v[8:9]
	v_mov_b32_e32 v4, v18
	v_mov_b32_e32 v5, v6
	;; [unrolled: 1-line block ×3, first 2 shown]
	ds_write_b128 v2, v[4:7]
	v_add_u32_e32 v2, 16, v2
	s_cbranch_scc1 .LBB141_44
; %bb.45:                               ;   in Loop: Header=BB141_42 Depth=2
	s_ashr_i32 s19, s18, 31
	s_and_b64 vcc, exec, s[0:1]
	s_cbranch_vccnz .LBB141_47
	s_branch .LBB141_49
.LBB141_46:                             ;   in Loop: Header=BB141_42 Depth=2
	s_mov_b32 s12, 0
	s_ashr_i32 s19, s18, 31
	s_cbranch_execz .LBB141_49
.LBB141_47:                             ;   in Loop: Header=BB141_42 Depth=2
	s_lshl_b64 s[24:25], s[18:19], 3
	s_sub_i32 s0, s30, s12
	s_lshl_b64 s[26:27], s[12:13], 3
	s_sub_u32 s1, s24, s26
	s_subb_u32 s24, s25, s27
	v_mov_b32_e32 v3, s24
	v_add_co_u32_e32 v2, vcc, s1, v14
	v_addc_co_u32_e32 v3, vcc, v15, v3, vcc
	v_lshl_add_u32 v4, s12, 3, v16
.LBB141_48:                             ;   Parent Loop BB141_39 Depth=1
                                        ;     Parent Loop BB141_42 Depth=2
                                        ; =>    This Inner Loop Header: Depth=3
	global_load_dwordx2 v[6:7], v[2:3], off offset:-4
	s_add_i32 s0, s0, -1
	v_add_co_u32_e32 v2, vcc, -8, v2
	v_addc_co_u32_e32 v3, vcc, -1, v3, vcc
	s_cmp_eq_u32 s0, 0
	s_waitcnt vmcnt(0)
	v_mul_f32_e32 v5, s11, v7
	v_mul_f32_e32 v9, s10, v7
	v_fma_f32 v8, v6, s10, -v5
	v_fmac_f32_e32 v9, s11, v6
	ds_write_b64 v4, v[8:9]
	v_add_u32_e32 v4, 8, v4
	s_cbranch_scc0 .LBB141_48
.LBB141_49:                             ;   in Loop: Header=BB141_42 Depth=2
	s_cmp_le_i32 s40, s18
	s_cbranch_scc1 .LBB141_61
; %bb.50:                               ;   in Loop: Header=BB141_42 Depth=2
	s_mov_b32 s12, s18
	s_mov_b32 s38, s18
	s_mov_b32 s39, s34
	s_mov_b32 s0, s40
	s_branch .LBB141_52
.LBB141_51:                             ;   in Loop: Header=BB141_52 Depth=3
	s_add_i32 s0, s0, -1
	s_add_i32 s39, s39, -8
	s_cmp_le_i32 s0, s18
	s_cbranch_scc1 .LBB141_61
.LBB141_52:                             ;   Parent Loop BB141_39 Depth=1
                                        ;     Parent Loop BB141_42 Depth=2
                                        ; =>    This Loop Header: Depth=3
                                        ;         Child Loop BB141_54 Depth 4
                                        ;         Child Loop BB141_60 Depth 4
	s_ashr_i32 s1, s0, 31
	s_lshl_b64 s[24:25], s[0:1], 3
	s_waitcnt vmcnt(0)
	v_mov_b32_e32 v3, s25
	v_add_co_u32_e32 v2, vcc, s24, v11
	v_addc_co_u32_e32 v3, vcc, v12, v3, vcc
	global_load_dwordx2 v[2:3], v[2:3], off
	s_and_b64 vcc, exec, s[20:21]
	s_cbranch_vccz .LBB141_56
; %bb.53:                               ;   in Loop: Header=BB141_52 Depth=3
	s_mov_b32 s1, s0
	s_waitcnt vmcnt(0)
	v_mov_b32_e32 v6, v2
	v_mov_b32_e32 v7, v2
	;; [unrolled: 1-line block ×5, first 2 shown]
	s_mov_b32 s24, 1
	s_mov_b32 s25, 0
	;; [unrolled: 1-line block ×3, first 2 shown]
	v_mov_b32_e32 v5, v10
.LBB141_54:                             ;   Parent Loop BB141_39 Depth=1
                                        ;     Parent Loop BB141_42 Depth=2
                                        ;       Parent Loop BB141_52 Depth=3
                                        ; =>      This Inner Loop Header: Depth=4
	s_sub_i32 s27, s38, s24
	s_sub_i32 s41, s12, s25
	s_lshl_b32 s41, s41, 3
	s_lshl_b32 s27, s27, 3
	s_add_i32 s27, s27, s1
	s_add_i32 s41, s41, s0
	s_lshl_b32 s41, s41, 3
	s_lshl_b32 s27, s27, 3
	v_mov_b32_e32 v17, s41
	v_mov_b32_e32 v24, s27
	ds_read_b128 v[18:21], v5
	ds_read_b64 v[22:23], v17
	ds_read_b64 v[24:25], v24
	s_add_i32 s25, s25, 2
	s_add_i32 s24, s24, 2
	s_add_i32 s26, s26, -2
	s_waitcnt lgkmcnt(2)
	v_mov_b32_e32 v27, v20
	v_mov_b32_e32 v20, v19
	s_waitcnt lgkmcnt(0)
	v_mov_b32_e32 v19, v24
	v_mov_b32_e32 v24, v23
	;; [unrolled: 1-line block ×4, first 2 shown]
	v_pk_mul_f32 v[22:23], v[24:25], v[8:9]
	v_pk_mul_f32 v[24:25], v[24:25], v[6:7]
	v_pk_fma_f32 v[22:23], v[18:19], v[6:7], v[22:23] neg_lo:[0,0,1] neg_hi:[0,0,1]
	v_pk_fma_f32 v[18:19], v[18:19], v[8:9], v[24:25]
	v_pk_add_f32 v[22:23], v[26:27], v[22:23] neg_lo:[0,1] neg_hi:[0,1]
	v_pk_add_f32 v[20:21], v[20:21], v[18:19] neg_lo:[0,1] neg_hi:[0,1]
	v_mov_b32_e32 v18, v22
	v_mov_b32_e32 v19, v20
	;; [unrolled: 1-line block ×3, first 2 shown]
	s_cmp_lg_u32 s26, 0
	ds_write_b128 v5, v[18:21]
	v_add_u32_e32 v5, 16, v5
	s_cbranch_scc1 .LBB141_54
; %bb.55:                               ;   in Loop: Header=BB141_52 Depth=3
	s_mov_b64 s[24:25], s[22:23]
	s_mov_b32 s26, s31
	s_branch .LBB141_58
.LBB141_56:                             ;   in Loop: Header=BB141_52 Depth=3
	s_mov_b64 s[24:25], 0
                                        ; implicit-def: $vgpr4_vgpr5
	s_mov_b32 s26, s31
	s_cbranch_execz .LBB141_58
; %bb.57:                               ;   in Loop: Header=BB141_52 Depth=3
	s_waitcnt vmcnt(0)
	v_mov_b32_e32 v4, v3
	s_mov_b64 s[24:25], -1
	s_mov_b32 s26, 0
.LBB141_58:                             ;   in Loop: Header=BB141_52 Depth=3
	s_andn2_b64 vcc, exec, s[24:25]
	s_cbranch_vccnz .LBB141_51
; %bb.59:                               ;   in Loop: Header=BB141_52 Depth=3
	s_lshl_b32 s24, s26, 6
	s_waitcnt vmcnt(0)
	v_mov_b32_e32 v5, v3
	v_mov_b32_e32 v3, v2
	s_sub_i32 s1, s30, s26
	s_sub_i32 s24, s39, s24
	v_lshl_add_u32 v6, s26, 3, v16
.LBB141_60:                             ;   Parent Loop BB141_39 Depth=1
                                        ;     Parent Loop BB141_42 Depth=2
                                        ;       Parent Loop BB141_52 Depth=3
                                        ; =>      This Inner Loop Header: Depth=4
	v_mov_b32_e32 v7, s24
	ds_read_b64 v[18:19], v7
	ds_read_b64 v[8:9], v6
	s_add_i32 s1, s1, -1
	s_sub_i32 s24, s24, 64
	s_cmp_eq_u32 s1, 0
	s_waitcnt lgkmcnt(1)
	v_pk_mul_f32 v[20:21], v[18:19], v[4:5]
	v_pk_fma_f32 v[22:23], v[18:19], v[2:3], v[20:21] op_sel:[0,0,1] op_sel_hi:[1,1,0] neg_lo:[0,0,1] neg_hi:[0,0,1]
	v_pk_fma_f32 v[18:19], v[18:19], v[2:3], v[20:21] op_sel:[0,0,1] op_sel_hi:[1,1,0]
	v_mov_b32_e32 v23, v19
	s_waitcnt lgkmcnt(0)
	v_pk_add_f32 v[8:9], v[8:9], v[22:23] neg_lo:[0,1] neg_hi:[0,1]
	ds_write_b64 v6, v[8:9]
	v_add_u32_e32 v6, 8, v6
	s_cbranch_scc0 .LBB141_60
	s_branch .LBB141_51
.LBB141_61:                             ;   in Loop: Header=BB141_42 Depth=2
	s_mov_b32 s12, 0
	s_mov_b32 s38, s36
	s_waitcnt vmcnt(0)
	s_branch .LBB141_63
.LBB141_62:                             ;   in Loop: Header=BB141_63 Depth=3
	s_mulk_i32 s24, 0x48
	v_mov_b32_e32 v5, s24
	ds_read_b64 v[6:7], v5
	s_lshl_b64 s[0:1], s[0:1], 3
	v_mov_b32_e32 v5, s1
	s_add_i32 s12, s12, 1
	s_sub_i32 s38, s38, 64
	s_waitcnt lgkmcnt(0)
	v_mul_f32_e32 v8, v7, v3
	v_mul_f32_e32 v9, v6, v3
	v_fma_f32 v8, v6, v2, -v8
	v_fmac_f32_e32 v9, v7, v2
	v_add_co_u32_e32 v2, vcc, s0, v11
	v_addc_co_u32_e32 v3, vcc, v12, v5, vcc
	s_cmp_eq_u32 s12, s30
	ds_write_b64 v4, v[8:9]
	global_store_dwordx2 v[2:3], v[8:9], off
	s_cbranch_scc1 .LBB141_41
.LBB141_63:                             ;   Parent Loop BB141_39 Depth=1
                                        ;     Parent Loop BB141_42 Depth=2
                                        ; =>    This Loop Header: Depth=3
                                        ;         Child Loop BB141_65 Depth 4
	s_cmp_lg_u32 s12, 0
	v_lshl_add_u32 v4, s12, 3, v10
	s_cbranch_scc0 .LBB141_67
; %bb.64:                               ;   in Loop: Header=BB141_63 Depth=3
	ds_read_b64 v[2:3], v4
	s_mov_b32 s0, 0
	v_mov_b32_e32 v5, v10
	s_mov_b32 s1, s38
.LBB141_65:                             ;   Parent Loop BB141_39 Depth=1
                                        ;     Parent Loop BB141_42 Depth=2
                                        ;       Parent Loop BB141_63 Depth=3
                                        ; =>      This Inner Loop Header: Depth=4
	v_mov_b32_e32 v8, s1
	ds_read_b64 v[6:7], v5
	ds_read_b64 v[8:9], v8
	s_add_i32 s0, s0, 1
	s_add_i32 s1, s1, -8
	v_add_u32_e32 v5, 8, v5
	s_cmp_ge_u32 s0, s12
	s_waitcnt lgkmcnt(0)
	v_pk_mul_f32 v[18:19], v[8:9], v[6:7] op_sel:[0,1]
	v_pk_fma_f32 v[20:21], v[8:9], v[6:7], v[18:19] op_sel:[0,0,1] op_sel_hi:[1,1,0] neg_lo:[0,0,1] neg_hi:[0,0,1]
	v_pk_fma_f32 v[6:7], v[8:9], v[6:7], v[18:19] op_sel:[0,0,1] op_sel_hi:[1,0,0]
	v_mov_b32_e32 v21, v7
	v_pk_add_f32 v[2:3], v[2:3], v[20:21] neg_lo:[0,1] neg_hi:[0,1]
	ds_write_b64 v4, v[2:3]
	s_cbranch_scc0 .LBB141_65
; %bb.66:                               ;   in Loop: Header=BB141_63 Depth=3
	s_sub_i32 s24, s18, s12
	s_ashr_i32 s25, s24, 31
	s_mov_b64 s[0:1], s[24:25]
	s_branch .LBB141_62
.LBB141_67:                             ;   in Loop: Header=BB141_63 Depth=3
                                        ; implicit-def: $vgpr2
                                        ; implicit-def: $sgpr24
                                        ; implicit-def: $sgpr0_sgpr1
	s_cbranch_execz .LBB141_62
; %bb.68:                               ;   in Loop: Header=BB141_63 Depth=3
	ds_read_b64 v[2:3], v10
	s_mov_b64 s[0:1], s[18:19]
	s_mov_b32 s24, s18
	s_branch .LBB141_62
.LBB141_69:
	s_mov_b64 s[0:1], 0
.LBB141_70:
	s_and_b64 vcc, exec, s[0:1]
	s_cbranch_vccz .LBB141_103
; %bb.71:
	s_add_u32 s0, s14, s4
	s_addc_u32 s1, s15, s5
	s_add_u32 s0, s0, s2
	s_addc_u32 s1, s1, s3
	v_mov_b32_e32 v2, s1
	v_add_co_u32_e32 v0, vcc, s0, v0
	v_addc_co_u32_e32 v1, vcc, v2, v1, vcc
	v_add_co_u32_e32 v8, vcc, 4, v0
	v_mov_b32_e32 v0, 0x200
	s_mov_b32 s3, 0
	s_mov_b32 s6, s10
	;; [unrolled: 1-line block ×5, first 2 shown]
	v_addc_co_u32_e32 v9, vcc, 0, v1, vcc
	v_lshl_add_u32 v13, v13, 6, v0
	s_mov_b32 s18, s3
	s_mov_b32 s4, s3
	s_branch .LBB141_73
.LBB141_72:                             ;   in Loop: Header=BB141_73 Depth=1
	s_cmp_ge_i32 s18, s33
	s_cselect_b64 s[0:1], -1, 0
	s_add_i32 s4, s4, 1
	s_cmp_eq_u32 s4, 3
	s_cselect_b64 s[12:13], -1, 0
	s_or_b64 s[0:1], s[0:1], s[12:13]
	s_and_b64 vcc, exec, s[0:1]
	s_cbranch_vccnz .LBB141_103
.LBB141_73:                             ; =>This Loop Header: Depth=1
                                        ;     Child Loop BB141_76 Depth 2
                                        ;       Child Loop BB141_78 Depth 3
                                        ;       Child Loop BB141_82 Depth 3
	;; [unrolled: 1-line block ×3, first 2 shown]
                                        ;         Child Loop BB141_88 Depth 4
                                        ;         Child Loop BB141_94 Depth 4
                                        ;       Child Loop BB141_97 Depth 3
                                        ;         Child Loop BB141_99 Depth 4
	s_mov_b32 s5, s3
	s_lshl_b64 s[0:1], s[4:5], 2
	s_getpc_b64 s[12:13]
	s_add_u32 s12, s12, __const._ZL30rocblas_trsm_small_left_deviceILi8ELi8ELb1E19rocblas_complex_numIfES1_PKS1_PS1_Ev13rocblas_fill_18rocblas_operation_17rocblas_diagonal_iiT3_T4_lilT5_lili.step_sizes@rel32@lo+4
	s_addc_u32 s13, s13, __const._ZL30rocblas_trsm_small_left_deviceILi8ELi8ELb1E19rocblas_complex_numIfES1_PKS1_PS1_Ev13rocblas_fill_18rocblas_operation_17rocblas_diagonal_iiT3_T4_lilT5_lili.step_sizes@rel32@hi+12
	s_add_u32 s0, s0, s12
	s_addc_u32 s1, s1, s13
	s_load_dword s5, s[0:1], 0x0
	s_waitcnt lgkmcnt(0)
	s_add_i32 s19, s5, -1
	s_add_i32 s0, s19, s18
	s_cmp_ge_i32 s0, s33
	s_cbranch_scc1 .LBB141_72
; %bb.74:                               ;   in Loop: Header=BB141_73 Depth=1
	s_max_i32 s20, s5, 1
	s_cmp_lg_u32 s4, 2
	s_cselect_b64 s[12:13], -1, 0
	s_and_b32 s21, s20, 0x7ffffffe
	s_cmp_lg_u32 s20, s21
	s_cselect_b64 s[14:15], -1, 0
	s_ashr_i32 s22, s18, 31
	s_ashr_i32 s23, s5, 31
	s_mul_i32 s24, s18, 0x48
	s_mul_i32 s25, s5, 0x48
	s_branch .LBB141_76
.LBB141_75:                             ;   in Loop: Header=BB141_76 Depth=2
	s_add_u32 s18, s18, s5
	s_addc_u32 s22, s22, s23
	s_add_i32 s0, s19, s18
	s_add_i32 s24, s24, s25
	s_cmp_ge_i32 s0, s33
	s_cbranch_scc1 .LBB141_72
.LBB141_76:                             ;   Parent Loop BB141_73 Depth=1
                                        ; =>  This Loop Header: Depth=2
                                        ;       Child Loop BB141_78 Depth 3
                                        ;       Child Loop BB141_82 Depth 3
	;; [unrolled: 1-line block ×3, first 2 shown]
                                        ;         Child Loop BB141_88 Depth 4
                                        ;         Child Loop BB141_94 Depth 4
                                        ;       Child Loop BB141_97 Depth 3
                                        ;         Child Loop BB141_99 Depth 4
	s_and_b64 vcc, exec, s[12:13]
	s_cbranch_vccz .LBB141_80
; %bb.77:                               ;   in Loop: Header=BB141_76 Depth=2
	s_mov_b32 s2, s18
	s_mov_b32 s16, s18
	;; [unrolled: 1-line block ×5, first 2 shown]
	v_mov_b32_e32 v0, v10
.LBB141_78:                             ;   Parent Loop BB141_73 Depth=1
                                        ;     Parent Loop BB141_76 Depth=2
                                        ; =>    This Inner Loop Header: Depth=3
	s_add_i32 s0, s26, s2
	s_add_i32 s28, s17, s16
	s_ashr_i32 s1, s0, 31
	s_ashr_i32 s29, s28, 31
	s_lshl_b64 s[0:1], s[0:1], 3
	s_lshl_b64 s[28:29], s[28:29], 3
	v_mov_b32_e32 v1, s1
	v_add_co_u32_e64 v4, s[0:1], s0, v11
	v_mov_b32_e32 v3, s29
	v_add_co_u32_e32 v2, vcc, s28, v11
	v_addc_co_u32_e64 v5, s[0:1], v12, v1, s[0:1]
	v_addc_co_u32_e32 v3, vcc, v12, v3, vcc
	global_load_dwordx2 v[6:7], v[4:5], off
	global_load_dwordx2 v[14:15], v[2:3], off
	s_add_i32 s26, s26, 2
	s_add_i32 s17, s17, 2
	s_add_i32 s27, s27, -2
	s_mov_b32 s28, s21
	s_mov_b64 s[0:1], s[14:15]
	s_cmp_lg_u32 s27, 0
	s_waitcnt vmcnt(1)
	v_mov_b32_e32 v2, v6
	s_waitcnt vmcnt(0)
	v_mov_b32_e32 v3, v14
	v_mov_b32_e32 v14, v7
	v_pk_mul_f32 v[4:5], v[14:15], s[8:9]
	v_pk_mul_f32 v[6:7], v[14:15], s[6:7]
	v_pk_fma_f32 v[14:15], v[2:3], s[6:7], v[4:5] neg_lo:[0,0,1] neg_hi:[0,0,1]
	v_pk_fma_f32 v[4:5], v[2:3], s[8:9], v[6:7]
	v_mov_b32_e32 v2, v14
	v_mov_b32_e32 v3, v4
	;; [unrolled: 1-line block ×3, first 2 shown]
	ds_write_b128 v0, v[2:5]
	v_add_u32_e32 v0, 16, v0
	s_cbranch_scc1 .LBB141_78
; %bb.79:                               ;   in Loop: Header=BB141_76 Depth=2
	s_and_b64 vcc, exec, s[0:1]
	s_cbranch_vccnz .LBB141_81
	s_branch .LBB141_83
.LBB141_80:                             ;   in Loop: Header=BB141_76 Depth=2
	s_mov_b32 s28, 0
	s_cbranch_execz .LBB141_83
.LBB141_81:                             ;   in Loop: Header=BB141_76 Depth=2
	s_sub_i32 s0, s20, s28
	s_add_u32 s16, s18, s28
	s_addc_u32 s17, s22, 0
	s_lshl_b64 s[16:17], s[16:17], 3
	v_mov_b32_e32 v1, s17
	v_add_co_u32_e32 v0, vcc, s16, v8
	v_addc_co_u32_e32 v1, vcc, v9, v1, vcc
	v_lshl_add_u32 v2, s28, 3, v13
.LBB141_82:                             ;   Parent Loop BB141_73 Depth=1
                                        ;     Parent Loop BB141_76 Depth=2
                                        ; =>    This Inner Loop Header: Depth=3
	global_load_dwordx2 v[4:5], v[0:1], off offset:-4
	s_add_i32 s0, s0, -1
	v_add_co_u32_e32 v0, vcc, 8, v0
	v_addc_co_u32_e32 v1, vcc, 0, v1, vcc
	s_cmp_eq_u32 s0, 0
	s_waitcnt vmcnt(0)
	v_mul_f32_e32 v3, s11, v5
	v_mul_f32_e32 v7, s10, v5
	v_fma_f32 v6, v4, s10, -v3
	v_fmac_f32_e32 v7, s11, v4
	ds_write_b64 v2, v[6:7]
	v_add_u32_e32 v2, 8, v2
	s_cbranch_scc0 .LBB141_82
.LBB141_83:                             ;   in Loop: Header=BB141_76 Depth=2
	s_cmp_lt_i32 s18, 1
	s_cbranch_scc1 .LBB141_95
; %bb.84:                               ;   in Loop: Header=BB141_76 Depth=2
	s_mov_b32 s2, 0
	s_mov_b32 s26, s18
	s_branch .LBB141_86
.LBB141_85:                             ;   in Loop: Header=BB141_86 Depth=3
	s_add_i32 s2, s2, 1
	s_add_i32 s26, s26, 8
	s_cmp_ge_i32 s2, s18
	s_cbranch_scc1 .LBB141_95
.LBB141_86:                             ;   Parent Loop BB141_73 Depth=1
                                        ;     Parent Loop BB141_76 Depth=2
                                        ; =>    This Loop Header: Depth=3
                                        ;         Child Loop BB141_88 Depth 4
                                        ;         Child Loop BB141_94 Depth 4
	s_lshl_b64 s[0:1], s[2:3], 3
	s_waitcnt vmcnt(0)
	v_mov_b32_e32 v1, s1
	v_add_co_u32_e32 v0, vcc, s0, v11
	v_addc_co_u32_e32 v1, vcc, v12, v1, vcc
	global_load_dwordx2 v[0:1], v[0:1], off
	s_and_b64 vcc, exec, s[12:13]
	s_cbranch_vccz .LBB141_90
; %bb.87:                               ;   in Loop: Header=BB141_86 Depth=3
	s_lshl_b32 s0, s2, 3
	s_add_i32 s0, s0, s18
	s_mov_b32 s1, s0
	s_waitcnt vmcnt(0)
	v_mov_b32_e32 v4, v0
	v_mov_b32_e32 v5, v0
	;; [unrolled: 1-line block ×5, first 2 shown]
	s_mov_b32 s16, 1
	s_mov_b32 s17, 0
	;; [unrolled: 1-line block ×3, first 2 shown]
	v_mov_b32_e32 v3, v10
.LBB141_88:                             ;   Parent Loop BB141_73 Depth=1
                                        ;     Parent Loop BB141_76 Depth=2
                                        ;       Parent Loop BB141_86 Depth=3
                                        ; =>      This Inner Loop Header: Depth=4
	s_add_i32 s28, s1, s16
	s_add_i32 s29, s0, s17
	s_lshl_b32 s29, s29, 3
	s_lshl_b32 s28, s28, 3
	v_mov_b32_e32 v18, s29
	v_mov_b32_e32 v20, s28
	ds_read_b128 v[14:17], v3
	ds_read_b64 v[18:19], v18
	ds_read_b64 v[20:21], v20
	s_add_i32 s17, s17, 2
	s_add_i32 s16, s16, 2
	s_add_i32 s27, s27, -2
	s_waitcnt lgkmcnt(2)
	v_mov_b32_e32 v23, v16
	v_mov_b32_e32 v16, v15
	s_waitcnt lgkmcnt(0)
	v_mov_b32_e32 v15, v20
	v_mov_b32_e32 v20, v19
	;; [unrolled: 1-line block ×4, first 2 shown]
	v_pk_mul_f32 v[18:19], v[20:21], v[6:7]
	v_pk_mul_f32 v[20:21], v[20:21], v[4:5]
	v_pk_fma_f32 v[18:19], v[14:15], v[4:5], v[18:19] neg_lo:[0,0,1] neg_hi:[0,0,1]
	v_pk_fma_f32 v[14:15], v[14:15], v[6:7], v[20:21]
	v_pk_add_f32 v[18:19], v[22:23], v[18:19] neg_lo:[0,1] neg_hi:[0,1]
	v_pk_add_f32 v[16:17], v[16:17], v[14:15] neg_lo:[0,1] neg_hi:[0,1]
	v_mov_b32_e32 v14, v18
	v_mov_b32_e32 v15, v16
	;; [unrolled: 1-line block ×3, first 2 shown]
	s_cmp_lg_u32 s27, 0
	ds_write_b128 v3, v[14:17]
	v_add_u32_e32 v3, 16, v3
	s_cbranch_scc1 .LBB141_88
; %bb.89:                               ;   in Loop: Header=BB141_86 Depth=3
	s_mov_b64 s[0:1], s[14:15]
	s_mov_b32 s16, s21
	s_branch .LBB141_92
.LBB141_90:                             ;   in Loop: Header=BB141_86 Depth=3
	s_mov_b64 s[0:1], 0
                                        ; implicit-def: $vgpr2_vgpr3
	s_mov_b32 s16, s21
	s_cbranch_execz .LBB141_92
; %bb.91:                               ;   in Loop: Header=BB141_86 Depth=3
	s_waitcnt vmcnt(0)
	v_mov_b32_e32 v2, v1
	s_mov_b64 s[0:1], -1
	s_mov_b32 s16, 0
.LBB141_92:                             ;   in Loop: Header=BB141_86 Depth=3
	s_andn2_b64 vcc, exec, s[0:1]
	s_cbranch_vccnz .LBB141_85
; %bb.93:                               ;   in Loop: Header=BB141_86 Depth=3
	s_add_i32 s1, s16, s26
	s_waitcnt vmcnt(0)
	v_mov_b32_e32 v3, v1
	v_mov_b32_e32 v1, v0
	s_sub_i32 s0, s20, s16
	s_lshl_b32 s1, s1, 3
	v_lshl_add_u32 v4, s16, 3, v13
.LBB141_94:                             ;   Parent Loop BB141_73 Depth=1
                                        ;     Parent Loop BB141_76 Depth=2
                                        ;       Parent Loop BB141_86 Depth=3
                                        ; =>      This Inner Loop Header: Depth=4
	v_mov_b32_e32 v5, s1
	ds_read_b64 v[14:15], v5
	ds_read_b64 v[6:7], v4
	s_add_i32 s0, s0, -1
	s_add_i32 s1, s1, 8
	s_cmp_eq_u32 s0, 0
	s_waitcnt lgkmcnt(1)
	v_pk_mul_f32 v[16:17], v[14:15], v[2:3]
	v_pk_fma_f32 v[18:19], v[14:15], v[0:1], v[16:17] op_sel:[0,0,1] op_sel_hi:[1,1,0] neg_lo:[0,0,1] neg_hi:[0,0,1]
	v_pk_fma_f32 v[14:15], v[14:15], v[0:1], v[16:17] op_sel:[0,0,1] op_sel_hi:[1,1,0]
	v_mov_b32_e32 v19, v15
	s_waitcnt lgkmcnt(0)
	v_pk_add_f32 v[6:7], v[6:7], v[18:19] neg_lo:[0,1] neg_hi:[0,1]
	ds_write_b64 v4, v[6:7]
	v_add_u32_e32 v4, 8, v4
	s_cbranch_scc0 .LBB141_94
	s_branch .LBB141_85
.LBB141_95:                             ;   in Loop: Header=BB141_76 Depth=2
	s_mov_b32 s2, 0
	s_mov_b32 s26, s24
	s_waitcnt vmcnt(0)
	s_branch .LBB141_97
.LBB141_96:                             ;   in Loop: Header=BB141_97 Depth=3
	s_mul_i32 s1, s0, 0x48
	v_mov_b32_e32 v3, s1
	ds_read_b64 v[4:5], v3
	s_ashr_i32 s1, s0, 31
	s_lshl_b64 s[0:1], s[0:1], 3
	s_add_i32 s2, s2, 1
	s_add_i32 s26, s26, 8
	s_waitcnt lgkmcnt(0)
	v_mul_f32_e32 v3, v5, v1
	v_mul_f32_e32 v7, v4, v1
	v_fma_f32 v6, v4, v0, -v3
	v_fmac_f32_e32 v7, v5, v0
	v_mov_b32_e32 v1, s1
	v_add_co_u32_e32 v0, vcc, s0, v11
	v_addc_co_u32_e32 v1, vcc, v12, v1, vcc
	s_cmp_eq_u32 s2, s20
	ds_write_b64 v2, v[6:7]
	global_store_dwordx2 v[0:1], v[6:7], off
	s_cbranch_scc1 .LBB141_75
.LBB141_97:                             ;   Parent Loop BB141_73 Depth=1
                                        ;     Parent Loop BB141_76 Depth=2
                                        ; =>    This Loop Header: Depth=3
                                        ;         Child Loop BB141_99 Depth 4
	s_cmp_lg_u32 s2, 0
	v_lshl_add_u32 v2, s2, 3, v10
	s_cbranch_scc0 .LBB141_101
; %bb.98:                               ;   in Loop: Header=BB141_97 Depth=3
	ds_read_b64 v[0:1], v2
	s_mov_b32 s0, 0
	v_mov_b32_e32 v3, v10
	s_mov_b32 s1, s26
.LBB141_99:                             ;   Parent Loop BB141_73 Depth=1
                                        ;     Parent Loop BB141_76 Depth=2
                                        ;       Parent Loop BB141_97 Depth=3
                                        ; =>      This Inner Loop Header: Depth=4
	v_mov_b32_e32 v6, s1
	ds_read_b64 v[4:5], v3
	ds_read_b64 v[6:7], v6
	s_add_i32 s0, s0, 1
	s_add_i32 s1, s1, 64
	v_add_u32_e32 v3, 8, v3
	s_cmp_ge_u32 s0, s2
	s_waitcnt lgkmcnt(0)
	v_pk_mul_f32 v[14:15], v[6:7], v[4:5] op_sel:[0,1]
	v_pk_fma_f32 v[16:17], v[6:7], v[4:5], v[14:15] op_sel:[0,0,1] op_sel_hi:[1,1,0] neg_lo:[0,0,1] neg_hi:[0,0,1]
	v_pk_fma_f32 v[4:5], v[6:7], v[4:5], v[14:15] op_sel:[0,0,1] op_sel_hi:[1,0,0]
	v_mov_b32_e32 v17, v5
	v_pk_add_f32 v[0:1], v[0:1], v[16:17] neg_lo:[0,1] neg_hi:[0,1]
	ds_write_b64 v2, v[0:1]
	s_cbranch_scc0 .LBB141_99
; %bb.100:                              ;   in Loop: Header=BB141_97 Depth=3
	s_add_i32 s0, s2, s18
	s_branch .LBB141_96
.LBB141_101:                            ;   in Loop: Header=BB141_97 Depth=3
                                        ; implicit-def: $vgpr0
                                        ; implicit-def: $sgpr0
	s_cbranch_execz .LBB141_96
; %bb.102:                              ;   in Loop: Header=BB141_97 Depth=3
	ds_read_b64 v[0:1], v10
	s_mov_b32 s0, s18
	s_branch .LBB141_96
.LBB141_103:
	s_endpgm
	.section	.rodata,"a",@progbits
	.p2align	6, 0x0
	.amdhsa_kernel _ZL30rocblas_trsm_small_left_deviceILi8ELi8ELb1E19rocblas_complex_numIfES1_PKS1_PS1_Ev13rocblas_fill_18rocblas_operation_17rocblas_diagonal_iiT3_T4_lilT5_lili
		.amdhsa_group_segment_fixed_size 1024
		.amdhsa_private_segment_fixed_size 0
		.amdhsa_kernarg_size 360
		.amdhsa_user_sgpr_count 8
		.amdhsa_user_sgpr_private_segment_buffer 1
		.amdhsa_user_sgpr_dispatch_ptr 1
		.amdhsa_user_sgpr_queue_ptr 0
		.amdhsa_user_sgpr_kernarg_segment_ptr 1
		.amdhsa_user_sgpr_dispatch_id 0
		.amdhsa_user_sgpr_flat_scratch_init 0
		.amdhsa_user_sgpr_kernarg_preload_length 0
		.amdhsa_user_sgpr_kernarg_preload_offset 0
		.amdhsa_user_sgpr_private_segment_size 0
		.amdhsa_uses_dynamic_stack 0
		.amdhsa_system_sgpr_private_segment_wavefront_offset 0
		.amdhsa_system_sgpr_workgroup_id_x 1
		.amdhsa_system_sgpr_workgroup_id_y 0
		.amdhsa_system_sgpr_workgroup_id_z 1
		.amdhsa_system_sgpr_workgroup_info 0
		.amdhsa_system_vgpr_workitem_id 2
		.amdhsa_next_free_vgpr 28
		.amdhsa_next_free_sgpr 44
		.amdhsa_accum_offset 28
		.amdhsa_reserve_vcc 1
		.amdhsa_reserve_flat_scratch 0
		.amdhsa_float_round_mode_32 0
		.amdhsa_float_round_mode_16_64 0
		.amdhsa_float_denorm_mode_32 3
		.amdhsa_float_denorm_mode_16_64 3
		.amdhsa_dx10_clamp 1
		.amdhsa_ieee_mode 1
		.amdhsa_fp16_overflow 0
		.amdhsa_tg_split 0
		.amdhsa_exception_fp_ieee_invalid_op 0
		.amdhsa_exception_fp_denorm_src 0
		.amdhsa_exception_fp_ieee_div_zero 0
		.amdhsa_exception_fp_ieee_overflow 0
		.amdhsa_exception_fp_ieee_underflow 0
		.amdhsa_exception_fp_ieee_inexact 0
		.amdhsa_exception_int_div_zero 0
	.end_amdhsa_kernel
	.section	.text._ZL30rocblas_trsm_small_left_deviceILi8ELi8ELb1E19rocblas_complex_numIfES1_PKS1_PS1_Ev13rocblas_fill_18rocblas_operation_17rocblas_diagonal_iiT3_T4_lilT5_lili,"axG",@progbits,_ZL30rocblas_trsm_small_left_deviceILi8ELi8ELb1E19rocblas_complex_numIfES1_PKS1_PS1_Ev13rocblas_fill_18rocblas_operation_17rocblas_diagonal_iiT3_T4_lilT5_lili,comdat
.Lfunc_end141:
	.size	_ZL30rocblas_trsm_small_left_deviceILi8ELi8ELb1E19rocblas_complex_numIfES1_PKS1_PS1_Ev13rocblas_fill_18rocblas_operation_17rocblas_diagonal_iiT3_T4_lilT5_lili, .Lfunc_end141-_ZL30rocblas_trsm_small_left_deviceILi8ELi8ELb1E19rocblas_complex_numIfES1_PKS1_PS1_Ev13rocblas_fill_18rocblas_operation_17rocblas_diagonal_iiT3_T4_lilT5_lili
                                        ; -- End function
	.section	.AMDGPU.csdata,"",@progbits
; Kernel info:
; codeLenInByte = 4164
; NumSgprs: 48
; NumVgprs: 28
; NumAgprs: 0
; TotalNumVgprs: 28
; ScratchSize: 0
; MemoryBound: 0
; FloatMode: 240
; IeeeMode: 1
; LDSByteSize: 1024 bytes/workgroup (compile time only)
; SGPRBlocks: 5
; VGPRBlocks: 3
; NumSGPRsForWavesPerEU: 48
; NumVGPRsForWavesPerEU: 28
; AccumOffset: 28
; Occupancy: 8
; WaveLimiterHint : 0
; COMPUTE_PGM_RSRC2:SCRATCH_EN: 0
; COMPUTE_PGM_RSRC2:USER_SGPR: 8
; COMPUTE_PGM_RSRC2:TRAP_HANDLER: 0
; COMPUTE_PGM_RSRC2:TGID_X_EN: 1
; COMPUTE_PGM_RSRC2:TGID_Y_EN: 0
; COMPUTE_PGM_RSRC2:TGID_Z_EN: 1
; COMPUTE_PGM_RSRC2:TIDIG_COMP_CNT: 2
; COMPUTE_PGM_RSRC3_GFX90A:ACCUM_OFFSET: 6
; COMPUTE_PGM_RSRC3_GFX90A:TG_SPLIT: 0
	.section	.text._ZL31rocblas_trsm_small_right_deviceI19rocblas_complex_numIfES1_PKS1_PS1_Li8EEv13rocblas_fill_18rocblas_operation_17rocblas_diagonal_iiT0_T1_lilT2_lili,"axG",@progbits,_ZL31rocblas_trsm_small_right_deviceI19rocblas_complex_numIfES1_PKS1_PS1_Li8EEv13rocblas_fill_18rocblas_operation_17rocblas_diagonal_iiT0_T1_lilT2_lili,comdat
	.globl	_ZL31rocblas_trsm_small_right_deviceI19rocblas_complex_numIfES1_PKS1_PS1_Li8EEv13rocblas_fill_18rocblas_operation_17rocblas_diagonal_iiT0_T1_lilT2_lili ; -- Begin function _ZL31rocblas_trsm_small_right_deviceI19rocblas_complex_numIfES1_PKS1_PS1_Li8EEv13rocblas_fill_18rocblas_operation_17rocblas_diagonal_iiT0_T1_lilT2_lili
	.p2align	8
	.type	_ZL31rocblas_trsm_small_right_deviceI19rocblas_complex_numIfES1_PKS1_PS1_Li8EEv13rocblas_fill_18rocblas_operation_17rocblas_diagonal_iiT0_T1_lilT2_lili,@function
_ZL31rocblas_trsm_small_right_deviceI19rocblas_complex_numIfES1_PKS1_PS1_Li8EEv13rocblas_fill_18rocblas_operation_17rocblas_diagonal_iiT0_T1_lilT2_lili: ; @_ZL31rocblas_trsm_small_right_deviceI19rocblas_complex_numIfES1_PKS1_PS1_Li8EEv13rocblas_fill_18rocblas_operation_17rocblas_diagonal_iiT0_T1_lilT2_lili
; %bb.0:
	s_load_dwordx8 s[12:19], s[4:5], 0x0
	s_load_dwordx4 s[20:23], s[4:5], 0x38
	s_load_dwordx2 s[26:27], s[4:5], 0x48
	s_waitcnt lgkmcnt(0)
	s_load_dword s19, s[4:5], 0x68
	s_mov_b32 s40, 0
	s_min_i32 s33, s16, 8
	s_add_i32 s50, s33, -1
	v_cmp_gt_i32_e32 vcc, s33, v0
	s_and_saveexec_b64 s[24:25], vcc
	s_cbranch_execz .LBB142_29
; %bb.1:
	s_load_dword s28, s[4:5], 0x30
	s_load_dwordx4 s[8:11], s[4:5], 0x20
	s_mul_i32 s0, s7, s21
	s_mul_hi_u32 s1, s7, s20
	s_mul_i32 s20, s7, s20
	s_waitcnt lgkmcnt(0)
	s_ashr_i32 s29, s28, 31
	s_cmpk_lg_i32 s13, 0x71
	s_cselect_b64 s[30:31], -1, 0
	s_add_i32 s21, s1, s0
	v_cndmask_b32_e64 v1, 0, 1, s[30:31]
	s_cmp_lt_u32 s50, 3
	v_cmp_ne_u32_e64 s[0:1], 1, v1
	s_cbranch_scc1 .LBB142_20
; %bb.2:
	s_lshl_b64 s[2:3], s[20:21], 3
	s_add_u32 s34, s8, s2
	s_addc_u32 s35, s9, s3
	s_lshl_b64 s[2:3], s[10:11], 3
	s_add_u32 s2, s34, s2
	s_addc_u32 s3, s35, s3
	v_lshlrev_b32_e32 v1, 3, v0
	v_mov_b32_e32 v3, s3
	v_add_co_u32_e32 v2, vcc, s2, v1
	s_mul_hi_i32 s2, s28, 24
	s_lshl_b64 s[34:35], s[28:29], 5
	s_lshl_b64 s[36:37], s[28:29], 4
	;; [unrolled: 1-line block ×3, first 2 shown]
	v_addc_co_u32_e32 v3, vcc, 0, v3, vcc
	s_and_b32 s40, s33, -4
	s_mul_i32 s41, s28, 24
	s_mov_b32 s42, 0
	v_mov_b32_e32 v8, s39
	v_mov_b32_e32 v9, s37
	;; [unrolled: 1-line block ×4, first 2 shown]
	s_branch .LBB142_4
.LBB142_3:                              ;   in Loop: Header=BB142_4 Depth=1
	global_load_dword v4, v[6:7], off
	s_add_i32 s42, s42, 4
	v_add_co_u32_e32 v2, vcc, s34, v2
	v_addc_co_u32_e32 v3, vcc, v3, v11, vcc
	s_cmp_eq_u32 s40, s42
	s_waitcnt vmcnt(0)
	ds_write_b64 v1, v[4:5] offset:192
	v_add_u32_e32 v1, 0x100, v1
	s_cbranch_scc1 .LBB142_20
.LBB142_4:                              ; =>This Inner Loop Header: Depth=1
	s_and_b64 vcc, exec, s[30:31]
	s_cbranch_vccz .LBB142_6
; %bb.5:                                ;   in Loop: Header=BB142_4 Depth=1
	global_load_dword v5, v[2:3], off offset:4
	s_cbranch_execz .LBB142_7
	s_branch .LBB142_8
.LBB142_6:                              ;   in Loop: Header=BB142_4 Depth=1
                                        ; implicit-def: $vgpr5
.LBB142_7:                              ;   in Loop: Header=BB142_4 Depth=1
	global_load_dword v4, v[2:3], off offset:4
	s_waitcnt vmcnt(0)
	v_xor_b32_e32 v5, 0x80000000, v4
.LBB142_8:                              ;   in Loop: Header=BB142_4 Depth=1
	global_load_dword v4, v[2:3], off
	v_add_co_u32_e64 v6, s[2:3], s38, v2
	s_and_b64 vcc, exec, s[0:1]
	v_addc_co_u32_e64 v7, s[2:3], v3, v8, s[2:3]
	s_waitcnt vmcnt(0)
	ds_write_b64 v1, v[4:5]
	s_cbranch_vccnz .LBB142_10
; %bb.9:                                ;   in Loop: Header=BB142_4 Depth=1
	global_load_dword v5, v[6:7], off offset:4
	s_cbranch_execz .LBB142_11
	s_branch .LBB142_12
.LBB142_10:                             ;   in Loop: Header=BB142_4 Depth=1
                                        ; implicit-def: $vgpr5
.LBB142_11:                             ;   in Loop: Header=BB142_4 Depth=1
	global_load_dword v4, v[6:7], off offset:4
	s_waitcnt vmcnt(0)
	v_xor_b32_e32 v5, 0x80000000, v4
.LBB142_12:                             ;   in Loop: Header=BB142_4 Depth=1
	global_load_dword v4, v[6:7], off
	v_add_co_u32_e64 v6, s[2:3], s36, v2
	s_and_b64 vcc, exec, s[0:1]
	v_addc_co_u32_e64 v7, s[2:3], v3, v9, s[2:3]
	s_waitcnt vmcnt(0)
	ds_write_b64 v1, v[4:5] offset:64
	s_cbranch_vccnz .LBB142_14
; %bb.13:                               ;   in Loop: Header=BB142_4 Depth=1
	global_load_dword v5, v[6:7], off offset:4
	s_cbranch_execz .LBB142_15
	s_branch .LBB142_16
.LBB142_14:                             ;   in Loop: Header=BB142_4 Depth=1
                                        ; implicit-def: $vgpr5
.LBB142_15:                             ;   in Loop: Header=BB142_4 Depth=1
	global_load_dword v4, v[6:7], off offset:4
	s_waitcnt vmcnt(0)
	v_xor_b32_e32 v5, 0x80000000, v4
.LBB142_16:                             ;   in Loop: Header=BB142_4 Depth=1
	global_load_dword v4, v[6:7], off
	v_add_co_u32_e64 v6, s[2:3], s41, v2
	s_and_b64 vcc, exec, s[0:1]
	v_addc_co_u32_e64 v7, s[2:3], v3, v10, s[2:3]
	s_waitcnt vmcnt(0)
	ds_write_b64 v1, v[4:5] offset:128
	s_cbranch_vccnz .LBB142_18
; %bb.17:                               ;   in Loop: Header=BB142_4 Depth=1
	global_load_dword v5, v[6:7], off offset:4
	s_cbranch_execnz .LBB142_3
	s_branch .LBB142_19
.LBB142_18:                             ;   in Loop: Header=BB142_4 Depth=1
                                        ; implicit-def: $vgpr5
.LBB142_19:                             ;   in Loop: Header=BB142_4 Depth=1
	global_load_dword v4, v[6:7], off offset:4
	s_waitcnt vmcnt(0)
	v_xor_b32_e32 v5, 0x80000000, v4
	s_branch .LBB142_3
.LBB142_20:
	s_and_b32 s30, s33, 3
	s_cmp_eq_u32 s30, 0
	s_cbranch_scc1 .LBB142_27
; %bb.21:
	s_lshl_b64 s[2:3], s[20:21], 3
	s_mul_i32 s20, s29, s40
	s_mul_hi_u32 s21, s28, s40
	s_add_i32 s21, s21, s20
	s_mul_i32 s20, s28, s40
	s_lshl_b64 s[20:21], s[20:21], 3
	s_add_u32 s20, s2, s20
	s_addc_u32 s21, s3, s21
	s_lshl_b64 s[2:3], s[10:11], 3
	s_add_u32 s2, s20, s2
	s_addc_u32 s3, s21, s3
	s_add_u32 s2, s8, s2
	v_lshlrev_b32_e32 v2, 3, v0
	s_addc_u32 s3, s9, s3
	v_lshl_or_b32 v1, s40, 6, v2
	v_mov_b32_e32 v3, s3
	v_add_co_u32_e32 v2, vcc, s2, v2
	v_addc_co_u32_e32 v3, vcc, 0, v3, vcc
	v_add_co_u32_e32 v2, vcc, 4, v2
	s_lshl_b64 s[2:3], s[28:29], 3
	v_addc_co_u32_e32 v3, vcc, 0, v3, vcc
	v_mov_b32_e32 v6, s3
	s_branch .LBB142_23
.LBB142_22:                             ;   in Loop: Header=BB142_23 Depth=1
	global_load_dword v4, v[2:3], off offset:-4
	s_add_i32 s30, s30, -1
	v_add_co_u32_e32 v2, vcc, s2, v2
	s_cmp_lg_u32 s30, 0
	v_addc_co_u32_e32 v3, vcc, v3, v6, vcc
	s_waitcnt vmcnt(0)
	ds_write_b64 v1, v[4:5]
	v_add_u32_e32 v1, 64, v1
	s_cbranch_scc0 .LBB142_27
.LBB142_23:                             ; =>This Inner Loop Header: Depth=1
	s_and_b64 vcc, exec, s[0:1]
	s_cbranch_vccnz .LBB142_25
; %bb.24:                               ;   in Loop: Header=BB142_23 Depth=1
	global_load_dword v5, v[2:3], off
	s_cbranch_execnz .LBB142_22
	s_branch .LBB142_26
.LBB142_25:                             ;   in Loop: Header=BB142_23 Depth=1
                                        ; implicit-def: $vgpr5
.LBB142_26:                             ;   in Loop: Header=BB142_23 Depth=1
	global_load_dword v4, v[2:3], off
	s_waitcnt vmcnt(0)
	v_xor_b32_e32 v5, 0x80000000, v4
	s_branch .LBB142_22
.LBB142_27:
	s_cmpk_eq_i32 s14, 0x84
	s_cbranch_scc0 .LBB142_29
; %bb.28:
	v_mul_u32_u24_e32 v1, 9, v0
	v_lshlrev_b32_e32 v1, 3, v1
	v_mov_b32_e32 v2, 1.0
	v_mov_b32_e32 v3, 0
	ds_write_b64 v1, v[2:3]
.LBB142_29:
	s_or_b64 exec, exec, s[24:25]
	s_load_dwordx2 s[0:1], s[4:5], 0x58
	s_load_dword s14, s[4:5], 0x50
	s_waitcnt lgkmcnt(0)
	s_mul_i32 s1, s7, s1
	s_mul_hi_u32 s2, s7, s0
	s_mul_i32 s0, s7, s0
	s_add_i32 s1, s2, s1
	s_lshl_b64 s[24:25], s[0:1], 3
	s_add_u32 s0, s22, s24
	s_addc_u32 s1, s23, s25
	s_lshl_b64 s[20:21], s[26:27], 3
	s_add_u32 s0, s0, s20
	s_addc_u32 s1, s1, s21
	s_lshl_b32 s2, s6, 3
	s_add_i32 s19, s19, -1
	s_sub_i32 s2, s15, s2
	s_cmp_ge_u32 s6, s19
	s_cselect_b32 s2, s2, 8
	s_ashr_i32 s7, s6, 31
	s_lshl_b64 s[26:27], s[6:7], 6
	s_add_u32 s48, s0, s26
	s_addc_u32 s49, s1, s27
	s_cmp_gt_i32 s16, 0
	v_cmp_gt_i32_e32 vcc, s2, v0
	s_cselect_b64 s[2:3], -1, 0
	s_mov_b32 s0, 0
	s_and_b64 s[28:29], vcc, s[2:3]
	s_and_saveexec_b64 s[30:31], s[28:29]
	s_cbranch_execz .LBB142_41
; %bb.30:
	s_cmp_lt_u32 s16, 2
	s_cselect_b64 s[4:5], -1, 0
	s_cmp_lg_u32 s14, 1
	s_cselect_b64 s[6:7], -1, 0
	s_or_b64 s[4:5], s[4:5], s[6:7]
	s_mov_b32 s1, 1
	s_mov_b64 s[2:3], -1
	s_and_b64 vcc, exec, s[4:5]
	s_cbranch_vccnz .LBB142_38
; %bb.31:
	s_add_i32 s0, s16, -2
	v_lshlrev_b32_e32 v1, 3, v0
	s_lshr_b32 s15, s0, 1
	v_mov_b32_e32 v3, s49
	v_add_co_u32_e32 v2, vcc, s48, v1
	s_add_i32 s15, s15, 1
	s_mov_b32 s37, 0
	v_addc_co_u32_e32 v3, vcc, 0, v3, vcc
	s_mov_b32 s34, s17
	s_mov_b32 s35, s17
	;; [unrolled: 1-line block ×3, first 2 shown]
	s_cmp_lt_u32 s0, 6
	s_mov_b32 s0, s37
	s_cbranch_scc1 .LBB142_35
; %bb.32:
	s_and_b32 s51, s15, -4
	s_mov_b32 s38, 1
	s_mov_b32 s36, s37
.LBB142_33:                             ; =>This Inner Loop Header: Depth=1
	s_lshl_b64 s[0:1], s[36:37], 3
	s_mov_b32 s39, s37
	s_add_i32 s40, s38, 2
	s_add_i32 s42, s36, 2
	s_mov_b32 s43, s37
	s_mov_b32 s41, s37
	s_add_i32 s44, s38, 4
	s_add_i32 s46, s36, 4
	s_mov_b32 s47, s37
	;; [unrolled: 4-line block ×3, first 2 shown]
	s_mov_b32 s53, s37
	v_mov_b32_e32 v5, s1
	v_add_co_u32_e32 v4, vcc, s0, v2
	s_lshl_b64 s[10:11], s[38:39], 3
	s_lshl_b64 s[2:3], s[42:43], 3
	;; [unrolled: 1-line block ×7, first 2 shown]
	v_addc_co_u32_e32 v5, vcc, v3, v5, vcc
	v_mov_b32_e32 v7, s11
	v_mov_b32_e32 v9, s3
	v_add_co_u32_e32 v6, vcc, s2, v2
	v_mov_b32_e32 v11, s5
	v_add_co_u32_e64 v8, s[0:1], s4, v2
	v_mov_b32_e32 v13, s7
	v_add_co_u32_e64 v10, s[2:3], s6, v2
	;; [unrolled: 2-line block ×5, first 2 shown]
	v_add_co_u32_e64 v18, s[10:11], s10, v2
	v_addc_co_u32_e64 v19, s[10:11], v3, v7, s[10:11]
	v_addc_co_u32_e32 v7, vcc, v3, v9, vcc
	v_addc_co_u32_e64 v9, vcc, v3, v11, s[0:1]
	v_addc_co_u32_e64 v11, vcc, v3, v13, s[2:3]
	;; [unrolled: 1-line block ×5, first 2 shown]
	global_load_dwordx2 v[20:21], v[4:5], off
	global_load_dwordx2 v[22:23], v[18:19], off
	;; [unrolled: 1-line block ×8, first 2 shown]
	v_lshl_or_b32 v36, s36, 6, v1
	v_lshl_or_b32 v37, s38, 6, v1
	s_add_i32 s36, s36, 8
	s_add_i32 s51, s51, -4
	s_add_i32 s38, s38, 8
	s_cmp_lg_u32 s51, 0
	v_lshl_or_b32 v38, s42, 6, v1
	v_lshl_or_b32 v39, s40, 6, v1
	;; [unrolled: 1-line block ×6, first 2 shown]
	s_waitcnt vmcnt(7)
	v_mov_b32_e32 v4, v20
	s_waitcnt vmcnt(6)
	v_mov_b32_e32 v5, v22
	v_mov_b32_e32 v22, v21
	s_waitcnt vmcnt(4)
	v_mov_b32_e32 v7, v26
	;; [unrolled: 3-line block ×4, first 2 shown]
	v_mov_b32_e32 v34, v33
	v_pk_mul_f32 v[12:13], s[18:19], v[22:23]
	v_pk_mul_f32 v[14:15], s[34:35], v[22:23]
	v_mov_b32_e32 v6, v24
	v_mov_b32_e32 v8, v28
	;; [unrolled: 1-line block ×3, first 2 shown]
	v_pk_mul_f32 v[16:17], s[18:19], v[26:27]
	v_pk_mul_f32 v[18:19], s[34:35], v[26:27]
	;; [unrolled: 1-line block ×6, first 2 shown]
	v_pk_fma_f32 v[12:13], s[34:35], v[4:5], v[12:13] neg_lo:[0,0,1] neg_hi:[0,0,1]
	v_pk_fma_f32 v[4:5], s[18:19], v[4:5], v[14:15]
	v_pk_fma_f32 v[14:15], s[34:35], v[6:7], v[16:17] neg_lo:[0,0,1] neg_hi:[0,0,1]
	v_pk_fma_f32 v[6:7], s[18:19], v[6:7], v[18:19]
	;; [unrolled: 2-line block ×4, first 2 shown]
	v_mov_b32_e32 v20, v12
	v_mov_b32_e32 v21, v4
	;; [unrolled: 1-line block ×12, first 2 shown]
	ds_write_b64 v36, v[20:21] offset:512
	ds_write_b64 v37, v[4:5] offset:512
	;; [unrolled: 1-line block ×8, first 2 shown]
	s_cbranch_scc1 .LBB142_33
; %bb.34:
	s_mov_b32 s37, s38
	s_mov_b64 s[0:1], s[36:37]
.LBB142_35:
	s_and_b32 s4, s15, 3
	s_cmp_eq_u32 s4, 0
	s_mov_b32 s3, 0
	s_cbranch_scc1 .LBB142_37
.LBB142_36:                             ; =>This Inner Loop Header: Depth=1
	s_mov_b32 s2, s0
	s_lshl_b64 s[6:7], s[2:3], 3
	s_mov_b32 s2, s1
	v_mov_b32_e32 v5, s7
	v_add_co_u32_e32 v4, vcc, s6, v2
	s_lshl_b64 s[8:9], s[2:3], 3
	v_addc_co_u32_e32 v5, vcc, v3, v5, vcc
	v_mov_b32_e32 v7, s9
	v_add_co_u32_e32 v6, vcc, s8, v2
	v_addc_co_u32_e32 v7, vcc, v3, v7, vcc
	global_load_dwordx2 v[8:9], v[4:5], off
	global_load_dwordx2 v[10:11], v[6:7], off
	v_lshl_or_b32 v12, s0, 6, v1
	v_lshl_or_b32 v13, s1, 6, v1
	s_add_i32 s0, s0, 2
	s_add_i32 s4, s4, -1
	s_add_i32 s1, s1, 2
	s_cmp_lg_u32 s4, 0
	s_waitcnt vmcnt(1)
	v_mov_b32_e32 v4, v8
	s_waitcnt vmcnt(0)
	v_mov_b32_e32 v5, v10
	v_mov_b32_e32 v10, v9
	v_pk_mul_f32 v[6:7], s[18:19], v[10:11]
	v_pk_mul_f32 v[8:9], s[34:35], v[10:11]
	v_pk_fma_f32 v[6:7], s[34:35], v[4:5], v[6:7] neg_lo:[0,0,1] neg_hi:[0,0,1]
	v_pk_fma_f32 v[4:5], s[18:19], v[4:5], v[8:9]
	v_mov_b32_e32 v8, v6
	v_mov_b32_e32 v9, v4
	v_mov_b32_e32 v4, v7
	ds_write_b64 v12, v[8:9] offset:512
	ds_write_b64 v13, v[4:5] offset:512
	s_cbranch_scc1 .LBB142_36
.LBB142_37:
	s_and_b32 s0, s16, 0x7ffffffe
	s_cmp_lg_u32 s0, s16
	s_cselect_b64 s[2:3], -1, 0
.LBB142_38:
	s_and_b64 vcc, exec, s[2:3]
	s_cbranch_vccz .LBB142_41
; %bb.39:
	v_lshlrev_b32_e32 v2, 3, v0
	v_lshl_or_b32 v1, s0, 6, v2
	s_sub_i32 s2, s16, s0
	s_mul_hi_i32 s1, s14, s0
	s_mul_i32 s0, s14, s0
	s_ashr_i32 s15, s14, 31
	s_lshl_b64 s[0:1], s[0:1], 3
	s_add_u32 s0, s24, s0
	s_addc_u32 s1, s25, s1
	s_add_u32 s0, s0, s26
	s_addc_u32 s1, s1, s27
	;; [unrolled: 2-line block ×4, first 2 shown]
	v_mov_b32_e32 v3, s1
	v_add_co_u32_e32 v2, vcc, s0, v2
	v_addc_co_u32_e32 v3, vcc, 0, v3, vcc
	v_add_co_u32_e32 v2, vcc, 4, v2
	s_lshl_b64 s[0:1], s[14:15], 3
	v_add_u32_e32 v1, 0x200, v1
	v_addc_co_u32_e32 v3, vcc, 0, v3, vcc
	v_mov_b32_e32 v4, s1
.LBB142_40:                             ; =>This Inner Loop Header: Depth=1
	global_load_dwordx2 v[6:7], v[2:3], off offset:-4
	s_add_i32 s2, s2, -1
	v_add_co_u32_e32 v2, vcc, s0, v2
	v_addc_co_u32_e32 v3, vcc, v3, v4, vcc
	s_cmp_lg_u32 s2, 0
	s_waitcnt vmcnt(0)
	v_mul_f32_e32 v5, s18, v7
	v_mul_f32_e32 v9, s17, v7
	v_fma_f32 v8, s17, v6, -v5
	v_fmac_f32_e32 v9, s18, v6
	ds_write_b64 v1, v[8:9]
	v_add_u32_e32 v1, 64, v1
	s_cbranch_scc1 .LBB142_40
.LBB142_41:
	s_or_b64 exec, exec, s[30:31]
	s_cmpk_eq_i32 s13, 0x6f
	s_cselect_b64 s[0:1], -1, 0
	s_cmpk_eq_i32 s12, 0x79
	s_cselect_b64 s[4:5], -1, 0
	s_cmpk_lg_i32 s12, 0x79
	s_cselect_b64 s[2:3], -1, 0
	s_and_b64 s[4:5], s[4:5], s[0:1]
	s_andn2_b64 vcc, exec, s[4:5]
	s_mov_b64 s[4:5], -1
	s_waitcnt lgkmcnt(0)
	; wave barrier
	s_waitcnt lgkmcnt(0)
	s_cbranch_vccz .LBB142_149
; %bb.42:
	s_cmpk_lg_i32 s12, 0x7a
	s_cselect_b64 s[6:7], -1, 0
	s_xor_b64 s[0:1], s[0:1], -1
	s_or_b64 s[6:7], s[6:7], s[0:1]
	s_cmp_gt_i32 s16, 3
	s_cselect_b64 s[0:1], -1, 0
	s_and_b64 vcc, exec, s[6:7]
	s_cbranch_vccz .LBB142_116
; %bb.43:
	s_andn2_b64 vcc, exec, s[2:3]
	s_mov_b64 s[2:3], -1
	s_cbranch_vccnz .LBB142_83
; %bb.44:
	s_andn2_b64 vcc, exec, s[0:1]
	s_mov_b32 s6, 0
	s_cbranch_vccnz .LBB142_67
; %bb.45:
	v_mov_b32_e32 v1, 0x200
	v_lshl_or_b32 v1, v0, 3, v1
	s_mov_b32 s4, 0
	s_mov_b32 s5, 0
.LBB142_46:                             ; =>This Loop Header: Depth=1
                                        ;     Child Loop BB142_48 Depth 2
	s_lshl_b32 s3, s5, 3
	v_or_b32_e32 v2, s3, v0
	s_or_b32 s7, s3, 8
	v_lshlrev_b32_e32 v4, 3, v2
	v_or_b32_e32 v2, s7, v0
	s_or_b32 s6, s3, 16
	s_lshl_b32 s2, s5, 6
	v_lshlrev_b32_e32 v5, 3, v2
	v_or_b32_e32 v2, s6, v0
	v_lshlrev_b32_e32 v10, 3, v2
	v_lshl_or_b32 v11, v0, 3, s2
	ds_read_b64 v[2:3], v4 offset:512
	ds_read_b64 v[12:13], v5 offset:512
	;; [unrolled: 1-line block ×4, first 2 shown]
	s_cmp_eq_u32 s5, 0
	s_cbranch_scc1 .LBB142_49
; %bb.47:                               ;   in Loop: Header=BB142_46 Depth=1
	s_mov_b32 s2, 0
	v_mov_b32_e32 v14, v1
	s_mov_b32 s3, s4
.LBB142_48:                             ;   Parent Loop BB142_46 Depth=1
                                        ; =>  This Inner Loop Header: Depth=2
	v_mov_b32_e32 v15, s3
	ds_read_b64 v[24:25], v14
	ds_read_b128 v[16:19], v15
	ds_read_b128 v[20:23], v15 offset:16
	s_add_i32 s2, s2, 1
	s_add_i32 s3, s3, 64
	v_add_u32_e32 v14, 64, v14
	s_waitcnt lgkmcnt(1)
	v_mul_f32_e32 v15, v17, v25
	v_mul_f32_e32 v26, v16, v25
	;; [unrolled: 1-line block ×4, first 2 shown]
	s_waitcnt lgkmcnt(0)
	v_mul_f32_e32 v28, v21, v25
	v_mul_f32_e32 v21, v21, v24
	;; [unrolled: 1-line block ×4, first 2 shown]
	v_fma_f32 v15, v16, v24, -v15
	v_fmac_f32_e32 v26, v17, v24
	v_fma_f32 v16, v18, v24, -v27
	v_fmac_f32_e32 v19, v18, v25
	;; [unrolled: 2-line block ×4, first 2 shown]
	s_cmp_ge_u32 s2, s5
	v_sub_f32_e32 v2, v2, v15
	v_sub_f32_e32 v3, v3, v26
	;; [unrolled: 1-line block ×8, first 2 shown]
	s_cbranch_scc0 .LBB142_48
.LBB142_49:                             ;   in Loop: Header=BB142_46 Depth=1
	s_mul_i32 s8, s5, 0x48
	v_add_u32_e32 v17, 0x200, v4
	v_mov_b32_e32 v4, s8
	v_add_u32_e32 v16, 0x200, v5
	ds_read_b64 v[4:5], v4
	v_add_u32_e32 v15, 0x200, v10
	v_add_u32_e32 v14, 0x2c0, v11
	s_waitcnt lgkmcnt(0)
	v_cmp_gt_f32_e32 vcc, 0, v5
	v_cndmask_b32_e64 v10, v5, -v5, vcc
	v_cmp_gt_f32_e32 vcc, 0, v4
	v_cndmask_b32_e64 v11, v4, -v4, vcc
	v_cmp_ngt_f32_e32 vcc, v11, v10
	s_cbranch_vccz .LBB142_51
; %bb.50:                               ;   in Loop: Header=BB142_46 Depth=1
	v_div_scale_f32 v10, s[2:3], v5, v5, v4
	v_rcp_f32_e32 v11, v10
	v_div_scale_f32 v18, vcc, v4, v5, v4
	v_fma_f32 v19, -v10, v11, 1.0
	v_fmac_f32_e32 v11, v19, v11
	v_mul_f32_e32 v19, v18, v11
	v_fma_f32 v20, -v10, v19, v18
	v_fmac_f32_e32 v19, v20, v11
	v_fma_f32 v10, -v10, v19, v18
	v_div_fmas_f32 v10, v10, v11, v19
	v_div_fixup_f32 v11, v10, v5, v4
	v_fma_f32 v10, v4, v11, v5
	v_div_scale_f32 v18, s[2:3], v10, v10, 1.0
	v_rcp_f32_e32 v19, v18
	v_fma_f32 v20, -v18, v19, 1.0
	v_fmac_f32_e32 v19, v20, v19
	v_div_scale_f32 v20, vcc, 1.0, v10, 1.0
	v_mul_f32_e32 v21, v20, v19
	v_fma_f32 v22, -v18, v21, v20
	v_fmac_f32_e32 v21, v22, v19
	v_fma_f32 v18, -v18, v21, v20
	v_div_fmas_f32 v18, v18, v19, v21
	v_div_fixup_f32 v18, v18, v10, 1.0
	v_fma_f32 v10, v2, v11, v3
	v_fma_f32 v11, v3, v11, -v2
	v_mul_f32_e32 v10, v10, v18
	v_mul_f32_e32 v11, v11, v18
	s_cbranch_execz .LBB142_52
	s_branch .LBB142_53
.LBB142_51:                             ;   in Loop: Header=BB142_46 Depth=1
                                        ; implicit-def: $vgpr11
.LBB142_52:                             ;   in Loop: Header=BB142_46 Depth=1
	v_div_scale_f32 v10, s[2:3], v4, v4, v5
	v_rcp_f32_e32 v11, v10
	v_div_scale_f32 v18, vcc, v5, v4, v5
	v_fma_f32 v19, -v10, v11, 1.0
	v_fmac_f32_e32 v11, v19, v11
	v_mul_f32_e32 v19, v18, v11
	v_fma_f32 v20, -v10, v19, v18
	v_fmac_f32_e32 v19, v20, v11
	v_fma_f32 v10, -v10, v19, v18
	v_div_fmas_f32 v10, v10, v11, v19
	v_div_fixup_f32 v11, v10, v4, v5
	v_fmac_f32_e32 v4, v5, v11
	v_div_scale_f32 v5, s[2:3], v4, v4, 1.0
	v_rcp_f32_e32 v10, v5
	v_fma_f32 v18, -v5, v10, 1.0
	v_fmac_f32_e32 v10, v18, v10
	v_div_scale_f32 v18, vcc, 1.0, v4, 1.0
	v_mul_f32_e32 v19, v18, v10
	v_fma_f32 v20, -v5, v19, v18
	v_fmac_f32_e32 v19, v20, v10
	v_fma_f32 v5, -v5, v19, v18
	v_div_fmas_f32 v5, v5, v10, v19
	v_div_fixup_f32 v4, v5, v4, 1.0
	v_fma_f32 v5, v3, v11, v2
	v_fma_f32 v2, -v2, v11, v3
	v_mul_f32_e32 v10, v5, v4
	v_mul_f32_e32 v11, v2, v4
.LBB142_53:                             ;   in Loop: Header=BB142_46 Depth=1
	v_mov_b32_e32 v2, s8
	ds_read2_b64 v[2:5], v2 offset0:1 offset1:9
	ds_write_b64 v17, v[10:11]
	s_waitcnt lgkmcnt(1)
	v_mul_f32_e32 v17, v11, v3
	v_mul_f32_e32 v3, v10, v3
	v_fma_f32 v17, v10, v2, -v17
	v_cmp_gt_f32_e32 vcc, 0, v5
	v_fmac_f32_e32 v3, v11, v2
	v_sub_f32_e32 v2, v12, v17
	v_cndmask_b32_e64 v12, v5, -v5, vcc
	v_cmp_gt_f32_e32 vcc, 0, v4
	v_sub_f32_e32 v3, v13, v3
	v_cndmask_b32_e64 v13, v4, -v4, vcc
	v_cmp_ngt_f32_e32 vcc, v13, v12
	s_cbranch_vccz .LBB142_55
; %bb.54:                               ;   in Loop: Header=BB142_46 Depth=1
	v_div_scale_f32 v12, s[2:3], v5, v5, v4
	v_rcp_f32_e32 v13, v12
	v_div_scale_f32 v17, vcc, v4, v5, v4
	v_fma_f32 v18, -v12, v13, 1.0
	v_fmac_f32_e32 v13, v18, v13
	v_mul_f32_e32 v18, v17, v13
	v_fma_f32 v19, -v12, v18, v17
	v_fmac_f32_e32 v18, v19, v13
	v_fma_f32 v12, -v12, v18, v17
	v_div_fmas_f32 v12, v12, v13, v18
	v_div_fixup_f32 v13, v12, v5, v4
	v_fma_f32 v12, v4, v13, v5
	v_div_scale_f32 v17, s[2:3], v12, v12, 1.0
	v_rcp_f32_e32 v18, v17
	v_fma_f32 v19, -v17, v18, 1.0
	v_fmac_f32_e32 v18, v19, v18
	v_div_scale_f32 v19, vcc, 1.0, v12, 1.0
	v_mul_f32_e32 v20, v19, v18
	v_fma_f32 v21, -v17, v20, v19
	v_fmac_f32_e32 v20, v21, v18
	v_fma_f32 v17, -v17, v20, v19
	v_div_fmas_f32 v17, v17, v18, v20
	v_div_fixup_f32 v17, v17, v12, 1.0
	v_fma_f32 v12, v13, v2, v3
	v_fma_f32 v13, v13, v3, -v2
	v_mul_f32_e32 v12, v12, v17
	v_mul_f32_e32 v13, v13, v17
	s_cbranch_execz .LBB142_56
	s_branch .LBB142_57
.LBB142_55:                             ;   in Loop: Header=BB142_46 Depth=1
                                        ; implicit-def: $vgpr13
.LBB142_56:                             ;   in Loop: Header=BB142_46 Depth=1
	v_div_scale_f32 v12, s[2:3], v4, v4, v5
	v_rcp_f32_e32 v13, v12
	v_div_scale_f32 v17, vcc, v5, v4, v5
	v_fma_f32 v18, -v12, v13, 1.0
	v_fmac_f32_e32 v13, v18, v13
	v_mul_f32_e32 v18, v17, v13
	v_fma_f32 v19, -v12, v18, v17
	v_fmac_f32_e32 v18, v19, v13
	v_fma_f32 v12, -v12, v18, v17
	v_div_fmas_f32 v12, v12, v13, v18
	v_div_fixup_f32 v13, v12, v4, v5
	v_fmac_f32_e32 v4, v5, v13
	v_div_scale_f32 v5, s[2:3], v4, v4, 1.0
	v_rcp_f32_e32 v12, v5
	v_fma_f32 v17, -v5, v12, 1.0
	v_fmac_f32_e32 v12, v17, v12
	v_div_scale_f32 v17, vcc, 1.0, v4, 1.0
	v_mul_f32_e32 v18, v17, v12
	v_fma_f32 v19, -v5, v18, v17
	v_fmac_f32_e32 v18, v19, v12
	v_fma_f32 v5, -v5, v18, v17
	v_div_fmas_f32 v5, v5, v12, v18
	v_div_fixup_f32 v4, v5, v4, 1.0
	v_fma_f32 v5, v13, v3, v2
	v_fma_f32 v2, -v13, v2, v3
	v_mul_f32_e32 v12, v5, v4
	v_mul_f32_e32 v13, v2, v4
.LBB142_57:                             ;   in Loop: Header=BB142_46 Depth=1
	v_mov_b32_e32 v2, s8
	ds_read2_b64 v[2:5], v2 offset0:2 offset1:18
	s_add_i32 s7, s7, s5
	s_lshl_b32 s7, s7, 3
	ds_write_b64 v16, v[12:13]
	v_mov_b32_e32 v16, s7
	s_waitcnt lgkmcnt(1)
	v_mul_f32_e32 v17, v11, v3
	v_fma_f32 v18, v10, v2, -v17
	ds_read_b64 v[16:17], v16 offset:16
	v_mul_f32_e32 v3, v10, v3
	v_fmac_f32_e32 v3, v11, v2
	v_sub_f32_e32 v2, v8, v18
	v_sub_f32_e32 v3, v9, v3
	s_waitcnt lgkmcnt(0)
	v_mul_f32_e32 v8, v13, v17
	v_fma_f32 v8, v12, v16, -v8
	v_mul_f32_e32 v9, v12, v17
	v_cmp_gt_f32_e32 vcc, 0, v5
	v_fmac_f32_e32 v9, v13, v16
	v_sub_f32_e32 v2, v2, v8
	v_cndmask_b32_e64 v8, v5, -v5, vcc
	v_cmp_gt_f32_e32 vcc, 0, v4
	v_sub_f32_e32 v3, v3, v9
	v_cndmask_b32_e64 v9, v4, -v4, vcc
	v_cmp_ngt_f32_e32 vcc, v9, v8
	s_cbranch_vccz .LBB142_59
; %bb.58:                               ;   in Loop: Header=BB142_46 Depth=1
	v_div_scale_f32 v8, s[2:3], v5, v5, v4
	v_rcp_f32_e32 v9, v8
	v_div_scale_f32 v16, vcc, v4, v5, v4
	v_fma_f32 v17, -v8, v9, 1.0
	v_fmac_f32_e32 v9, v17, v9
	v_mul_f32_e32 v17, v16, v9
	v_fma_f32 v18, -v8, v17, v16
	v_fmac_f32_e32 v17, v18, v9
	v_fma_f32 v8, -v8, v17, v16
	v_div_fmas_f32 v8, v8, v9, v17
	v_div_fixup_f32 v9, v8, v5, v4
	v_fma_f32 v8, v4, v9, v5
	v_div_scale_f32 v16, s[2:3], v8, v8, 1.0
	v_rcp_f32_e32 v17, v16
	v_fma_f32 v18, -v16, v17, 1.0
	v_fmac_f32_e32 v17, v18, v17
	v_div_scale_f32 v18, vcc, 1.0, v8, 1.0
	v_mul_f32_e32 v19, v18, v17
	v_fma_f32 v20, -v16, v19, v18
	v_fmac_f32_e32 v19, v20, v17
	v_fma_f32 v16, -v16, v19, v18
	v_div_fmas_f32 v16, v16, v17, v19
	v_div_fixup_f32 v16, v16, v8, 1.0
	v_fma_f32 v8, v9, v2, v3
	v_fma_f32 v9, v9, v3, -v2
	v_mul_f32_e32 v8, v8, v16
	v_mul_f32_e32 v9, v9, v16
	s_cbranch_execz .LBB142_60
	s_branch .LBB142_61
.LBB142_59:                             ;   in Loop: Header=BB142_46 Depth=1
                                        ; implicit-def: $vgpr9
.LBB142_60:                             ;   in Loop: Header=BB142_46 Depth=1
	v_div_scale_f32 v8, s[2:3], v4, v4, v5
	v_rcp_f32_e32 v9, v8
	v_div_scale_f32 v16, vcc, v5, v4, v5
	v_fma_f32 v17, -v8, v9, 1.0
	v_fmac_f32_e32 v9, v17, v9
	v_mul_f32_e32 v17, v16, v9
	v_fma_f32 v18, -v8, v17, v16
	v_fmac_f32_e32 v17, v18, v9
	v_fma_f32 v8, -v8, v17, v16
	v_div_fmas_f32 v8, v8, v9, v17
	v_div_fixup_f32 v9, v8, v4, v5
	v_fmac_f32_e32 v4, v5, v9
	v_div_scale_f32 v5, s[2:3], v4, v4, 1.0
	v_rcp_f32_e32 v8, v5
	v_fma_f32 v16, -v5, v8, 1.0
	v_fmac_f32_e32 v8, v16, v8
	v_div_scale_f32 v16, vcc, 1.0, v4, 1.0
	v_mul_f32_e32 v17, v16, v8
	v_fma_f32 v18, -v5, v17, v16
	v_fmac_f32_e32 v17, v18, v8
	v_fma_f32 v5, -v5, v17, v16
	v_div_fmas_f32 v5, v5, v8, v17
	v_div_fixup_f32 v4, v5, v4, 1.0
	v_fma_f32 v5, v9, v3, v2
	v_fma_f32 v2, -v9, v2, v3
	v_mul_f32_e32 v8, v5, v4
	v_mul_f32_e32 v9, v2, v4
.LBB142_61:                             ;   in Loop: Header=BB142_46 Depth=1
	v_mov_b32_e32 v2, s8
	ds_read2_b64 v[2:5], v2 offset0:3 offset1:27
	ds_write_b64 v15, v[8:9]
	s_add_i32 s6, s6, s5
	s_lshl_b32 s2, s6, 3
	s_waitcnt lgkmcnt(1)
	v_mul_f32_e32 v15, v11, v3
	v_mul_f32_e32 v3, v10, v3
	v_fma_f32 v10, v10, v2, -v15
	v_fmac_f32_e32 v3, v11, v2
	v_mov_b32_e32 v2, s7
	v_sub_f32_e32 v11, v7, v3
	ds_read_b64 v[2:3], v2 offset:24
	v_sub_f32_e32 v10, v6, v10
	v_mov_b32_e32 v6, s2
	ds_read_b64 v[6:7], v6 offset:24
	v_cmp_gt_f32_e32 vcc, 0, v5
	s_waitcnt lgkmcnt(1)
	v_mul_f32_e32 v15, v13, v3
	v_fma_f32 v15, v12, v2, -v15
	v_mul_f32_e32 v3, v12, v3
	v_fmac_f32_e32 v3, v13, v2
	v_sub_f32_e32 v2, v10, v15
	s_waitcnt lgkmcnt(0)
	v_mul_f32_e32 v10, v9, v7
	v_fma_f32 v10, v8, v6, -v10
	v_mul_f32_e32 v7, v8, v7
	v_sub_f32_e32 v3, v11, v3
	v_fmac_f32_e32 v7, v9, v6
	v_sub_f32_e32 v6, v2, v10
	v_cndmask_b32_e64 v2, v5, -v5, vcc
	v_cmp_gt_f32_e32 vcc, 0, v4
	v_sub_f32_e32 v7, v3, v7
	v_cndmask_b32_e64 v3, v4, -v4, vcc
	v_cmp_ngt_f32_e32 vcc, v3, v2
	s_cbranch_vccz .LBB142_63
; %bb.62:                               ;   in Loop: Header=BB142_46 Depth=1
	v_div_scale_f32 v2, s[2:3], v5, v5, v4
	v_rcp_f32_e32 v3, v2
	v_div_scale_f32 v8, vcc, v4, v5, v4
	v_fma_f32 v9, -v2, v3, 1.0
	v_fmac_f32_e32 v3, v9, v3
	v_mul_f32_e32 v9, v8, v3
	v_fma_f32 v10, -v2, v9, v8
	v_fmac_f32_e32 v9, v10, v3
	v_fma_f32 v2, -v2, v9, v8
	v_div_fmas_f32 v2, v2, v3, v9
	v_div_fixup_f32 v3, v2, v5, v4
	v_fma_f32 v2, v4, v3, v5
	v_div_scale_f32 v8, s[2:3], v2, v2, 1.0
	v_rcp_f32_e32 v9, v8
	v_fma_f32 v10, -v8, v9, 1.0
	v_fmac_f32_e32 v9, v10, v9
	v_div_scale_f32 v10, vcc, 1.0, v2, 1.0
	v_mul_f32_e32 v11, v10, v9
	v_fma_f32 v12, -v8, v11, v10
	v_fmac_f32_e32 v11, v12, v9
	v_fma_f32 v8, -v8, v11, v10
	v_div_fmas_f32 v8, v8, v9, v11
	v_div_fixup_f32 v8, v8, v2, 1.0
	v_fma_f32 v2, v3, v6, v7
	v_fma_f32 v3, v3, v7, -v6
	v_mul_f32_e32 v2, v2, v8
	v_mul_f32_e32 v3, v3, v8
	s_cbranch_execz .LBB142_64
	s_branch .LBB142_65
.LBB142_63:                             ;   in Loop: Header=BB142_46 Depth=1
                                        ; implicit-def: $vgpr3
.LBB142_64:                             ;   in Loop: Header=BB142_46 Depth=1
	v_div_scale_f32 v2, s[2:3], v4, v4, v5
	v_rcp_f32_e32 v3, v2
	v_div_scale_f32 v8, vcc, v5, v4, v5
	v_fma_f32 v9, -v2, v3, 1.0
	v_fmac_f32_e32 v3, v9, v3
	v_mul_f32_e32 v9, v8, v3
	v_fma_f32 v10, -v2, v9, v8
	v_fmac_f32_e32 v9, v10, v3
	v_fma_f32 v2, -v2, v9, v8
	v_div_fmas_f32 v2, v2, v3, v9
	v_div_fixup_f32 v3, v2, v4, v5
	v_fmac_f32_e32 v4, v5, v3
	v_div_scale_f32 v2, s[2:3], v4, v4, 1.0
	v_rcp_f32_e32 v5, v2
	v_fma_f32 v8, -v2, v5, 1.0
	v_fmac_f32_e32 v5, v8, v5
	v_div_scale_f32 v8, vcc, 1.0, v4, 1.0
	v_mul_f32_e32 v9, v8, v5
	v_fma_f32 v10, -v2, v9, v8
	v_fmac_f32_e32 v9, v10, v5
	v_fma_f32 v2, -v2, v9, v8
	v_div_fmas_f32 v2, v2, v5, v9
	v_div_fixup_f32 v4, v2, v4, 1.0
	v_fma_f32 v2, v3, v7, v6
	v_fma_f32 v3, -v3, v6, v7
	v_mul_f32_e32 v2, v2, v4
	v_mul_f32_e32 v3, v3, v4
.LBB142_65:                             ;   in Loop: Header=BB142_46 Depth=1
	s_add_i32 s6, s5, 4
	s_add_i32 s2, s5, 7
	;; [unrolled: 1-line block ×3, first 2 shown]
	s_cmp_ge_i32 s2, s33
	ds_write_b64 v14, v[2:3]
	s_cbranch_scc1 .LBB142_67
; %bb.66:                               ;   in Loop: Header=BB142_46 Depth=1
	s_mov_b32 s5, s6
	s_branch .LBB142_46
.LBB142_67:
	s_cmp_ge_i32 s6, s33
	s_cbranch_scc1 .LBB142_82
; %bb.68:
	v_mov_b32_e32 v1, 0x200
	s_add_i32 s4, s6, -1
	v_lshl_or_b32 v1, v0, 3, v1
	s_lshl_b32 s5, s6, 3
	s_mov_b32 s7, 0
	v_lshlrev_b32_e32 v8, 3, v0
	s_mov_b32 s8, s6
	s_branch .LBB142_70
.LBB142_69:                             ;   in Loop: Header=BB142_70 Depth=1
	s_add_i32 s6, s6, 1
	s_add_i32 s7, s7, 1
	;; [unrolled: 1-line block ×3, first 2 shown]
	v_add_u16_e64 v2, s8, 1
	s_cmp_ge_i32 s6, s33
	v_readfirstlane_b32 s8, v2
	ds_write_b64 v9, v[6:7]
	s_cbranch_scc1 .LBB142_82
.LBB142_70:                             ; =>This Loop Header: Depth=1
                                        ;     Child Loop BB142_73 Depth 2
                                        ;     Child Loop BB142_77 Depth 2
	v_lshl_or_b32 v4, s6, 6, v8
	ds_read_b64 v[2:3], v4 offset:512
	s_cmp_eq_u32 s6, 0
	s_cbranch_scc1 .LBB142_78
; %bb.71:                               ;   in Loop: Header=BB142_70 Depth=1
	s_add_i32 s2, s4, s7
	s_cmp_lt_u32 s2, 7
	s_cbranch_scc1 .LBB142_75
; %bb.72:                               ;   in Loop: Header=BB142_70 Depth=1
	s_and_b32 s2, s6, -8
	s_mov_b32 s3, 0
	s_mov_b32 s9, s5
	v_mov_b32_e32 v5, v1
.LBB142_73:                             ;   Parent Loop BB142_70 Depth=1
                                        ; =>  This Inner Loop Header: Depth=2
	ds_read2_b64 v[10:13], v5 offset1:8
	v_mov_b32_e32 v6, s9
	ds_read2_b64 v[14:17], v5 offset0:16 offset1:24
	ds_read2_b64 v[18:21], v5 offset0:32 offset1:40
	;; [unrolled: 1-line block ×3, first 2 shown]
	ds_read2_b64 v[26:29], v6 offset1:8
	ds_read2_b64 v[30:33], v6 offset0:16 offset1:24
	ds_read2_b64 v[34:37], v6 offset0:32 offset1:40
	ds_read2_b64 v[38:41], v6 offset0:48 offset1:56
	s_add_i32 s3, s3, 8
	s_waitcnt lgkmcnt(3)
	v_pk_mul_f32 v[6:7], v[26:27], v[10:11] op_sel:[0,1]
	v_pk_mul_f32 v[42:43], v[28:29], v[12:13] op_sel:[0,1]
	v_pk_fma_f32 v[56:57], v[26:27], v[10:11], v[6:7] op_sel:[0,0,1] op_sel_hi:[1,0,0]
	v_pk_fma_f32 v[6:7], v[26:27], v[10:11], v[6:7] op_sel:[0,0,1] op_sel_hi:[1,0,0] neg_lo:[0,0,1] neg_hi:[0,0,1]
	s_waitcnt lgkmcnt(2)
	v_pk_mul_f32 v[44:45], v[30:31], v[14:15] op_sel:[0,1]
	v_pk_fma_f32 v[10:11], v[28:29], v[12:13], v[42:43] op_sel:[0,0,1] op_sel_hi:[1,0,0]
	v_pk_fma_f32 v[12:13], v[28:29], v[12:13], v[42:43] op_sel:[0,0,1] op_sel_hi:[1,0,0] neg_lo:[0,0,1] neg_hi:[0,0,1]
	v_mov_b32_e32 v7, v57
	v_pk_mul_f32 v[46:47], v[32:33], v[16:17] op_sel:[0,1]
	v_pk_fma_f32 v[26:27], v[30:31], v[14:15], v[44:45] op_sel:[0,0,1] op_sel_hi:[1,0,0]
	v_pk_fma_f32 v[14:15], v[30:31], v[14:15], v[44:45] op_sel:[0,0,1] op_sel_hi:[1,0,0] neg_lo:[0,0,1] neg_hi:[0,0,1]
	v_mov_b32_e32 v13, v11
	v_pk_add_f32 v[2:3], v[2:3], v[6:7] neg_lo:[0,1] neg_hi:[0,1]
	s_waitcnt lgkmcnt(1)
	v_pk_mul_f32 v[48:49], v[34:35], v[18:19] op_sel:[0,1]
	v_pk_fma_f32 v[28:29], v[32:33], v[16:17], v[46:47] op_sel:[0,0,1] op_sel_hi:[1,0,0]
	v_pk_fma_f32 v[16:17], v[32:33], v[16:17], v[46:47] op_sel:[0,0,1] op_sel_hi:[1,0,0] neg_lo:[0,0,1] neg_hi:[0,0,1]
	v_mov_b32_e32 v15, v27
	v_pk_add_f32 v[2:3], v[2:3], v[12:13] neg_lo:[0,1] neg_hi:[0,1]
	v_pk_mul_f32 v[50:51], v[36:37], v[20:21] op_sel:[0,1]
	v_pk_fma_f32 v[30:31], v[34:35], v[18:19], v[48:49] op_sel:[0,0,1] op_sel_hi:[1,0,0]
	v_pk_fma_f32 v[18:19], v[34:35], v[18:19], v[48:49] op_sel:[0,0,1] op_sel_hi:[1,0,0] neg_lo:[0,0,1] neg_hi:[0,0,1]
	v_mov_b32_e32 v17, v29
	v_pk_add_f32 v[2:3], v[2:3], v[14:15] neg_lo:[0,1] neg_hi:[0,1]
	s_waitcnt lgkmcnt(0)
	v_pk_mul_f32 v[52:53], v[38:39], v[22:23] op_sel:[0,1]
	v_pk_fma_f32 v[32:33], v[36:37], v[20:21], v[50:51] op_sel:[0,0,1] op_sel_hi:[1,0,0]
	v_pk_fma_f32 v[20:21], v[36:37], v[20:21], v[50:51] op_sel:[0,0,1] op_sel_hi:[1,0,0] neg_lo:[0,0,1] neg_hi:[0,0,1]
	v_mov_b32_e32 v19, v31
	v_pk_add_f32 v[2:3], v[2:3], v[16:17] neg_lo:[0,1] neg_hi:[0,1]
	v_pk_mul_f32 v[54:55], v[40:41], v[24:25] op_sel:[0,1]
	v_pk_fma_f32 v[34:35], v[38:39], v[22:23], v[52:53] op_sel:[0,0,1] op_sel_hi:[1,0,0]
	v_pk_fma_f32 v[22:23], v[38:39], v[22:23], v[52:53] op_sel:[0,0,1] op_sel_hi:[1,0,0] neg_lo:[0,0,1] neg_hi:[0,0,1]
	v_mov_b32_e32 v21, v33
	v_pk_add_f32 v[2:3], v[2:3], v[18:19] neg_lo:[0,1] neg_hi:[0,1]
	v_pk_fma_f32 v[36:37], v[40:41], v[24:25], v[54:55] op_sel:[0,0,1] op_sel_hi:[1,0,0]
	v_pk_fma_f32 v[24:25], v[40:41], v[24:25], v[54:55] op_sel:[0,0,1] op_sel_hi:[1,0,0] neg_lo:[0,0,1] neg_hi:[0,0,1]
	v_mov_b32_e32 v23, v35
	v_pk_add_f32 v[2:3], v[2:3], v[20:21] neg_lo:[0,1] neg_hi:[0,1]
	s_addk_i32 s9, 0x200
	v_mov_b32_e32 v25, v37
	v_pk_add_f32 v[2:3], v[2:3], v[22:23] neg_lo:[0,1] neg_hi:[0,1]
	v_add_u32_e32 v5, 0x200, v5
	s_cmp_eq_u32 s2, s3
	v_pk_add_f32 v[2:3], v[2:3], v[24:25] neg_lo:[0,1] neg_hi:[0,1]
	s_cbranch_scc0 .LBB142_73
; %bb.74:                               ;   in Loop: Header=BB142_70 Depth=1
	s_and_b32 s3, s6, 7
	s_cmp_eq_u32 s3, 0
	s_cbranch_scc0 .LBB142_76
	s_branch .LBB142_78
.LBB142_75:                             ;   in Loop: Header=BB142_70 Depth=1
	s_mov_b32 s2, 0
	s_and_b32 s3, s6, 7
	s_cmp_eq_u32 s3, 0
	s_cbranch_scc1 .LBB142_78
.LBB142_76:                             ;   in Loop: Header=BB142_70 Depth=1
	s_and_b32 s3, s8, 7
	s_lshl_b32 s2, s2, 6
.LBB142_77:                             ;   Parent Loop BB142_70 Depth=1
                                        ; =>  This Inner Loop Header: Depth=2
	v_add_u32_e32 v5, s2, v1
	s_add_i32 s9, s5, s2
	ds_read_b64 v[6:7], v5
	v_mov_b32_e32 v5, s9
	ds_read_b64 v[10:11], v5
	s_add_i32 s2, s2, 64
	s_add_i32 s3, s3, -1
	s_cmp_lg_u32 s3, 0
	s_waitcnt lgkmcnt(0)
	v_pk_mul_f32 v[12:13], v[10:11], v[6:7] op_sel:[0,1]
	v_pk_fma_f32 v[14:15], v[10:11], v[6:7], v[12:13] op_sel:[0,0,1] op_sel_hi:[1,0,0]
	v_pk_fma_f32 v[6:7], v[10:11], v[6:7], v[12:13] op_sel:[0,0,1] op_sel_hi:[1,0,0] neg_lo:[0,0,1] neg_hi:[0,0,1]
	v_mov_b32_e32 v7, v15
	v_pk_add_f32 v[2:3], v[2:3], v[6:7] neg_lo:[0,1] neg_hi:[0,1]
	s_cbranch_scc1 .LBB142_77
.LBB142_78:                             ;   in Loop: Header=BB142_70 Depth=1
	s_mul_i32 s2, s6, 0x48
	v_add_u32_e32 v9, 0x200, v4
	v_mov_b32_e32 v4, s2
	ds_read_b64 v[4:5], v4
	s_waitcnt lgkmcnt(0)
	v_cmp_gt_f32_e32 vcc, 0, v5
	v_cndmask_b32_e64 v6, v5, -v5, vcc
	v_cmp_gt_f32_e32 vcc, 0, v4
	v_cndmask_b32_e64 v7, v4, -v4, vcc
	v_cmp_ngt_f32_e32 vcc, v7, v6
	s_cbranch_vccz .LBB142_80
; %bb.79:                               ;   in Loop: Header=BB142_70 Depth=1
	v_div_scale_f32 v6, s[2:3], v5, v5, v4
	v_rcp_f32_e32 v7, v6
	v_div_scale_f32 v10, vcc, v4, v5, v4
	v_fma_f32 v11, -v6, v7, 1.0
	v_fmac_f32_e32 v7, v11, v7
	v_mul_f32_e32 v11, v10, v7
	v_fma_f32 v12, -v6, v11, v10
	v_fmac_f32_e32 v11, v12, v7
	v_fma_f32 v6, -v6, v11, v10
	v_div_fmas_f32 v6, v6, v7, v11
	v_div_fixup_f32 v6, v6, v5, v4
	v_fma_f32 v7, v4, v6, v5
	v_div_scale_f32 v10, s[2:3], v7, v7, 1.0
	v_rcp_f32_e32 v11, v10
	v_fma_f32 v12, -v10, v11, 1.0
	v_fmac_f32_e32 v11, v12, v11
	v_div_scale_f32 v12, vcc, 1.0, v7, 1.0
	v_mul_f32_e32 v13, v12, v11
	v_fma_f32 v14, -v10, v13, v12
	v_fmac_f32_e32 v13, v14, v11
	v_fma_f32 v10, -v10, v13, v12
	v_div_fmas_f32 v10, v10, v11, v13
	v_div_fixup_f32 v10, v10, v7, 1.0
	v_pk_fma_f32 v[12:13], v[2:3], v[6:7], v[2:3] op_sel:[0,0,1] op_sel_hi:[1,0,0] neg_lo:[0,0,1] neg_hi:[0,0,1]
	v_pk_fma_f32 v[6:7], v[2:3], v[6:7], v[2:3] op_sel:[0,0,1] op_sel_hi:[1,0,0]
	v_mov_b32_e32 v7, v13
	v_pk_mul_f32 v[6:7], v[6:7], v[10:11] op_sel_hi:[1,0]
	s_cbranch_execnz .LBB142_69
	s_branch .LBB142_81
.LBB142_80:                             ;   in Loop: Header=BB142_70 Depth=1
                                        ; implicit-def: $vgpr6_vgpr7
.LBB142_81:                             ;   in Loop: Header=BB142_70 Depth=1
	v_div_scale_f32 v6, s[2:3], v4, v4, v5
	v_rcp_f32_e32 v7, v6
	v_div_scale_f32 v10, vcc, v5, v4, v5
	v_fma_f32 v11, -v6, v7, 1.0
	v_fmac_f32_e32 v7, v11, v7
	v_mul_f32_e32 v11, v10, v7
	v_fma_f32 v12, -v6, v11, v10
	v_fmac_f32_e32 v11, v12, v7
	v_fma_f32 v6, -v6, v11, v10
	v_div_fmas_f32 v6, v6, v7, v11
	v_div_fixup_f32 v6, v6, v4, v5
	v_fmac_f32_e32 v4, v5, v6
	v_div_scale_f32 v5, s[2:3], v4, v4, 1.0
	v_rcp_f32_e32 v7, v5
	v_fma_f32 v10, -v5, v7, 1.0
	v_fmac_f32_e32 v7, v10, v7
	v_div_scale_f32 v10, vcc, 1.0, v4, 1.0
	v_mul_f32_e32 v11, v10, v7
	v_fma_f32 v12, -v5, v11, v10
	v_fmac_f32_e32 v11, v12, v7
	v_fma_f32 v5, -v5, v11, v10
	v_div_fmas_f32 v5, v5, v7, v11
	v_pk_mul_f32 v[6:7], v[2:3], v[6:7] op_sel_hi:[1,0]
	v_pk_add_f32 v[10:11], v[2:3], v[6:7] op_sel:[0,1] op_sel_hi:[1,0] neg_lo:[0,1] neg_hi:[0,1]
	v_pk_add_f32 v[2:3], v[2:3], v[6:7] op_sel:[0,1] op_sel_hi:[1,0]
	v_div_fixup_f32 v4, v5, v4, 1.0
	v_mov_b32_e32 v3, v11
	v_pk_mul_f32 v[6:7], v[2:3], v[4:5] op_sel_hi:[1,0]
	s_branch .LBB142_69
.LBB142_82:
	s_mov_b64 s[2:3], 0
.LBB142_83:
	s_and_b64 vcc, exec, s[2:3]
	s_cbranch_vccz .LBB142_115
; %bb.84:
	s_andn2_b64 vcc, exec, s[0:1]
	s_mov_b32 s6, s50
	s_cbranch_vccnz .LBB142_106
; %bb.85:
	v_lshlrev_b32_e32 v1, 3, v0
	v_lshl_or_b32 v2, s33, 6, v1
	s_mul_i32 s2, s33, 0x48
	v_add_u32_e32 v14, 0x180, v2
	s_add_i32 s4, s2, 0xffffff60
	s_mov_b32 s5, s50
.LBB142_86:                             ; =>This Loop Header: Depth=1
                                        ;     Child Loop BB142_87 Depth 2
	s_lshl_b32 s9, s5, 3
	s_add_i32 s11, s5, -1
	v_or_b32_e32 v2, s9, v0
	s_lshl_b32 s7, s11, 3
	s_add_i32 s10, s5, -2
	v_lshlrev_b32_e32 v6, 3, v2
	v_or_b32_e32 v2, s7, v0
	s_lshl_b32 s6, s10, 3
	v_lshlrev_b32_e32 v7, 3, v2
	v_or_b32_e32 v2, s6, v0
	s_add_i32 s8, s5, -3
	v_lshlrev_b32_e32 v12, 3, v2
	v_lshl_or_b32 v13, s8, 6, v1
	ds_read_b64 v[10:11], v6 offset:512
	ds_read_b64 v[8:9], v7 offset:512
	;; [unrolled: 1-line block ×4, first 2 shown]
	s_cmp_le_i32 s50, s5
	s_mov_b32 s2, s4
	v_mov_b32_e32 v15, v14
	s_mov_b32 s3, s50
	s_cbranch_scc1 .LBB142_88
.LBB142_87:                             ;   Parent Loop BB142_86 Depth=1
                                        ; =>  This Inner Loop Header: Depth=2
	ds_read2_b64 v[16:19], v15 offset1:8
	v_mov_b32_e32 v32, s2
	ds_read2_b64 v[20:23], v32 offset0:10 offset1:11
	ds_read2_b64 v[24:27], v32 offset0:8 offset1:9
	;; [unrolled: 1-line block ×3, first 2 shown]
	ds_read2_b64 v[32:35], v32 offset1:1
	s_add_i32 s3, s3, -2
	s_addk_i32 s2, 0xff80
	s_waitcnt lgkmcnt(3)
	v_mul_f32_e32 v36, v23, v19
	v_mul_f32_e32 v37, v22, v19
	v_mul_f32_e32 v38, v21, v19
	v_mul_f32_e32 v21, v21, v18
	s_waitcnt lgkmcnt(2)
	v_mul_f32_e32 v39, v27, v19
	v_mul_f32_e32 v27, v27, v18
	v_mul_f32_e32 v40, v25, v19
	v_mul_f32_e32 v25, v25, v18
	;; [unrolled: 5-line block ×4, first 2 shown]
	v_fma_f32 v22, v22, v18, -v36
	v_fmac_f32_e32 v37, v23, v18
	v_fma_f32 v23, v20, v18, -v38
	v_fmac_f32_e32 v21, v20, v19
	;; [unrolled: 2-line block ×8, first 2 shown]
	v_sub_f32_e32 v10, v10, v22
	v_sub_f32_e32 v11, v11, v37
	;; [unrolled: 1-line block ×8, first 2 shown]
	v_add_u32_e32 v15, 0xffffff80, v15
	s_cmp_le_i32 s3, s5
	v_sub_f32_e32 v10, v10, v19
	v_sub_f32_e32 v11, v11, v42
	;; [unrolled: 1-line block ×8, first 2 shown]
	s_cbranch_scc0 .LBB142_87
.LBB142_88:                             ;   in Loop: Header=BB142_86 Depth=1
	s_mul_i32 s12, s5, 0x48
	v_add_u32_e32 v18, 0x200, v6
	v_mov_b32_e32 v6, s12
	v_add_u32_e32 v16, 0x200, v12
	v_add_u32_e32 v15, 0x200, v13
	ds_read_b64 v[12:13], v6
	v_add_u32_e32 v17, 0x200, v7
	s_waitcnt lgkmcnt(0)
	v_cmp_gt_f32_e32 vcc, 0, v13
	v_cndmask_b32_e64 v6, v13, -v13, vcc
	v_cmp_gt_f32_e32 vcc, 0, v12
	v_cndmask_b32_e64 v7, v12, -v12, vcc
	v_cmp_ngt_f32_e32 vcc, v7, v6
	s_cbranch_vccz .LBB142_90
; %bb.89:                               ;   in Loop: Header=BB142_86 Depth=1
	v_div_scale_f32 v6, s[2:3], v13, v13, v12
	v_rcp_f32_e32 v7, v6
	v_div_scale_f32 v19, vcc, v12, v13, v12
	v_fma_f32 v20, -v6, v7, 1.0
	v_fmac_f32_e32 v7, v20, v7
	v_mul_f32_e32 v20, v19, v7
	v_fma_f32 v21, -v6, v20, v19
	v_fmac_f32_e32 v20, v21, v7
	v_fma_f32 v6, -v6, v20, v19
	v_div_fmas_f32 v6, v6, v7, v20
	v_div_fixup_f32 v7, v6, v13, v12
	v_fma_f32 v6, v12, v7, v13
	v_div_scale_f32 v19, s[2:3], v6, v6, 1.0
	v_rcp_f32_e32 v20, v19
	v_fma_f32 v21, -v19, v20, 1.0
	v_fmac_f32_e32 v20, v21, v20
	v_div_scale_f32 v21, vcc, 1.0, v6, 1.0
	v_mul_f32_e32 v22, v21, v20
	v_fma_f32 v23, -v19, v22, v21
	v_fmac_f32_e32 v22, v23, v20
	v_fma_f32 v19, -v19, v22, v21
	v_div_fmas_f32 v19, v19, v20, v22
	v_div_fixup_f32 v19, v19, v6, 1.0
	v_fma_f32 v6, v10, v7, v11
	v_fma_f32 v7, v11, v7, -v10
	v_mul_f32_e32 v6, v6, v19
	v_mul_f32_e32 v7, v7, v19
	s_cbranch_execz .LBB142_91
	s_branch .LBB142_92
.LBB142_90:                             ;   in Loop: Header=BB142_86 Depth=1
                                        ; implicit-def: $vgpr7
.LBB142_91:                             ;   in Loop: Header=BB142_86 Depth=1
	v_div_scale_f32 v6, s[2:3], v12, v12, v13
	v_rcp_f32_e32 v7, v6
	v_div_scale_f32 v19, vcc, v13, v12, v13
	v_fma_f32 v20, -v6, v7, 1.0
	v_fmac_f32_e32 v7, v20, v7
	v_mul_f32_e32 v20, v19, v7
	v_fma_f32 v21, -v6, v20, v19
	v_fmac_f32_e32 v20, v21, v7
	v_fma_f32 v6, -v6, v20, v19
	v_div_fmas_f32 v6, v6, v7, v20
	v_div_fixup_f32 v7, v6, v12, v13
	v_fmac_f32_e32 v12, v13, v7
	v_div_scale_f32 v6, s[2:3], v12, v12, 1.0
	v_rcp_f32_e32 v13, v6
	v_fma_f32 v19, -v6, v13, 1.0
	v_fmac_f32_e32 v13, v19, v13
	v_div_scale_f32 v19, vcc, 1.0, v12, 1.0
	v_mul_f32_e32 v20, v19, v13
	v_fma_f32 v21, -v6, v20, v19
	v_fmac_f32_e32 v20, v21, v13
	v_fma_f32 v6, -v6, v20, v19
	v_div_fmas_f32 v6, v6, v13, v20
	v_div_fixup_f32 v12, v6, v12, 1.0
	v_fma_f32 v6, v11, v7, v10
	v_fma_f32 v7, -v10, v7, v11
	v_mul_f32_e32 v6, v6, v12
	v_mul_f32_e32 v7, v7, v12
.LBB142_92:                             ;   in Loop: Header=BB142_86 Depth=1
	s_add_i32 s2, s9, s11
	s_lshl_b32 s2, s2, 3
	v_mov_b32_e32 v10, s2
	s_add_i32 s11, s12, 0xffffffb8
	ds_read_b64 v[12:13], v10
	v_mov_b32_e32 v10, s11
	ds_read_b64 v[10:11], v10
	ds_write_b64 v18, v[6:7]
	s_waitcnt lgkmcnt(2)
	v_mul_f32_e32 v18, v7, v13
	v_fma_f32 v18, v6, v12, -v18
	v_mul_f32_e32 v13, v6, v13
	s_waitcnt lgkmcnt(1)
	v_cmp_gt_f32_e32 vcc, 0, v11
	v_fmac_f32_e32 v13, v7, v12
	v_sub_f32_e32 v12, v8, v18
	v_cndmask_b32_e64 v8, v11, -v11, vcc
	v_cmp_gt_f32_e32 vcc, 0, v10
	v_sub_f32_e32 v13, v9, v13
	v_cndmask_b32_e64 v9, v10, -v10, vcc
	v_cmp_ngt_f32_e32 vcc, v9, v8
	s_cbranch_vccz .LBB142_94
; %bb.93:                               ;   in Loop: Header=BB142_86 Depth=1
	v_div_scale_f32 v8, s[2:3], v11, v11, v10
	v_rcp_f32_e32 v9, v8
	v_div_scale_f32 v18, vcc, v10, v11, v10
	v_fma_f32 v19, -v8, v9, 1.0
	v_fmac_f32_e32 v9, v19, v9
	v_mul_f32_e32 v19, v18, v9
	v_fma_f32 v20, -v8, v19, v18
	v_fmac_f32_e32 v19, v20, v9
	v_fma_f32 v8, -v8, v19, v18
	v_div_fmas_f32 v8, v8, v9, v19
	v_div_fixup_f32 v9, v8, v11, v10
	v_fma_f32 v8, v10, v9, v11
	v_div_scale_f32 v18, s[2:3], v8, v8, 1.0
	v_rcp_f32_e32 v19, v18
	v_fma_f32 v20, -v18, v19, 1.0
	v_fmac_f32_e32 v19, v20, v19
	v_div_scale_f32 v20, vcc, 1.0, v8, 1.0
	v_mul_f32_e32 v21, v20, v19
	v_fma_f32 v22, -v18, v21, v20
	v_fmac_f32_e32 v21, v22, v19
	v_fma_f32 v18, -v18, v21, v20
	v_div_fmas_f32 v18, v18, v19, v21
	v_div_fixup_f32 v18, v18, v8, 1.0
	v_fma_f32 v8, v9, v12, v13
	v_fma_f32 v9, v9, v13, -v12
	v_mul_f32_e32 v8, v8, v18
	v_mul_f32_e32 v9, v9, v18
	s_cbranch_execz .LBB142_95
	s_branch .LBB142_96
.LBB142_94:                             ;   in Loop: Header=BB142_86 Depth=1
                                        ; implicit-def: $vgpr9
.LBB142_95:                             ;   in Loop: Header=BB142_86 Depth=1
	v_div_scale_f32 v8, s[2:3], v10, v10, v11
	v_rcp_f32_e32 v9, v8
	v_div_scale_f32 v18, vcc, v11, v10, v11
	v_fma_f32 v19, -v8, v9, 1.0
	v_fmac_f32_e32 v9, v19, v9
	v_mul_f32_e32 v19, v18, v9
	v_fma_f32 v20, -v8, v19, v18
	v_fmac_f32_e32 v19, v20, v9
	v_fma_f32 v8, -v8, v19, v18
	v_div_fmas_f32 v8, v8, v9, v19
	v_div_fixup_f32 v9, v8, v10, v11
	v_fmac_f32_e32 v10, v11, v9
	v_div_scale_f32 v8, s[2:3], v10, v10, 1.0
	v_rcp_f32_e32 v11, v8
	v_fma_f32 v18, -v8, v11, 1.0
	v_fmac_f32_e32 v11, v18, v11
	v_div_scale_f32 v18, vcc, 1.0, v10, 1.0
	v_mul_f32_e32 v19, v18, v11
	v_fma_f32 v20, -v8, v19, v18
	v_fmac_f32_e32 v19, v20, v11
	v_fma_f32 v8, -v8, v19, v18
	v_div_fmas_f32 v8, v8, v11, v19
	v_div_fixup_f32 v10, v8, v10, 1.0
	v_fma_f32 v8, v9, v13, v12
	v_fma_f32 v9, -v9, v12, v13
	v_mul_f32_e32 v8, v8, v10
	v_mul_f32_e32 v9, v9, v10
.LBB142_96:                             ;   in Loop: Header=BB142_86 Depth=1
	s_add_i32 s2, s9, s10
	s_lshl_b32 s2, s2, 3
	v_mov_b32_e32 v10, s2
	s_add_i32 s2, s7, s10
	s_lshl_b32 s2, s2, 3
	ds_read_b64 v[12:13], v10
	s_add_i32 s10, s11, 0xffffffb8
	ds_write_b64 v17, v[8:9]
	v_mov_b32_e32 v11, s2
	v_mov_b32_e32 v10, s10
	ds_read_b64 v[18:19], v11
	ds_read_b64 v[10:11], v10
	s_waitcnt lgkmcnt(3)
	v_mul_f32_e32 v17, v7, v13
	v_mul_f32_e32 v13, v6, v13
	v_fma_f32 v17, v6, v12, -v17
	v_fmac_f32_e32 v13, v7, v12
	s_waitcnt lgkmcnt(1)
	v_mul_f32_e32 v12, v9, v19
	v_sub_f32_e32 v4, v4, v17
	v_sub_f32_e32 v5, v5, v13
	v_fma_f32 v12, v8, v18, -v12
	v_mul_f32_e32 v13, v8, v19
	s_waitcnt lgkmcnt(0)
	v_cmp_gt_f32_e32 vcc, 0, v11
	v_fmac_f32_e32 v13, v9, v18
	v_sub_f32_e32 v4, v4, v12
	v_cndmask_b32_e64 v12, v11, -v11, vcc
	v_cmp_gt_f32_e32 vcc, 0, v10
	v_sub_f32_e32 v5, v5, v13
	v_cndmask_b32_e64 v13, v10, -v10, vcc
	v_cmp_ngt_f32_e32 vcc, v13, v12
	s_cbranch_vccz .LBB142_98
; %bb.97:                               ;   in Loop: Header=BB142_86 Depth=1
	v_div_scale_f32 v12, s[2:3], v11, v11, v10
	v_rcp_f32_e32 v13, v12
	v_div_scale_f32 v17, vcc, v10, v11, v10
	v_fma_f32 v18, -v12, v13, 1.0
	v_fmac_f32_e32 v13, v18, v13
	v_mul_f32_e32 v18, v17, v13
	v_fma_f32 v19, -v12, v18, v17
	v_fmac_f32_e32 v18, v19, v13
	v_fma_f32 v12, -v12, v18, v17
	v_div_fmas_f32 v12, v12, v13, v18
	v_div_fixup_f32 v13, v12, v11, v10
	v_fma_f32 v12, v10, v13, v11
	v_div_scale_f32 v17, s[2:3], v12, v12, 1.0
	v_rcp_f32_e32 v18, v17
	v_fma_f32 v19, -v17, v18, 1.0
	v_fmac_f32_e32 v18, v19, v18
	v_div_scale_f32 v19, vcc, 1.0, v12, 1.0
	v_mul_f32_e32 v20, v19, v18
	v_fma_f32 v21, -v17, v20, v19
	v_fmac_f32_e32 v20, v21, v18
	v_fma_f32 v17, -v17, v20, v19
	v_div_fmas_f32 v17, v17, v18, v20
	v_div_fixup_f32 v17, v17, v12, 1.0
	v_fma_f32 v12, v13, v4, v5
	v_fma_f32 v13, v13, v5, -v4
	v_mul_f32_e32 v12, v12, v17
	v_mul_f32_e32 v13, v13, v17
	s_cbranch_execz .LBB142_99
	s_branch .LBB142_100
.LBB142_98:                             ;   in Loop: Header=BB142_86 Depth=1
                                        ; implicit-def: $vgpr13
.LBB142_99:                             ;   in Loop: Header=BB142_86 Depth=1
	v_div_scale_f32 v12, s[2:3], v10, v10, v11
	v_rcp_f32_e32 v13, v12
	v_div_scale_f32 v17, vcc, v11, v10, v11
	v_fma_f32 v18, -v12, v13, 1.0
	v_fmac_f32_e32 v13, v18, v13
	v_mul_f32_e32 v18, v17, v13
	v_fma_f32 v19, -v12, v18, v17
	v_fmac_f32_e32 v18, v19, v13
	v_fma_f32 v12, -v12, v18, v17
	v_div_fmas_f32 v12, v12, v13, v18
	v_div_fixup_f32 v13, v12, v10, v11
	v_fmac_f32_e32 v10, v11, v13
	v_div_scale_f32 v11, s[2:3], v10, v10, 1.0
	v_rcp_f32_e32 v12, v11
	v_fma_f32 v17, -v11, v12, 1.0
	v_fmac_f32_e32 v12, v17, v12
	v_div_scale_f32 v17, vcc, 1.0, v10, 1.0
	v_mul_f32_e32 v18, v17, v12
	v_fma_f32 v19, -v11, v18, v17
	v_fmac_f32_e32 v18, v19, v12
	v_fma_f32 v11, -v11, v18, v17
	v_div_fmas_f32 v11, v11, v12, v18
	v_div_fixup_f32 v10, v11, v10, 1.0
	v_fma_f32 v11, v13, v5, v4
	v_fma_f32 v4, -v13, v4, v5
	v_mul_f32_e32 v12, v11, v10
	v_mul_f32_e32 v13, v4, v10
.LBB142_100:                            ;   in Loop: Header=BB142_86 Depth=1
	s_add_i32 s9, s9, s8
	s_lshl_b32 s2, s9, 3
	v_mov_b32_e32 v4, s2
	s_add_i32 s7, s7, s8
	ds_read_b64 v[10:11], v4
	s_lshl_b32 s2, s7, 3
	s_add_i32 s6, s6, s8
	v_mov_b32_e32 v5, s2
	s_lshl_b32 s2, s6, 3
	v_mov_b32_e32 v18, s2
	s_add_i32 s2, s10, 0xffffffb8
	ds_write_b64 v16, v[12:13]
	v_mov_b32_e32 v4, s2
	ds_read_b64 v[16:17], v5
	ds_read_b64 v[18:19], v18
	;; [unrolled: 1-line block ×3, first 2 shown]
	s_waitcnt lgkmcnt(4)
	v_mul_f32_e32 v20, v7, v11
	v_fma_f32 v20, v6, v10, -v20
	v_mul_f32_e32 v6, v6, v11
	v_fmac_f32_e32 v6, v7, v10
	v_sub_f32_e32 v3, v3, v6
	s_waitcnt lgkmcnt(2)
	v_mul_f32_e32 v6, v9, v17
	v_sub_f32_e32 v2, v2, v20
	v_fma_f32 v6, v8, v16, -v6
	v_mul_f32_e32 v7, v8, v17
	v_fmac_f32_e32 v7, v9, v16
	v_sub_f32_e32 v2, v2, v6
	s_waitcnt lgkmcnt(1)
	v_mul_f32_e32 v6, v13, v19
	v_sub_f32_e32 v3, v3, v7
	v_fma_f32 v6, v12, v18, -v6
	v_mul_f32_e32 v7, v12, v19
	s_waitcnt lgkmcnt(0)
	v_cmp_gt_f32_e32 vcc, 0, v5
	v_fmac_f32_e32 v7, v13, v18
	v_sub_f32_e32 v6, v2, v6
	v_cndmask_b32_e64 v2, v5, -v5, vcc
	v_cmp_gt_f32_e32 vcc, 0, v4
	v_sub_f32_e32 v7, v3, v7
	v_cndmask_b32_e64 v3, v4, -v4, vcc
	v_cmp_ngt_f32_e32 vcc, v3, v2
	s_cbranch_vccz .LBB142_102
; %bb.101:                              ;   in Loop: Header=BB142_86 Depth=1
	v_div_scale_f32 v2, s[2:3], v5, v5, v4
	v_rcp_f32_e32 v3, v2
	v_div_scale_f32 v8, vcc, v4, v5, v4
	v_fma_f32 v9, -v2, v3, 1.0
	v_fmac_f32_e32 v3, v9, v3
	v_mul_f32_e32 v9, v8, v3
	v_fma_f32 v10, -v2, v9, v8
	v_fmac_f32_e32 v9, v10, v3
	v_fma_f32 v2, -v2, v9, v8
	v_div_fmas_f32 v2, v2, v3, v9
	v_div_fixup_f32 v3, v2, v5, v4
	v_fma_f32 v2, v4, v3, v5
	v_div_scale_f32 v8, s[2:3], v2, v2, 1.0
	v_rcp_f32_e32 v9, v8
	v_fma_f32 v10, -v8, v9, 1.0
	v_fmac_f32_e32 v9, v10, v9
	v_div_scale_f32 v10, vcc, 1.0, v2, 1.0
	v_mul_f32_e32 v11, v10, v9
	v_fma_f32 v12, -v8, v11, v10
	v_fmac_f32_e32 v11, v12, v9
	v_fma_f32 v8, -v8, v11, v10
	v_div_fmas_f32 v8, v8, v9, v11
	v_div_fixup_f32 v8, v8, v2, 1.0
	v_fma_f32 v2, v3, v6, v7
	v_fma_f32 v3, v3, v7, -v6
	v_mul_f32_e32 v2, v2, v8
	v_mul_f32_e32 v3, v3, v8
	s_cbranch_execz .LBB142_103
	s_branch .LBB142_104
.LBB142_102:                            ;   in Loop: Header=BB142_86 Depth=1
                                        ; implicit-def: $vgpr3
.LBB142_103:                            ;   in Loop: Header=BB142_86 Depth=1
	v_div_scale_f32 v2, s[2:3], v4, v4, v5
	v_rcp_f32_e32 v3, v2
	v_div_scale_f32 v8, vcc, v5, v4, v5
	v_fma_f32 v9, -v2, v3, 1.0
	v_fmac_f32_e32 v3, v9, v3
	v_mul_f32_e32 v9, v8, v3
	v_fma_f32 v10, -v2, v9, v8
	v_fmac_f32_e32 v9, v10, v3
	v_fma_f32 v2, -v2, v9, v8
	v_div_fmas_f32 v2, v2, v3, v9
	v_div_fixup_f32 v3, v2, v4, v5
	v_fmac_f32_e32 v4, v5, v3
	v_div_scale_f32 v2, s[2:3], v4, v4, 1.0
	v_rcp_f32_e32 v5, v2
	v_fma_f32 v8, -v2, v5, 1.0
	v_fmac_f32_e32 v5, v8, v5
	v_div_scale_f32 v8, vcc, 1.0, v4, 1.0
	v_mul_f32_e32 v9, v8, v5
	v_fma_f32 v10, -v2, v9, v8
	v_fmac_f32_e32 v9, v10, v5
	v_fma_f32 v2, -v2, v9, v8
	v_div_fmas_f32 v2, v2, v5, v9
	v_div_fixup_f32 v4, v2, v4, 1.0
	v_fma_f32 v2, v3, v7, v6
	v_fma_f32 v3, -v3, v6, v7
	v_mul_f32_e32 v2, v2, v4
	v_mul_f32_e32 v3, v3, v4
.LBB142_104:                            ;   in Loop: Header=BB142_86 Depth=1
	s_add_i32 s6, s5, -4
	s_sub_i32 s4, s4, 32
	s_cmp_lt_i32 s5, 7
	ds_write_b64 v15, v[2:3]
	s_cbranch_scc1 .LBB142_106
; %bb.105:                              ;   in Loop: Header=BB142_86 Depth=1
	s_mov_b32 s5, s6
	s_branch .LBB142_86
.LBB142_106:
	s_cmp_lt_i32 s6, 0
	s_cbranch_scc1 .LBB142_115
; %bb.107:
	s_lshl_b32 s2, s33, 6
	s_lshl_b32 s3, s6, 3
	v_lshl_or_b32 v1, v0, 3, s2
	s_add_i32 s2, s2, s3
	v_add_u32_e32 v1, 0x1c0, v1
	s_sub_i32 s4, s2, 64
	v_lshlrev_b32_e32 v8, 3, v0
	s_branch .LBB142_109
.LBB142_108:                            ;   in Loop: Header=BB142_109 Depth=1
	s_add_i32 s2, s6, -1
	s_add_i32 s4, s4, -8
	s_cmp_lt_i32 s6, 1
	s_mov_b32 s6, s2
	ds_write_b64 v9, v[6:7]
	s_cbranch_scc1 .LBB142_115
.LBB142_109:                            ; =>This Loop Header: Depth=1
                                        ;     Child Loop BB142_110 Depth 2
	v_lshl_or_b32 v4, s6, 6, v8
	ds_read_b64 v[2:3], v4 offset:512
	s_cmp_le_i32 s50, s6
	s_mov_b32 s2, s4
	v_mov_b32_e32 v5, v1
	s_mov_b32 s3, s50
	s_cbranch_scc1 .LBB142_111
.LBB142_110:                            ;   Parent Loop BB142_109 Depth=1
                                        ; =>  This Inner Loop Header: Depth=2
	v_mov_b32_e32 v9, s2
	ds_read_b64 v[6:7], v5
	ds_read_b64 v[10:11], v9
	s_add_i32 s3, s3, -1
	s_sub_i32 s2, s2, 64
	v_subrev_u32_e32 v5, 64, v5
	s_cmp_le_i32 s3, s6
	s_waitcnt lgkmcnt(0)
	v_pk_mul_f32 v[12:13], v[10:11], v[6:7] op_sel:[0,1]
	v_pk_fma_f32 v[14:15], v[10:11], v[6:7], v[12:13] op_sel:[0,0,1] op_sel_hi:[1,0,0]
	v_pk_fma_f32 v[6:7], v[10:11], v[6:7], v[12:13] op_sel:[0,0,1] op_sel_hi:[1,0,0] neg_lo:[0,0,1] neg_hi:[0,0,1]
	v_mov_b32_e32 v7, v15
	v_pk_add_f32 v[2:3], v[2:3], v[6:7] neg_lo:[0,1] neg_hi:[0,1]
	s_cbranch_scc0 .LBB142_110
.LBB142_111:                            ;   in Loop: Header=BB142_109 Depth=1
	s_mul_i32 s2, s6, 0x48
	v_add_u32_e32 v9, 0x200, v4
	v_mov_b32_e32 v4, s2
	ds_read_b64 v[4:5], v4
	s_waitcnt lgkmcnt(0)
	v_cmp_gt_f32_e32 vcc, 0, v5
	v_cndmask_b32_e64 v6, v5, -v5, vcc
	v_cmp_gt_f32_e32 vcc, 0, v4
	v_cndmask_b32_e64 v7, v4, -v4, vcc
	v_cmp_ngt_f32_e32 vcc, v7, v6
	s_cbranch_vccz .LBB142_113
; %bb.112:                              ;   in Loop: Header=BB142_109 Depth=1
	v_div_scale_f32 v6, s[2:3], v5, v5, v4
	v_rcp_f32_e32 v7, v6
	v_div_scale_f32 v10, vcc, v4, v5, v4
	v_fma_f32 v11, -v6, v7, 1.0
	v_fmac_f32_e32 v7, v11, v7
	v_mul_f32_e32 v11, v10, v7
	v_fma_f32 v12, -v6, v11, v10
	v_fmac_f32_e32 v11, v12, v7
	v_fma_f32 v6, -v6, v11, v10
	v_div_fmas_f32 v6, v6, v7, v11
	v_div_fixup_f32 v6, v6, v5, v4
	v_fma_f32 v7, v4, v6, v5
	v_div_scale_f32 v10, s[2:3], v7, v7, 1.0
	v_rcp_f32_e32 v11, v10
	v_fma_f32 v12, -v10, v11, 1.0
	v_fmac_f32_e32 v11, v12, v11
	v_div_scale_f32 v12, vcc, 1.0, v7, 1.0
	v_mul_f32_e32 v13, v12, v11
	v_fma_f32 v14, -v10, v13, v12
	v_fmac_f32_e32 v13, v14, v11
	v_fma_f32 v10, -v10, v13, v12
	v_div_fmas_f32 v10, v10, v11, v13
	v_div_fixup_f32 v10, v10, v7, 1.0
	v_pk_fma_f32 v[12:13], v[2:3], v[6:7], v[2:3] op_sel:[0,0,1] op_sel_hi:[1,0,0] neg_lo:[0,0,1] neg_hi:[0,0,1]
	v_pk_fma_f32 v[6:7], v[2:3], v[6:7], v[2:3] op_sel:[0,0,1] op_sel_hi:[1,0,0]
	v_mov_b32_e32 v7, v13
	v_pk_mul_f32 v[6:7], v[6:7], v[10:11] op_sel_hi:[1,0]
	s_cbranch_execnz .LBB142_108
	s_branch .LBB142_114
.LBB142_113:                            ;   in Loop: Header=BB142_109 Depth=1
                                        ; implicit-def: $vgpr6_vgpr7
.LBB142_114:                            ;   in Loop: Header=BB142_109 Depth=1
	v_div_scale_f32 v6, s[2:3], v4, v4, v5
	v_rcp_f32_e32 v7, v6
	v_div_scale_f32 v10, vcc, v5, v4, v5
	v_fma_f32 v11, -v6, v7, 1.0
	v_fmac_f32_e32 v7, v11, v7
	v_mul_f32_e32 v11, v10, v7
	v_fma_f32 v12, -v6, v11, v10
	v_fmac_f32_e32 v11, v12, v7
	v_fma_f32 v6, -v6, v11, v10
	v_div_fmas_f32 v6, v6, v7, v11
	v_div_fixup_f32 v6, v6, v4, v5
	v_fmac_f32_e32 v4, v5, v6
	v_div_scale_f32 v5, s[2:3], v4, v4, 1.0
	v_rcp_f32_e32 v7, v5
	v_fma_f32 v10, -v5, v7, 1.0
	v_fmac_f32_e32 v7, v10, v7
	v_div_scale_f32 v10, vcc, 1.0, v4, 1.0
	v_mul_f32_e32 v11, v10, v7
	v_fma_f32 v12, -v5, v11, v10
	v_fmac_f32_e32 v11, v12, v7
	v_fma_f32 v5, -v5, v11, v10
	v_div_fmas_f32 v5, v5, v7, v11
	v_pk_mul_f32 v[6:7], v[2:3], v[6:7] op_sel_hi:[1,0]
	v_pk_add_f32 v[10:11], v[2:3], v[6:7] op_sel:[0,1] op_sel_hi:[1,0] neg_lo:[0,1] neg_hi:[0,1]
	v_pk_add_f32 v[2:3], v[2:3], v[6:7] op_sel:[0,1] op_sel_hi:[1,0]
	v_div_fixup_f32 v4, v5, v4, 1.0
	v_mov_b32_e32 v3, v11
	v_pk_mul_f32 v[6:7], v[2:3], v[4:5] op_sel_hi:[1,0]
	s_branch .LBB142_108
.LBB142_115:
	s_mov_b64 s[4:5], 0
.LBB142_116:
	s_andn2_b64 vcc, exec, s[4:5]
	s_cbranch_vccnz .LBB142_148
; %bb.117:
	s_andn2_b64 vcc, exec, s[0:1]
	s_mov_b32 s4, s50
	s_cbranch_vccnz .LBB142_139
; %bb.118:
	v_lshlrev_b32_e32 v1, 3, v0
	v_lshl_or_b32 v2, s33, 6, v1
	s_mul_i32 s0, s33, 0x48
	v_add_u32_e32 v14, 0x180, v2
	s_add_i32 s2, s0, 0xfffffef0
	s_mov_b32 s3, s50
.LBB142_119:                            ; =>This Loop Header: Depth=1
                                        ;     Child Loop BB142_120 Depth 2
	s_lshl_b32 s0, s3, 3
	v_or_b32_e32 v2, s0, v0
	s_add_i32 s6, s0, -16
	v_lshlrev_b32_e32 v4, 3, v2
	v_or_b32_e32 v2, s6, v0
	s_sub_i32 s5, s0, 24
	s_add_i32 s4, s3, -1
	v_lshlrev_b32_e32 v10, 3, v2
	v_or_b32_e32 v2, s5, v0
	v_lshl_or_b32 v5, s4, 6, v1
	v_lshlrev_b32_e32 v11, 3, v2
	ds_read_b64 v[2:3], v4 offset:512
	ds_read_b64 v[12:13], v5 offset:512
	;; [unrolled: 1-line block ×4, first 2 shown]
	s_cmp_le_i32 s50, s3
	s_mov_b32 s0, s2
	v_mov_b32_e32 v15, v14
	s_mov_b32 s1, s50
	s_cbranch_scc1 .LBB142_121
.LBB142_120:                            ;   Parent Loop BB142_119 Depth=1
                                        ; =>  This Inner Loop Header: Depth=2
	v_mov_b32_e32 v32, s0
	ds_read2_b64 v[16:19], v15 offset1:8
	ds_read2_b64 v[20:23], v32 offset0:24 offset1:25
	ds_read2_b64 v[24:27], v32 offset0:16 offset1:17
	ds_read2_b64 v[28:31], v32 offset0:8 offset1:9
	ds_read2_b64 v[32:35], v32 offset1:1
	s_add_i32 s1, s1, -2
	s_add_i32 s0, s0, -16
	v_add_u32_e32 v15, 0xffffff80, v15
	s_waitcnt lgkmcnt(3)
	v_mul_f32_e32 v36, v23, v19
	v_mul_f32_e32 v37, v22, v19
	s_waitcnt lgkmcnt(2)
	v_mul_f32_e32 v38, v27, v19
	v_mul_f32_e32 v27, v27, v18
	s_waitcnt lgkmcnt(1)
	v_mul_f32_e32 v39, v31, v19
	v_mul_f32_e32 v31, v31, v18
	s_waitcnt lgkmcnt(0)
	v_mul_f32_e32 v40, v35, v19
	v_mul_f32_e32 v35, v35, v18
	v_mul_f32_e32 v41, v21, v17
	v_mul_f32_e32 v42, v20, v17
	;; [unrolled: 1-line block ×8, first 2 shown]
	v_fma_f32 v22, v22, v18, -v36
	v_fmac_f32_e32 v37, v23, v18
	v_fma_f32 v23, v26, v18, -v38
	v_fmac_f32_e32 v27, v26, v19
	;; [unrolled: 2-line block ×8, first 2 shown]
	v_sub_f32_e32 v2, v2, v22
	v_sub_f32_e32 v3, v3, v37
	;; [unrolled: 1-line block ×8, first 2 shown]
	s_cmp_le_i32 s1, s3
	v_sub_f32_e32 v2, v2, v19
	v_sub_f32_e32 v3, v3, v42
	;; [unrolled: 1-line block ×8, first 2 shown]
	s_cbranch_scc0 .LBB142_120
.LBB142_121:                            ;   in Loop: Header=BB142_119 Depth=1
	s_mul_i32 s7, s3, 0x48
	v_add_u32_e32 v18, 0x200, v4
	v_mov_b32_e32 v4, s7
	v_add_u32_e32 v17, 0x200, v5
	ds_read_b64 v[4:5], v4
	v_add_u32_e32 v16, 0x200, v10
	v_add_u32_e32 v15, 0x200, v11
	s_waitcnt lgkmcnt(0)
	v_cmp_gt_f32_e32 vcc, 0, v5
	v_cndmask_b32_e64 v10, v5, -v5, vcc
	v_cmp_gt_f32_e32 vcc, 0, v4
	v_cndmask_b32_e64 v11, v4, -v4, vcc
	v_cmp_ngt_f32_e32 vcc, v11, v10
	s_cbranch_vccz .LBB142_123
; %bb.122:                              ;   in Loop: Header=BB142_119 Depth=1
	v_div_scale_f32 v10, s[0:1], v5, v5, v4
	v_rcp_f32_e32 v11, v10
	v_div_scale_f32 v19, vcc, v4, v5, v4
	v_fma_f32 v20, -v10, v11, 1.0
	v_fmac_f32_e32 v11, v20, v11
	v_mul_f32_e32 v20, v19, v11
	v_fma_f32 v21, -v10, v20, v19
	v_fmac_f32_e32 v20, v21, v11
	v_fma_f32 v10, -v10, v20, v19
	v_div_fmas_f32 v10, v10, v11, v20
	v_div_fixup_f32 v11, v10, v5, v4
	v_fma_f32 v10, v4, v11, v5
	v_div_scale_f32 v19, s[0:1], v10, v10, 1.0
	v_rcp_f32_e32 v20, v19
	v_fma_f32 v21, -v19, v20, 1.0
	v_fmac_f32_e32 v20, v21, v20
	v_div_scale_f32 v21, vcc, 1.0, v10, 1.0
	v_mul_f32_e32 v22, v21, v20
	v_fma_f32 v23, -v19, v22, v21
	v_fmac_f32_e32 v22, v23, v20
	v_fma_f32 v19, -v19, v22, v21
	v_div_fmas_f32 v19, v19, v20, v22
	v_div_fixup_f32 v19, v19, v10, 1.0
	v_fma_f32 v10, v2, v11, v3
	v_fma_f32 v11, v3, v11, -v2
	v_mul_f32_e32 v10, v10, v19
	v_mul_f32_e32 v11, v11, v19
	s_cbranch_execz .LBB142_124
	s_branch .LBB142_125
.LBB142_123:                            ;   in Loop: Header=BB142_119 Depth=1
                                        ; implicit-def: $vgpr11
.LBB142_124:                            ;   in Loop: Header=BB142_119 Depth=1
	v_div_scale_f32 v10, s[0:1], v4, v4, v5
	v_rcp_f32_e32 v11, v10
	v_div_scale_f32 v19, vcc, v5, v4, v5
	v_fma_f32 v20, -v10, v11, 1.0
	v_fmac_f32_e32 v11, v20, v11
	v_mul_f32_e32 v20, v19, v11
	v_fma_f32 v21, -v10, v20, v19
	v_fmac_f32_e32 v20, v21, v11
	v_fma_f32 v10, -v10, v20, v19
	v_div_fmas_f32 v10, v10, v11, v20
	v_div_fixup_f32 v11, v10, v4, v5
	v_fmac_f32_e32 v4, v5, v11
	v_div_scale_f32 v5, s[0:1], v4, v4, 1.0
	v_rcp_f32_e32 v10, v5
	v_fma_f32 v19, -v5, v10, 1.0
	v_fmac_f32_e32 v10, v19, v10
	v_div_scale_f32 v19, vcc, 1.0, v4, 1.0
	v_mul_f32_e32 v20, v19, v10
	v_fma_f32 v21, -v5, v20, v19
	v_fmac_f32_e32 v20, v21, v10
	v_fma_f32 v5, -v5, v20, v19
	v_div_fmas_f32 v5, v5, v10, v20
	v_div_fixup_f32 v4, v5, v4, 1.0
	v_fma_f32 v5, v3, v11, v2
	v_fma_f32 v2, -v2, v11, v3
	v_mul_f32_e32 v10, v5, v4
	v_mul_f32_e32 v11, v2, v4
.LBB142_125:                            ;   in Loop: Header=BB142_119 Depth=1
	s_addk_i32 s7, 0xffb8
	v_mov_b32_e32 v2, s7
	ds_read2_b64 v[2:5], v2 offset1:1
	ds_write_b64 v18, v[10:11]
	s_waitcnt lgkmcnt(1)
	v_mul_f32_e32 v18, v11, v5
	v_mul_f32_e32 v5, v10, v5
	v_fma_f32 v18, v10, v4, -v18
	v_cmp_gt_f32_e32 vcc, 0, v3
	v_fmac_f32_e32 v5, v11, v4
	v_sub_f32_e32 v4, v12, v18
	v_cndmask_b32_e64 v12, v3, -v3, vcc
	v_cmp_gt_f32_e32 vcc, 0, v2
	v_sub_f32_e32 v5, v13, v5
	v_cndmask_b32_e64 v13, v2, -v2, vcc
	v_cmp_ngt_f32_e32 vcc, v13, v12
	s_cbranch_vccz .LBB142_127
; %bb.126:                              ;   in Loop: Header=BB142_119 Depth=1
	v_div_scale_f32 v12, s[0:1], v3, v3, v2
	v_rcp_f32_e32 v13, v12
	v_div_scale_f32 v18, vcc, v2, v3, v2
	v_fma_f32 v19, -v12, v13, 1.0
	v_fmac_f32_e32 v13, v19, v13
	v_mul_f32_e32 v19, v18, v13
	v_fma_f32 v20, -v12, v19, v18
	v_fmac_f32_e32 v19, v20, v13
	v_fma_f32 v12, -v12, v19, v18
	v_div_fmas_f32 v12, v12, v13, v19
	v_div_fixup_f32 v13, v12, v3, v2
	v_fma_f32 v12, v2, v13, v3
	v_div_scale_f32 v18, s[0:1], v12, v12, 1.0
	v_rcp_f32_e32 v19, v18
	v_fma_f32 v20, -v18, v19, 1.0
	v_fmac_f32_e32 v19, v20, v19
	v_div_scale_f32 v20, vcc, 1.0, v12, 1.0
	v_mul_f32_e32 v21, v20, v19
	v_fma_f32 v22, -v18, v21, v20
	v_fmac_f32_e32 v21, v22, v19
	v_fma_f32 v18, -v18, v21, v20
	v_div_fmas_f32 v18, v18, v19, v21
	v_div_fixup_f32 v18, v18, v12, 1.0
	v_fma_f32 v12, v13, v4, v5
	v_fma_f32 v13, v13, v5, -v4
	v_mul_f32_e32 v12, v12, v18
	v_mul_f32_e32 v13, v13, v18
	s_cbranch_execz .LBB142_128
	s_branch .LBB142_129
.LBB142_127:                            ;   in Loop: Header=BB142_119 Depth=1
                                        ; implicit-def: $vgpr13
.LBB142_128:                            ;   in Loop: Header=BB142_119 Depth=1
	v_div_scale_f32 v12, s[0:1], v2, v2, v3
	v_rcp_f32_e32 v13, v12
	v_div_scale_f32 v18, vcc, v3, v2, v3
	v_fma_f32 v19, -v12, v13, 1.0
	v_fmac_f32_e32 v13, v19, v13
	v_mul_f32_e32 v19, v18, v13
	v_fma_f32 v20, -v12, v19, v18
	v_fmac_f32_e32 v19, v20, v13
	v_fma_f32 v12, -v12, v19, v18
	v_div_fmas_f32 v12, v12, v13, v19
	v_div_fixup_f32 v13, v12, v2, v3
	v_fmac_f32_e32 v2, v3, v13
	v_div_scale_f32 v3, s[0:1], v2, v2, 1.0
	v_rcp_f32_e32 v12, v3
	v_fma_f32 v18, -v3, v12, 1.0
	v_fmac_f32_e32 v12, v18, v12
	v_div_scale_f32 v18, vcc, 1.0, v2, 1.0
	v_mul_f32_e32 v19, v18, v12
	v_fma_f32 v20, -v3, v19, v18
	v_fmac_f32_e32 v19, v20, v12
	v_fma_f32 v3, -v3, v19, v18
	v_div_fmas_f32 v3, v3, v12, v19
	v_div_fixup_f32 v2, v3, v2, 1.0
	v_fma_f32 v3, v13, v5, v4
	v_mul_f32_e32 v12, v3, v2
	v_fma_f32 v3, -v13, v4, v5
	v_mul_f32_e32 v13, v3, v2
.LBB142_129:                            ;   in Loop: Header=BB142_119 Depth=1
	s_add_i32 s6, s6, s3
	s_lshl_b32 s0, s6, 3
	v_mov_b32_e32 v2, s0
	ds_read_b64 v[18:19], v2
	s_add_i32 s6, s7, 0xffffffb8
	v_mov_b32_e32 v2, s6
	ds_read2_b64 v[2:5], v2 offset1:1
	ds_write_b64 v17, v[12:13]
	s_waitcnt lgkmcnt(2)
	v_mul_f32_e32 v17, v11, v19
	v_fma_f32 v17, v10, v18, -v17
	v_mul_f32_e32 v19, v10, v19
	v_sub_f32_e32 v8, v8, v17
	s_waitcnt lgkmcnt(1)
	v_mul_f32_e32 v17, v13, v5
	v_fmac_f32_e32 v19, v11, v18
	v_fma_f32 v17, v12, v4, -v17
	v_mul_f32_e32 v5, v12, v5
	v_cmp_gt_f32_e32 vcc, 0, v3
	v_sub_f32_e32 v9, v9, v19
	v_fmac_f32_e32 v5, v13, v4
	v_sub_f32_e32 v4, v8, v17
	v_cndmask_b32_e64 v8, v3, -v3, vcc
	v_cmp_gt_f32_e32 vcc, 0, v2
	v_sub_f32_e32 v5, v9, v5
	v_cndmask_b32_e64 v9, v2, -v2, vcc
	v_cmp_ngt_f32_e32 vcc, v9, v8
	s_cbranch_vccz .LBB142_131
; %bb.130:                              ;   in Loop: Header=BB142_119 Depth=1
	v_div_scale_f32 v8, s[0:1], v3, v3, v2
	v_rcp_f32_e32 v9, v8
	v_div_scale_f32 v17, vcc, v2, v3, v2
	v_fma_f32 v18, -v8, v9, 1.0
	v_fmac_f32_e32 v9, v18, v9
	v_mul_f32_e32 v18, v17, v9
	v_fma_f32 v19, -v8, v18, v17
	v_fmac_f32_e32 v18, v19, v9
	v_fma_f32 v8, -v8, v18, v17
	v_div_fmas_f32 v8, v8, v9, v18
	v_div_fixup_f32 v9, v8, v3, v2
	v_fma_f32 v8, v2, v9, v3
	v_div_scale_f32 v17, s[0:1], v8, v8, 1.0
	v_rcp_f32_e32 v18, v17
	v_fma_f32 v19, -v17, v18, 1.0
	v_fmac_f32_e32 v18, v19, v18
	v_div_scale_f32 v19, vcc, 1.0, v8, 1.0
	v_mul_f32_e32 v20, v19, v18
	v_fma_f32 v21, -v17, v20, v19
	v_fmac_f32_e32 v20, v21, v18
	v_fma_f32 v17, -v17, v20, v19
	v_div_fmas_f32 v17, v17, v18, v20
	v_div_fixup_f32 v17, v17, v8, 1.0
	v_fma_f32 v8, v9, v4, v5
	v_fma_f32 v9, v9, v5, -v4
	v_mul_f32_e32 v8, v8, v17
	v_mul_f32_e32 v9, v9, v17
	s_cbranch_execz .LBB142_132
	s_branch .LBB142_133
.LBB142_131:                            ;   in Loop: Header=BB142_119 Depth=1
                                        ; implicit-def: $vgpr9
.LBB142_132:                            ;   in Loop: Header=BB142_119 Depth=1
	v_div_scale_f32 v8, s[0:1], v2, v2, v3
	v_rcp_f32_e32 v9, v8
	v_div_scale_f32 v17, vcc, v3, v2, v3
	v_fma_f32 v18, -v8, v9, 1.0
	v_fmac_f32_e32 v9, v18, v9
	v_mul_f32_e32 v18, v17, v9
	v_fma_f32 v19, -v8, v18, v17
	v_fmac_f32_e32 v18, v19, v9
	v_fma_f32 v8, -v8, v18, v17
	v_div_fmas_f32 v8, v8, v9, v18
	v_div_fixup_f32 v9, v8, v2, v3
	v_fmac_f32_e32 v2, v3, v9
	v_div_scale_f32 v3, s[0:1], v2, v2, 1.0
	v_rcp_f32_e32 v8, v3
	v_fma_f32 v17, -v3, v8, 1.0
	v_fmac_f32_e32 v8, v17, v8
	v_div_scale_f32 v17, vcc, 1.0, v2, 1.0
	v_mul_f32_e32 v18, v17, v8
	v_fma_f32 v19, -v3, v18, v17
	v_fmac_f32_e32 v18, v19, v8
	v_fma_f32 v3, -v3, v18, v17
	v_div_fmas_f32 v3, v3, v8, v18
	v_div_fixup_f32 v2, v3, v2, 1.0
	v_fma_f32 v3, v9, v5, v4
	v_mul_f32_e32 v8, v3, v2
	v_fma_f32 v3, -v9, v4, v5
	v_mul_f32_e32 v9, v3, v2
.LBB142_133:                            ;   in Loop: Header=BB142_119 Depth=1
	s_add_i32 s5, s5, s4
	s_lshl_b32 s0, s5, 3
	v_mov_b32_e32 v2, s0
	ds_read2_b64 v[18:21], v2 offset1:1
	s_add_i32 s0, s6, 0xffffffb8
	v_mov_b32_e32 v2, s0
	ds_write_b64 v16, v[8:9]
	ds_read2_b64 v[2:5], v2 offset1:1
	s_waitcnt lgkmcnt(2)
	v_mul_f32_e32 v16, v11, v21
	v_fma_f32 v16, v10, v20, -v16
	v_mul_f32_e32 v10, v10, v21
	v_fmac_f32_e32 v10, v11, v20
	v_sub_f32_e32 v7, v7, v10
	v_mul_f32_e32 v10, v13, v19
	v_sub_f32_e32 v6, v6, v16
	v_fma_f32 v10, v12, v18, -v10
	v_mul_f32_e32 v11, v12, v19
	v_fmac_f32_e32 v11, v13, v18
	v_sub_f32_e32 v6, v6, v10
	s_waitcnt lgkmcnt(0)
	v_mul_f32_e32 v10, v9, v5
	v_mul_f32_e32 v5, v8, v5
	v_cmp_gt_f32_e32 vcc, 0, v3
	v_sub_f32_e32 v7, v7, v11
	v_fma_f32 v10, v8, v4, -v10
	v_fmac_f32_e32 v5, v9, v4
	v_cndmask_b32_e64 v4, v3, -v3, vcc
	v_cmp_gt_f32_e32 vcc, 0, v2
	v_sub_f32_e32 v7, v7, v5
	v_cndmask_b32_e64 v5, v2, -v2, vcc
	v_cmp_ngt_f32_e32 vcc, v5, v4
	v_sub_f32_e32 v6, v6, v10
	s_cbranch_vccz .LBB142_135
; %bb.134:                              ;   in Loop: Header=BB142_119 Depth=1
	v_div_scale_f32 v4, s[0:1], v3, v3, v2
	v_rcp_f32_e32 v5, v4
	v_div_scale_f32 v8, vcc, v2, v3, v2
	v_fma_f32 v9, -v4, v5, 1.0
	v_fmac_f32_e32 v5, v9, v5
	v_mul_f32_e32 v9, v8, v5
	v_fma_f32 v10, -v4, v9, v8
	v_fmac_f32_e32 v9, v10, v5
	v_fma_f32 v4, -v4, v9, v8
	v_div_fmas_f32 v4, v4, v5, v9
	v_div_fixup_f32 v5, v4, v3, v2
	v_fma_f32 v4, v2, v5, v3
	v_div_scale_f32 v8, s[0:1], v4, v4, 1.0
	v_rcp_f32_e32 v9, v8
	v_fma_f32 v10, -v8, v9, 1.0
	v_fmac_f32_e32 v9, v10, v9
	v_div_scale_f32 v10, vcc, 1.0, v4, 1.0
	v_mul_f32_e32 v11, v10, v9
	v_fma_f32 v12, -v8, v11, v10
	v_fmac_f32_e32 v11, v12, v9
	v_fma_f32 v8, -v8, v11, v10
	v_div_fmas_f32 v8, v8, v9, v11
	v_div_fixup_f32 v8, v8, v4, 1.0
	v_fma_f32 v4, v5, v6, v7
	v_fma_f32 v5, v5, v7, -v6
	v_mul_f32_e32 v4, v4, v8
	v_mul_f32_e32 v5, v5, v8
	s_cbranch_execz .LBB142_136
	s_branch .LBB142_137
.LBB142_135:                            ;   in Loop: Header=BB142_119 Depth=1
                                        ; implicit-def: $vgpr5
.LBB142_136:                            ;   in Loop: Header=BB142_119 Depth=1
	v_div_scale_f32 v4, s[0:1], v2, v2, v3
	v_rcp_f32_e32 v5, v4
	v_div_scale_f32 v8, vcc, v3, v2, v3
	v_fma_f32 v9, -v4, v5, 1.0
	v_fmac_f32_e32 v5, v9, v5
	v_mul_f32_e32 v9, v8, v5
	v_fma_f32 v10, -v4, v9, v8
	v_fmac_f32_e32 v9, v10, v5
	v_fma_f32 v4, -v4, v9, v8
	v_div_fmas_f32 v4, v4, v5, v9
	v_div_fixup_f32 v5, v4, v2, v3
	v_fmac_f32_e32 v2, v3, v5
	v_div_scale_f32 v3, s[0:1], v2, v2, 1.0
	v_rcp_f32_e32 v4, v3
	v_fma_f32 v8, -v3, v4, 1.0
	v_fmac_f32_e32 v4, v8, v4
	v_div_scale_f32 v8, vcc, 1.0, v2, 1.0
	v_mul_f32_e32 v9, v8, v4
	v_fma_f32 v10, -v3, v9, v8
	v_fmac_f32_e32 v9, v10, v4
	v_fma_f32 v3, -v3, v9, v8
	v_div_fmas_f32 v3, v3, v4, v9
	v_div_fixup_f32 v2, v3, v2, 1.0
	v_fma_f32 v3, v5, v7, v6
	v_mul_f32_e32 v4, v3, v2
	v_fma_f32 v3, -v5, v6, v7
	v_mul_f32_e32 v5, v3, v2
.LBB142_137:                            ;   in Loop: Header=BB142_119 Depth=1
	s_add_i32 s4, s3, -4
	s_addk_i32 s2, 0xff00
	s_cmp_lt_i32 s3, 7
	ds_write_b64 v15, v[4:5]
	s_cbranch_scc1 .LBB142_139
; %bb.138:                              ;   in Loop: Header=BB142_119 Depth=1
	s_mov_b32 s3, s4
	s_branch .LBB142_119
.LBB142_139:
	s_cmp_lt_i32 s4, 0
	s_cbranch_scc1 .LBB142_148
; %bb.140:
	v_lshlrev_b32_e32 v1, 3, v0
	s_lshl_b32 s0, s4, 6
	s_lshl_b32 s1, s33, 3
	v_lshl_or_b32 v2, s33, 6, v1
	s_add_i32 s0, s0, s1
	v_add_u32_e32 v8, 0x1c0, v2
	s_add_i32 s2, s0, -8
	s_branch .LBB142_142
.LBB142_141:                            ;   in Loop: Header=BB142_142 Depth=1
	s_add_i32 s0, s4, -1
	s_sub_i32 s2, s2, 64
	s_cmp_lt_i32 s4, 1
	s_mov_b32 s4, s0
	ds_write_b64 v9, v[6:7]
	s_cbranch_scc1 .LBB142_148
.LBB142_142:                            ; =>This Loop Header: Depth=1
                                        ;     Child Loop BB142_143 Depth 2
	v_lshl_or_b32 v4, s4, 6, v1
	ds_read_b64 v[2:3], v4 offset:512
	s_cmp_le_i32 s50, s4
	s_mov_b32 s0, s2
	v_mov_b32_e32 v5, v8
	s_mov_b32 s1, s50
	s_cbranch_scc1 .LBB142_144
.LBB142_143:                            ;   Parent Loop BB142_142 Depth=1
                                        ; =>  This Inner Loop Header: Depth=2
	v_mov_b32_e32 v9, s0
	ds_read_b64 v[6:7], v5
	ds_read_b64 v[10:11], v9
	s_add_i32 s1, s1, -1
	s_add_i32 s0, s0, -8
	v_subrev_u32_e32 v5, 64, v5
	s_cmp_le_i32 s1, s4
	s_waitcnt lgkmcnt(0)
	v_pk_mul_f32 v[12:13], v[10:11], v[6:7] op_sel:[0,1]
	v_pk_fma_f32 v[14:15], v[10:11], v[6:7], v[12:13] op_sel:[0,0,1] op_sel_hi:[1,0,0]
	v_pk_fma_f32 v[6:7], v[10:11], v[6:7], v[12:13] op_sel:[0,0,1] op_sel_hi:[1,0,0] neg_lo:[0,0,1] neg_hi:[0,0,1]
	v_mov_b32_e32 v7, v15
	v_pk_add_f32 v[2:3], v[2:3], v[6:7] neg_lo:[0,1] neg_hi:[0,1]
	s_cbranch_scc0 .LBB142_143
.LBB142_144:                            ;   in Loop: Header=BB142_142 Depth=1
	s_mul_i32 s0, s4, 0x48
	v_add_u32_e32 v9, 0x200, v4
	v_mov_b32_e32 v4, s0
	ds_read_b64 v[4:5], v4
	s_waitcnt lgkmcnt(0)
	v_cmp_gt_f32_e32 vcc, 0, v5
	v_cndmask_b32_e64 v6, v5, -v5, vcc
	v_cmp_gt_f32_e32 vcc, 0, v4
	v_cndmask_b32_e64 v7, v4, -v4, vcc
	v_cmp_ngt_f32_e32 vcc, v7, v6
	s_cbranch_vccz .LBB142_146
; %bb.145:                              ;   in Loop: Header=BB142_142 Depth=1
	v_div_scale_f32 v6, s[0:1], v5, v5, v4
	v_rcp_f32_e32 v7, v6
	v_div_scale_f32 v10, vcc, v4, v5, v4
	v_fma_f32 v11, -v6, v7, 1.0
	v_fmac_f32_e32 v7, v11, v7
	v_mul_f32_e32 v11, v10, v7
	v_fma_f32 v12, -v6, v11, v10
	v_fmac_f32_e32 v11, v12, v7
	v_fma_f32 v6, -v6, v11, v10
	v_div_fmas_f32 v6, v6, v7, v11
	v_div_fixup_f32 v6, v6, v5, v4
	v_fma_f32 v7, v4, v6, v5
	v_div_scale_f32 v10, s[0:1], v7, v7, 1.0
	v_rcp_f32_e32 v11, v10
	v_fma_f32 v12, -v10, v11, 1.0
	v_fmac_f32_e32 v11, v12, v11
	v_div_scale_f32 v12, vcc, 1.0, v7, 1.0
	v_mul_f32_e32 v13, v12, v11
	v_fma_f32 v14, -v10, v13, v12
	v_fmac_f32_e32 v13, v14, v11
	v_fma_f32 v10, -v10, v13, v12
	v_div_fmas_f32 v10, v10, v11, v13
	v_div_fixup_f32 v10, v10, v7, 1.0
	v_pk_fma_f32 v[12:13], v[2:3], v[6:7], v[2:3] op_sel:[0,0,1] op_sel_hi:[1,0,0] neg_lo:[0,0,1] neg_hi:[0,0,1]
	v_pk_fma_f32 v[6:7], v[2:3], v[6:7], v[2:3] op_sel:[0,0,1] op_sel_hi:[1,0,0]
	v_mov_b32_e32 v7, v13
	v_pk_mul_f32 v[6:7], v[6:7], v[10:11] op_sel_hi:[1,0]
	s_cbranch_execnz .LBB142_141
	s_branch .LBB142_147
.LBB142_146:                            ;   in Loop: Header=BB142_142 Depth=1
                                        ; implicit-def: $vgpr6_vgpr7
.LBB142_147:                            ;   in Loop: Header=BB142_142 Depth=1
	v_div_scale_f32 v6, s[0:1], v4, v4, v5
	v_rcp_f32_e32 v7, v6
	v_div_scale_f32 v10, vcc, v5, v4, v5
	v_fma_f32 v11, -v6, v7, 1.0
	v_fmac_f32_e32 v7, v11, v7
	v_mul_f32_e32 v11, v10, v7
	v_fma_f32 v12, -v6, v11, v10
	v_fmac_f32_e32 v11, v12, v7
	v_fma_f32 v6, -v6, v11, v10
	v_div_fmas_f32 v6, v6, v7, v11
	v_div_fixup_f32 v6, v6, v4, v5
	v_fmac_f32_e32 v4, v5, v6
	v_div_scale_f32 v5, s[0:1], v4, v4, 1.0
	v_rcp_f32_e32 v7, v5
	v_fma_f32 v10, -v5, v7, 1.0
	v_fmac_f32_e32 v7, v10, v7
	v_div_scale_f32 v10, vcc, 1.0, v4, 1.0
	v_mul_f32_e32 v11, v10, v7
	v_fma_f32 v12, -v5, v11, v10
	v_fmac_f32_e32 v11, v12, v7
	v_fma_f32 v5, -v5, v11, v10
	v_div_fmas_f32 v5, v5, v7, v11
	v_pk_mul_f32 v[6:7], v[2:3], v[6:7] op_sel_hi:[1,0]
	v_pk_add_f32 v[10:11], v[2:3], v[6:7] op_sel:[0,1] op_sel_hi:[1,0] neg_lo:[0,1] neg_hi:[0,1]
	v_pk_add_f32 v[2:3], v[2:3], v[6:7] op_sel:[0,1] op_sel_hi:[1,0]
	v_div_fixup_f32 v4, v5, v4, 1.0
	v_mov_b32_e32 v3, v11
	v_pk_mul_f32 v[6:7], v[2:3], v[4:5] op_sel_hi:[1,0]
	s_branch .LBB142_141
.LBB142_148:
	s_mov_b64 s[4:5], 0
.LBB142_149:
	s_andn2_b64 vcc, exec, s[4:5]
	s_cbranch_vccnz .LBB142_188
; %bb.150:
	s_cmp_lt_i32 s16, 4
	s_mov_b32 s4, 0
	s_cbranch_scc1 .LBB142_173
; %bb.151:
	v_mov_b32_e32 v1, 0x200
	v_lshl_or_b32 v1, v0, 3, v1
	s_mov_b32 s2, 0
	s_mov_b32 s3, 0
.LBB142_152:                            ; =>This Loop Header: Depth=1
                                        ;     Child Loop BB142_154 Depth 2
	s_lshl_b32 s0, s3, 3
	v_or_b32_e32 v2, s0, v0
	s_or_b32 s6, s0, 8
	v_lshlrev_b32_e32 v4, 3, v2
	v_or_b32_e32 v2, s6, v0
	s_or_b32 s5, s0, 16
	v_lshlrev_b32_e32 v5, 3, v2
	;; [unrolled: 3-line block ×3, first 2 shown]
	v_or_b32_e32 v2, s4, v0
	v_lshlrev_b32_e32 v11, 3, v2
	ds_read_b64 v[2:3], v4 offset:512
	ds_read_b64 v[12:13], v5 offset:512
	;; [unrolled: 1-line block ×4, first 2 shown]
	s_cmp_eq_u32 s3, 0
	s_cbranch_scc1 .LBB142_155
; %bb.153:                              ;   in Loop: Header=BB142_152 Depth=1
	s_mov_b32 s0, 0
	s_mov_b32 s1, s2
	v_mov_b32_e32 v14, v1
.LBB142_154:                            ;   Parent Loop BB142_152 Depth=1
                                        ; =>  This Inner Loop Header: Depth=2
	v_mov_b32_e32 v15, s1
	ds_read_b64 v[24:25], v14
	ds_read2_b64 v[16:19], v15 offset1:8
	ds_read2_b64 v[20:23], v15 offset0:16 offset1:24
	s_add_i32 s0, s0, 1
	s_add_i32 s1, s1, 8
	v_add_u32_e32 v14, 64, v14
	s_waitcnt lgkmcnt(1)
	v_mul_f32_e32 v15, v17, v25
	v_mul_f32_e32 v26, v16, v25
	;; [unrolled: 1-line block ×4, first 2 shown]
	s_waitcnt lgkmcnt(0)
	v_mul_f32_e32 v28, v21, v25
	v_mul_f32_e32 v21, v21, v24
	;; [unrolled: 1-line block ×4, first 2 shown]
	v_fma_f32 v15, v16, v24, -v15
	v_fmac_f32_e32 v26, v17, v24
	v_fma_f32 v16, v18, v24, -v27
	v_fmac_f32_e32 v19, v18, v25
	;; [unrolled: 2-line block ×4, first 2 shown]
	s_cmp_ge_u32 s0, s3
	v_sub_f32_e32 v2, v2, v15
	v_sub_f32_e32 v3, v3, v26
	;; [unrolled: 1-line block ×8, first 2 shown]
	s_cbranch_scc0 .LBB142_154
.LBB142_155:                            ;   in Loop: Header=BB142_152 Depth=1
	s_mul_i32 s7, s3, 0x48
	v_add_u32_e32 v17, 0x200, v4
	v_mov_b32_e32 v4, s7
	v_add_u32_e32 v16, 0x200, v5
	ds_read_b64 v[4:5], v4
	v_add_u32_e32 v15, 0x200, v10
	v_add_u32_e32 v14, 0x200, v11
	s_waitcnt lgkmcnt(0)
	v_cmp_gt_f32_e32 vcc, 0, v5
	v_cndmask_b32_e64 v10, v5, -v5, vcc
	v_cmp_gt_f32_e32 vcc, 0, v4
	v_cndmask_b32_e64 v11, v4, -v4, vcc
	v_cmp_ngt_f32_e32 vcc, v11, v10
	s_cbranch_vccz .LBB142_157
; %bb.156:                              ;   in Loop: Header=BB142_152 Depth=1
	v_div_scale_f32 v10, s[0:1], v5, v5, v4
	v_rcp_f32_e32 v11, v10
	v_div_scale_f32 v18, vcc, v4, v5, v4
	v_fma_f32 v19, -v10, v11, 1.0
	v_fmac_f32_e32 v11, v19, v11
	v_mul_f32_e32 v19, v18, v11
	v_fma_f32 v20, -v10, v19, v18
	v_fmac_f32_e32 v19, v20, v11
	v_fma_f32 v10, -v10, v19, v18
	v_div_fmas_f32 v10, v10, v11, v19
	v_div_fixup_f32 v11, v10, v5, v4
	v_fma_f32 v10, v4, v11, v5
	v_div_scale_f32 v18, s[0:1], v10, v10, 1.0
	v_rcp_f32_e32 v19, v18
	v_fma_f32 v20, -v18, v19, 1.0
	v_fmac_f32_e32 v19, v20, v19
	v_div_scale_f32 v20, vcc, 1.0, v10, 1.0
	v_mul_f32_e32 v21, v20, v19
	v_fma_f32 v22, -v18, v21, v20
	v_fmac_f32_e32 v21, v22, v19
	v_fma_f32 v18, -v18, v21, v20
	v_div_fmas_f32 v18, v18, v19, v21
	v_div_fixup_f32 v18, v18, v10, 1.0
	v_fma_f32 v10, v2, v11, v3
	v_fma_f32 v11, v3, v11, -v2
	v_mul_f32_e32 v10, v10, v18
	v_mul_f32_e32 v11, v11, v18
	s_cbranch_execz .LBB142_158
	s_branch .LBB142_159
.LBB142_157:                            ;   in Loop: Header=BB142_152 Depth=1
                                        ; implicit-def: $vgpr11
.LBB142_158:                            ;   in Loop: Header=BB142_152 Depth=1
	v_div_scale_f32 v10, s[0:1], v4, v4, v5
	v_rcp_f32_e32 v11, v10
	v_div_scale_f32 v18, vcc, v5, v4, v5
	v_fma_f32 v19, -v10, v11, 1.0
	v_fmac_f32_e32 v11, v19, v11
	v_mul_f32_e32 v19, v18, v11
	v_fma_f32 v20, -v10, v19, v18
	v_fmac_f32_e32 v19, v20, v11
	v_fma_f32 v10, -v10, v19, v18
	v_div_fmas_f32 v10, v10, v11, v19
	v_div_fixup_f32 v11, v10, v4, v5
	v_fmac_f32_e32 v4, v5, v11
	v_div_scale_f32 v5, s[0:1], v4, v4, 1.0
	v_rcp_f32_e32 v10, v5
	v_fma_f32 v18, -v5, v10, 1.0
	v_fmac_f32_e32 v10, v18, v10
	v_div_scale_f32 v18, vcc, 1.0, v4, 1.0
	v_mul_f32_e32 v19, v18, v10
	v_fma_f32 v20, -v5, v19, v18
	v_fmac_f32_e32 v19, v20, v10
	v_fma_f32 v5, -v5, v19, v18
	v_div_fmas_f32 v5, v5, v10, v19
	v_div_fixup_f32 v4, v5, v4, 1.0
	v_fma_f32 v5, v3, v11, v2
	v_fma_f32 v2, -v2, v11, v3
	v_mul_f32_e32 v10, v5, v4
	v_mul_f32_e32 v11, v2, v4
.LBB142_159:                            ;   in Loop: Header=BB142_152 Depth=1
	s_add_i32 s6, s6, s3
	s_lshl_b32 s0, s6, 3
	v_mov_b32_e32 v2, s0
	ds_read_b128 v[2:5], v2
	ds_write_b64 v17, v[10:11]
	s_waitcnt lgkmcnt(1)
	v_mul_f32_e32 v17, v11, v3
	v_mul_f32_e32 v3, v10, v3
	v_fma_f32 v17, v10, v2, -v17
	v_cmp_gt_f32_e32 vcc, 0, v5
	v_fmac_f32_e32 v3, v11, v2
	v_sub_f32_e32 v2, v12, v17
	v_cndmask_b32_e64 v12, v5, -v5, vcc
	v_cmp_gt_f32_e32 vcc, 0, v4
	v_sub_f32_e32 v3, v13, v3
	v_cndmask_b32_e64 v13, v4, -v4, vcc
	v_cmp_ngt_f32_e32 vcc, v13, v12
	s_cbranch_vccz .LBB142_161
; %bb.160:                              ;   in Loop: Header=BB142_152 Depth=1
	v_div_scale_f32 v12, s[0:1], v5, v5, v4
	v_rcp_f32_e32 v13, v12
	v_div_scale_f32 v17, vcc, v4, v5, v4
	v_fma_f32 v18, -v12, v13, 1.0
	v_fmac_f32_e32 v13, v18, v13
	v_mul_f32_e32 v18, v17, v13
	v_fma_f32 v19, -v12, v18, v17
	v_fmac_f32_e32 v18, v19, v13
	v_fma_f32 v12, -v12, v18, v17
	v_div_fmas_f32 v12, v12, v13, v18
	v_div_fixup_f32 v13, v12, v5, v4
	v_fma_f32 v12, v4, v13, v5
	v_div_scale_f32 v17, s[0:1], v12, v12, 1.0
	v_rcp_f32_e32 v18, v17
	v_fma_f32 v19, -v17, v18, 1.0
	v_fmac_f32_e32 v18, v19, v18
	v_div_scale_f32 v19, vcc, 1.0, v12, 1.0
	v_mul_f32_e32 v20, v19, v18
	v_fma_f32 v21, -v17, v20, v19
	v_fmac_f32_e32 v20, v21, v18
	v_fma_f32 v17, -v17, v20, v19
	v_div_fmas_f32 v17, v17, v18, v20
	v_div_fixup_f32 v17, v17, v12, 1.0
	v_fma_f32 v12, v13, v2, v3
	v_fma_f32 v13, v13, v3, -v2
	v_mul_f32_e32 v12, v12, v17
	v_mul_f32_e32 v13, v13, v17
	s_cbranch_execz .LBB142_162
	s_branch .LBB142_163
.LBB142_161:                            ;   in Loop: Header=BB142_152 Depth=1
                                        ; implicit-def: $vgpr13
.LBB142_162:                            ;   in Loop: Header=BB142_152 Depth=1
	v_div_scale_f32 v12, s[0:1], v4, v4, v5
	v_rcp_f32_e32 v13, v12
	v_div_scale_f32 v17, vcc, v5, v4, v5
	v_fma_f32 v18, -v12, v13, 1.0
	v_fmac_f32_e32 v13, v18, v13
	v_mul_f32_e32 v18, v17, v13
	v_fma_f32 v19, -v12, v18, v17
	v_fmac_f32_e32 v18, v19, v13
	v_fma_f32 v12, -v12, v18, v17
	v_div_fmas_f32 v12, v12, v13, v18
	v_div_fixup_f32 v13, v12, v4, v5
	v_fmac_f32_e32 v4, v5, v13
	v_div_scale_f32 v5, s[0:1], v4, v4, 1.0
	v_rcp_f32_e32 v12, v5
	v_fma_f32 v17, -v5, v12, 1.0
	v_fmac_f32_e32 v12, v17, v12
	v_div_scale_f32 v17, vcc, 1.0, v4, 1.0
	v_mul_f32_e32 v18, v17, v12
	v_fma_f32 v19, -v5, v18, v17
	v_fmac_f32_e32 v18, v19, v12
	v_fma_f32 v5, -v5, v18, v17
	v_div_fmas_f32 v5, v5, v12, v18
	v_div_fixup_f32 v4, v5, v4, 1.0
	v_fma_f32 v5, v13, v3, v2
	v_fma_f32 v2, -v13, v2, v3
	v_mul_f32_e32 v12, v5, v4
	v_mul_f32_e32 v13, v2, v4
.LBB142_163:                            ;   in Loop: Header=BB142_152 Depth=1
	s_add_i32 s5, s5, s3
	s_lshl_b32 s0, s5, 3
	v_mov_b32_e32 v2, s0
	ds_read_b128 v[18:21], v2
	v_mov_b32_e32 v2, s7
	ds_read_b64 v[2:3], v2 offset:144
	ds_write_b64 v16, v[12:13]
	s_waitcnt lgkmcnt(2)
	v_mul_f32_e32 v4, v11, v19
	v_mul_f32_e32 v5, v10, v19
	v_fma_f32 v4, v10, v18, -v4
	v_fmac_f32_e32 v5, v11, v18
	v_sub_f32_e32 v4, v8, v4
	v_mul_f32_e32 v8, v13, v21
	v_sub_f32_e32 v5, v9, v5
	v_fma_f32 v8, v12, v20, -v8
	v_mul_f32_e32 v9, v12, v21
	s_waitcnt lgkmcnt(1)
	v_cmp_gt_f32_e32 vcc, 0, v3
	v_fmac_f32_e32 v9, v13, v20
	v_sub_f32_e32 v4, v4, v8
	v_cndmask_b32_e64 v8, v3, -v3, vcc
	v_cmp_gt_f32_e32 vcc, 0, v2
	v_sub_f32_e32 v5, v5, v9
	v_cndmask_b32_e64 v9, v2, -v2, vcc
	v_cmp_ngt_f32_e32 vcc, v9, v8
	s_cbranch_vccz .LBB142_165
; %bb.164:                              ;   in Loop: Header=BB142_152 Depth=1
	v_div_scale_f32 v8, s[0:1], v3, v3, v2
	v_rcp_f32_e32 v9, v8
	v_div_scale_f32 v16, vcc, v2, v3, v2
	v_fma_f32 v17, -v8, v9, 1.0
	v_fmac_f32_e32 v9, v17, v9
	v_mul_f32_e32 v17, v16, v9
	v_fma_f32 v18, -v8, v17, v16
	v_fmac_f32_e32 v17, v18, v9
	v_fma_f32 v8, -v8, v17, v16
	v_div_fmas_f32 v8, v8, v9, v17
	v_div_fixup_f32 v9, v8, v3, v2
	v_fma_f32 v8, v2, v9, v3
	v_div_scale_f32 v16, s[0:1], v8, v8, 1.0
	v_rcp_f32_e32 v17, v16
	v_fma_f32 v18, -v16, v17, 1.0
	v_fmac_f32_e32 v17, v18, v17
	v_div_scale_f32 v18, vcc, 1.0, v8, 1.0
	v_mul_f32_e32 v19, v18, v17
	v_fma_f32 v20, -v16, v19, v18
	v_fmac_f32_e32 v19, v20, v17
	v_fma_f32 v16, -v16, v19, v18
	v_div_fmas_f32 v16, v16, v17, v19
	v_div_fixup_f32 v16, v16, v8, 1.0
	v_fma_f32 v8, v9, v4, v5
	v_fma_f32 v9, v9, v5, -v4
	v_mul_f32_e32 v8, v8, v16
	v_mul_f32_e32 v9, v9, v16
	s_cbranch_execz .LBB142_166
	s_branch .LBB142_167
.LBB142_165:                            ;   in Loop: Header=BB142_152 Depth=1
                                        ; implicit-def: $vgpr9
.LBB142_166:                            ;   in Loop: Header=BB142_152 Depth=1
	v_div_scale_f32 v8, s[0:1], v2, v2, v3
	v_rcp_f32_e32 v9, v8
	v_div_scale_f32 v16, vcc, v3, v2, v3
	v_fma_f32 v17, -v8, v9, 1.0
	v_fmac_f32_e32 v9, v17, v9
	v_mul_f32_e32 v17, v16, v9
	v_fma_f32 v18, -v8, v17, v16
	v_fmac_f32_e32 v17, v18, v9
	v_fma_f32 v8, -v8, v17, v16
	v_div_fmas_f32 v8, v8, v9, v17
	v_div_fixup_f32 v9, v8, v2, v3
	v_fmac_f32_e32 v2, v3, v9
	v_div_scale_f32 v3, s[0:1], v2, v2, 1.0
	v_rcp_f32_e32 v8, v3
	v_fma_f32 v16, -v3, v8, 1.0
	v_fmac_f32_e32 v8, v16, v8
	v_div_scale_f32 v16, vcc, 1.0, v2, 1.0
	v_mul_f32_e32 v17, v16, v8
	v_fma_f32 v18, -v3, v17, v16
	v_fmac_f32_e32 v17, v18, v8
	v_fma_f32 v3, -v3, v17, v16
	v_div_fmas_f32 v3, v3, v8, v17
	v_div_fixup_f32 v2, v3, v2, 1.0
	v_fma_f32 v3, v9, v5, v4
	v_mul_f32_e32 v8, v3, v2
	v_fma_f32 v3, -v9, v4, v5
	v_mul_f32_e32 v9, v3, v2
.LBB142_167:                            ;   in Loop: Header=BB142_152 Depth=1
	s_add_i32 s4, s4, s3
	s_lshl_b32 s0, s4, 3
	v_mov_b32_e32 v2, s0
	ds_read_b128 v[16:19], v2
	ds_read_b128 v[2:5], v2 offset:16
	ds_write_b64 v15, v[8:9]
	s_waitcnt lgkmcnt(2)
	v_mul_f32_e32 v15, v11, v17
	v_mul_f32_e32 v17, v10, v17
	v_fma_f32 v10, v10, v16, -v15
	v_sub_f32_e32 v6, v6, v10
	v_mul_f32_e32 v10, v13, v19
	v_fmac_f32_e32 v17, v11, v16
	v_fma_f32 v10, v12, v18, -v10
	v_mul_f32_e32 v11, v12, v19
	v_sub_f32_e32 v7, v7, v17
	v_fmac_f32_e32 v11, v13, v18
	v_sub_f32_e32 v6, v6, v10
	s_waitcnt lgkmcnt(1)
	v_mul_f32_e32 v10, v9, v3
	v_mul_f32_e32 v3, v8, v3
	v_cmp_gt_f32_e32 vcc, 0, v5
	v_sub_f32_e32 v7, v7, v11
	v_fma_f32 v10, v8, v2, -v10
	v_fmac_f32_e32 v3, v9, v2
	v_cndmask_b32_e64 v2, v5, -v5, vcc
	v_cmp_gt_f32_e32 vcc, 0, v4
	v_sub_f32_e32 v7, v7, v3
	v_cndmask_b32_e64 v3, v4, -v4, vcc
	v_cmp_ngt_f32_e32 vcc, v3, v2
	v_sub_f32_e32 v6, v6, v10
	s_cbranch_vccz .LBB142_169
; %bb.168:                              ;   in Loop: Header=BB142_152 Depth=1
	v_div_scale_f32 v2, s[0:1], v5, v5, v4
	v_rcp_f32_e32 v3, v2
	v_div_scale_f32 v8, vcc, v4, v5, v4
	v_fma_f32 v9, -v2, v3, 1.0
	v_fmac_f32_e32 v3, v9, v3
	v_mul_f32_e32 v9, v8, v3
	v_fma_f32 v10, -v2, v9, v8
	v_fmac_f32_e32 v9, v10, v3
	v_fma_f32 v2, -v2, v9, v8
	v_div_fmas_f32 v2, v2, v3, v9
	v_div_fixup_f32 v3, v2, v5, v4
	v_fma_f32 v2, v4, v3, v5
	v_div_scale_f32 v8, s[0:1], v2, v2, 1.0
	v_rcp_f32_e32 v9, v8
	v_fma_f32 v10, -v8, v9, 1.0
	v_fmac_f32_e32 v9, v10, v9
	v_div_scale_f32 v10, vcc, 1.0, v2, 1.0
	v_mul_f32_e32 v11, v10, v9
	v_fma_f32 v12, -v8, v11, v10
	v_fmac_f32_e32 v11, v12, v9
	v_fma_f32 v8, -v8, v11, v10
	v_div_fmas_f32 v8, v8, v9, v11
	v_div_fixup_f32 v8, v8, v2, 1.0
	v_fma_f32 v2, v3, v6, v7
	v_fma_f32 v3, v3, v7, -v6
	v_mul_f32_e32 v2, v2, v8
	v_mul_f32_e32 v3, v3, v8
	s_cbranch_execz .LBB142_170
	s_branch .LBB142_171
.LBB142_169:                            ;   in Loop: Header=BB142_152 Depth=1
                                        ; implicit-def: $vgpr3
.LBB142_170:                            ;   in Loop: Header=BB142_152 Depth=1
	v_div_scale_f32 v2, s[0:1], v4, v4, v5
	v_rcp_f32_e32 v3, v2
	v_div_scale_f32 v8, vcc, v5, v4, v5
	v_fma_f32 v9, -v2, v3, 1.0
	v_fmac_f32_e32 v3, v9, v3
	v_mul_f32_e32 v9, v8, v3
	v_fma_f32 v10, -v2, v9, v8
	v_fmac_f32_e32 v9, v10, v3
	v_fma_f32 v2, -v2, v9, v8
	v_div_fmas_f32 v2, v2, v3, v9
	v_div_fixup_f32 v3, v2, v4, v5
	v_fmac_f32_e32 v4, v5, v3
	v_div_scale_f32 v2, s[0:1], v4, v4, 1.0
	v_rcp_f32_e32 v5, v2
	v_fma_f32 v8, -v2, v5, 1.0
	v_fmac_f32_e32 v5, v8, v5
	v_div_scale_f32 v8, vcc, 1.0, v4, 1.0
	v_mul_f32_e32 v9, v8, v5
	v_fma_f32 v10, -v2, v9, v8
	v_fmac_f32_e32 v9, v10, v5
	v_fma_f32 v2, -v2, v9, v8
	v_div_fmas_f32 v2, v2, v5, v9
	v_div_fixup_f32 v4, v2, v4, 1.0
	v_fma_f32 v2, v3, v7, v6
	v_fma_f32 v3, -v3, v6, v7
	v_mul_f32_e32 v2, v2, v4
	v_mul_f32_e32 v3, v3, v4
.LBB142_171:                            ;   in Loop: Header=BB142_152 Depth=1
	s_add_i32 s4, s3, 4
	s_add_i32 s0, s3, 7
	s_addk_i32 s2, 0x100
	s_cmp_ge_i32 s0, s33
	ds_write_b64 v14, v[2:3]
	s_cbranch_scc1 .LBB142_173
; %bb.172:                              ;   in Loop: Header=BB142_152 Depth=1
	s_mov_b32 s3, s4
	s_branch .LBB142_152
.LBB142_173:
	s_cmp_ge_i32 s4, s33
	s_cbranch_scc1 .LBB142_188
; %bb.174:
	v_mov_b32_e32 v1, 0x200
	s_add_i32 s2, s4, -1
	v_lshl_or_b32 v1, v0, 3, v1
	s_lshl_b32 s3, s4, 6
	s_mov_b32 s5, 0
	v_lshlrev_b32_e32 v8, 3, v0
	s_mov_b32 s6, s4
	s_branch .LBB142_176
.LBB142_175:                            ;   in Loop: Header=BB142_176 Depth=1
	s_add_i32 s4, s4, 1
	s_add_i32 s5, s5, 1
	;; [unrolled: 1-line block ×3, first 2 shown]
	v_add_u16_e64 v2, s6, 1
	s_cmp_ge_i32 s4, s33
	v_readfirstlane_b32 s6, v2
	ds_write_b64 v9, v[6:7]
	s_cbranch_scc1 .LBB142_188
.LBB142_176:                            ; =>This Loop Header: Depth=1
                                        ;     Child Loop BB142_179 Depth 2
                                        ;     Child Loop BB142_183 Depth 2
	v_lshl_or_b32 v4, s4, 6, v8
	ds_read_b64 v[2:3], v4 offset:512
	s_cmp_eq_u32 s4, 0
	s_cbranch_scc1 .LBB142_184
; %bb.177:                              ;   in Loop: Header=BB142_176 Depth=1
	s_add_i32 s0, s2, s5
	s_cmp_lt_u32 s0, 7
	s_cbranch_scc1 .LBB142_181
; %bb.178:                              ;   in Loop: Header=BB142_176 Depth=1
	s_and_b32 s0, s4, -8
	s_mov_b32 s1, 0
	s_mov_b32 s7, s3
	v_mov_b32_e32 v5, v1
.LBB142_179:                            ;   Parent Loop BB142_176 Depth=1
                                        ; =>  This Inner Loop Header: Depth=2
	ds_read2_b64 v[10:13], v5 offset1:8
	v_mov_b32_e32 v6, s7
	ds_read2_b64 v[14:17], v5 offset0:16 offset1:24
	ds_read2_b64 v[18:21], v5 offset0:32 offset1:40
	;; [unrolled: 1-line block ×3, first 2 shown]
	ds_read_b128 v[26:29], v6
	ds_read_b128 v[30:33], v6 offset:16
	ds_read_b128 v[34:37], v6 offset:32
	;; [unrolled: 1-line block ×3, first 2 shown]
	s_add_i32 s1, s1, 8
	s_waitcnt lgkmcnt(3)
	v_pk_mul_f32 v[6:7], v[26:27], v[10:11] op_sel:[0,1]
	v_pk_mul_f32 v[42:43], v[28:29], v[12:13] op_sel:[0,1]
	v_pk_fma_f32 v[56:57], v[26:27], v[10:11], v[6:7] op_sel:[0,0,1] op_sel_hi:[1,0,0]
	v_pk_fma_f32 v[6:7], v[26:27], v[10:11], v[6:7] op_sel:[0,0,1] op_sel_hi:[1,0,0] neg_lo:[0,0,1] neg_hi:[0,0,1]
	s_waitcnt lgkmcnt(2)
	v_pk_mul_f32 v[44:45], v[30:31], v[14:15] op_sel:[0,1]
	v_pk_fma_f32 v[10:11], v[28:29], v[12:13], v[42:43] op_sel:[0,0,1] op_sel_hi:[1,0,0]
	v_pk_fma_f32 v[12:13], v[28:29], v[12:13], v[42:43] op_sel:[0,0,1] op_sel_hi:[1,0,0] neg_lo:[0,0,1] neg_hi:[0,0,1]
	v_mov_b32_e32 v7, v57
	v_pk_mul_f32 v[46:47], v[32:33], v[16:17] op_sel:[0,1]
	v_pk_fma_f32 v[26:27], v[30:31], v[14:15], v[44:45] op_sel:[0,0,1] op_sel_hi:[1,0,0]
	v_pk_fma_f32 v[14:15], v[30:31], v[14:15], v[44:45] op_sel:[0,0,1] op_sel_hi:[1,0,0] neg_lo:[0,0,1] neg_hi:[0,0,1]
	v_mov_b32_e32 v13, v11
	v_pk_add_f32 v[2:3], v[2:3], v[6:7] neg_lo:[0,1] neg_hi:[0,1]
	s_waitcnt lgkmcnt(1)
	v_pk_mul_f32 v[48:49], v[34:35], v[18:19] op_sel:[0,1]
	v_pk_fma_f32 v[28:29], v[32:33], v[16:17], v[46:47] op_sel:[0,0,1] op_sel_hi:[1,0,0]
	v_pk_fma_f32 v[16:17], v[32:33], v[16:17], v[46:47] op_sel:[0,0,1] op_sel_hi:[1,0,0] neg_lo:[0,0,1] neg_hi:[0,0,1]
	v_mov_b32_e32 v15, v27
	v_pk_add_f32 v[2:3], v[2:3], v[12:13] neg_lo:[0,1] neg_hi:[0,1]
	v_pk_mul_f32 v[50:51], v[36:37], v[20:21] op_sel:[0,1]
	v_pk_fma_f32 v[30:31], v[34:35], v[18:19], v[48:49] op_sel:[0,0,1] op_sel_hi:[1,0,0]
	v_pk_fma_f32 v[18:19], v[34:35], v[18:19], v[48:49] op_sel:[0,0,1] op_sel_hi:[1,0,0] neg_lo:[0,0,1] neg_hi:[0,0,1]
	v_mov_b32_e32 v17, v29
	v_pk_add_f32 v[2:3], v[2:3], v[14:15] neg_lo:[0,1] neg_hi:[0,1]
	s_waitcnt lgkmcnt(0)
	v_pk_mul_f32 v[52:53], v[38:39], v[22:23] op_sel:[0,1]
	v_pk_fma_f32 v[32:33], v[36:37], v[20:21], v[50:51] op_sel:[0,0,1] op_sel_hi:[1,0,0]
	v_pk_fma_f32 v[20:21], v[36:37], v[20:21], v[50:51] op_sel:[0,0,1] op_sel_hi:[1,0,0] neg_lo:[0,0,1] neg_hi:[0,0,1]
	v_mov_b32_e32 v19, v31
	v_pk_add_f32 v[2:3], v[2:3], v[16:17] neg_lo:[0,1] neg_hi:[0,1]
	v_pk_mul_f32 v[54:55], v[40:41], v[24:25] op_sel:[0,1]
	v_pk_fma_f32 v[34:35], v[38:39], v[22:23], v[52:53] op_sel:[0,0,1] op_sel_hi:[1,0,0]
	v_pk_fma_f32 v[22:23], v[38:39], v[22:23], v[52:53] op_sel:[0,0,1] op_sel_hi:[1,0,0] neg_lo:[0,0,1] neg_hi:[0,0,1]
	v_mov_b32_e32 v21, v33
	v_pk_add_f32 v[2:3], v[2:3], v[18:19] neg_lo:[0,1] neg_hi:[0,1]
	v_pk_fma_f32 v[36:37], v[40:41], v[24:25], v[54:55] op_sel:[0,0,1] op_sel_hi:[1,0,0]
	v_pk_fma_f32 v[24:25], v[40:41], v[24:25], v[54:55] op_sel:[0,0,1] op_sel_hi:[1,0,0] neg_lo:[0,0,1] neg_hi:[0,0,1]
	v_mov_b32_e32 v23, v35
	v_pk_add_f32 v[2:3], v[2:3], v[20:21] neg_lo:[0,1] neg_hi:[0,1]
	s_add_i32 s7, s7, 64
	v_mov_b32_e32 v25, v37
	v_pk_add_f32 v[2:3], v[2:3], v[22:23] neg_lo:[0,1] neg_hi:[0,1]
	v_add_u32_e32 v5, 0x200, v5
	s_cmp_eq_u32 s0, s1
	v_pk_add_f32 v[2:3], v[2:3], v[24:25] neg_lo:[0,1] neg_hi:[0,1]
	s_cbranch_scc0 .LBB142_179
; %bb.180:                              ;   in Loop: Header=BB142_176 Depth=1
	s_and_b32 s1, s4, 7
	s_cmp_eq_u32 s1, 0
	s_cbranch_scc0 .LBB142_182
	s_branch .LBB142_184
.LBB142_181:                            ;   in Loop: Header=BB142_176 Depth=1
	s_mov_b32 s0, 0
	s_and_b32 s1, s4, 7
	s_cmp_eq_u32 s1, 0
	s_cbranch_scc1 .LBB142_184
.LBB142_182:                            ;   in Loop: Header=BB142_176 Depth=1
	s_and_b32 s1, s6, 7
	s_lshl_b32 s7, s0, 3
	v_lshl_add_u32 v5, s0, 6, v1
.LBB142_183:                            ;   Parent Loop BB142_176 Depth=1
                                        ; =>  This Inner Loop Header: Depth=2
	s_add_i32 s0, s3, s7
	v_mov_b32_e32 v9, s0
	ds_read_b64 v[6:7], v5
	ds_read_b64 v[10:11], v9
	s_add_i32 s7, s7, 8
	s_add_i32 s1, s1, -1
	v_add_u32_e32 v5, 64, v5
	s_cmp_lg_u32 s1, 0
	s_waitcnt lgkmcnt(0)
	v_pk_mul_f32 v[12:13], v[10:11], v[6:7] op_sel:[0,1]
	v_pk_fma_f32 v[14:15], v[10:11], v[6:7], v[12:13] op_sel:[0,0,1] op_sel_hi:[1,0,0]
	v_pk_fma_f32 v[6:7], v[10:11], v[6:7], v[12:13] op_sel:[0,0,1] op_sel_hi:[1,0,0] neg_lo:[0,0,1] neg_hi:[0,0,1]
	v_mov_b32_e32 v7, v15
	v_pk_add_f32 v[2:3], v[2:3], v[6:7] neg_lo:[0,1] neg_hi:[0,1]
	s_cbranch_scc1 .LBB142_183
.LBB142_184:                            ;   in Loop: Header=BB142_176 Depth=1
	s_mul_i32 s0, s4, 0x48
	v_add_u32_e32 v9, 0x200, v4
	v_mov_b32_e32 v4, s0
	ds_read_b64 v[4:5], v4
	s_waitcnt lgkmcnt(0)
	v_cmp_gt_f32_e32 vcc, 0, v5
	v_cndmask_b32_e64 v6, v5, -v5, vcc
	v_cmp_gt_f32_e32 vcc, 0, v4
	v_cndmask_b32_e64 v7, v4, -v4, vcc
	v_cmp_ngt_f32_e32 vcc, v7, v6
	s_cbranch_vccz .LBB142_186
; %bb.185:                              ;   in Loop: Header=BB142_176 Depth=1
	v_div_scale_f32 v6, s[0:1], v5, v5, v4
	v_rcp_f32_e32 v7, v6
	v_div_scale_f32 v10, vcc, v4, v5, v4
	v_fma_f32 v11, -v6, v7, 1.0
	v_fmac_f32_e32 v7, v11, v7
	v_mul_f32_e32 v11, v10, v7
	v_fma_f32 v12, -v6, v11, v10
	v_fmac_f32_e32 v11, v12, v7
	v_fma_f32 v6, -v6, v11, v10
	v_div_fmas_f32 v6, v6, v7, v11
	v_div_fixup_f32 v6, v6, v5, v4
	v_fma_f32 v7, v4, v6, v5
	v_div_scale_f32 v10, s[0:1], v7, v7, 1.0
	v_rcp_f32_e32 v11, v10
	v_fma_f32 v12, -v10, v11, 1.0
	v_fmac_f32_e32 v11, v12, v11
	v_div_scale_f32 v12, vcc, 1.0, v7, 1.0
	v_mul_f32_e32 v13, v12, v11
	v_fma_f32 v14, -v10, v13, v12
	v_fmac_f32_e32 v13, v14, v11
	v_fma_f32 v10, -v10, v13, v12
	v_div_fmas_f32 v10, v10, v11, v13
	v_div_fixup_f32 v10, v10, v7, 1.0
	v_pk_fma_f32 v[12:13], v[2:3], v[6:7], v[2:3] op_sel:[0,0,1] op_sel_hi:[1,0,0] neg_lo:[0,0,1] neg_hi:[0,0,1]
	v_pk_fma_f32 v[6:7], v[2:3], v[6:7], v[2:3] op_sel:[0,0,1] op_sel_hi:[1,0,0]
	v_mov_b32_e32 v7, v13
	v_pk_mul_f32 v[6:7], v[6:7], v[10:11] op_sel_hi:[1,0]
	s_cbranch_execnz .LBB142_175
	s_branch .LBB142_187
.LBB142_186:                            ;   in Loop: Header=BB142_176 Depth=1
                                        ; implicit-def: $vgpr6_vgpr7
.LBB142_187:                            ;   in Loop: Header=BB142_176 Depth=1
	v_div_scale_f32 v6, s[0:1], v4, v4, v5
	v_rcp_f32_e32 v7, v6
	v_div_scale_f32 v10, vcc, v5, v4, v5
	v_fma_f32 v11, -v6, v7, 1.0
	v_fmac_f32_e32 v7, v11, v7
	v_mul_f32_e32 v11, v10, v7
	v_fma_f32 v12, -v6, v11, v10
	v_fmac_f32_e32 v11, v12, v7
	v_fma_f32 v6, -v6, v11, v10
	v_div_fmas_f32 v6, v6, v7, v11
	v_div_fixup_f32 v6, v6, v4, v5
	v_fmac_f32_e32 v4, v5, v6
	v_div_scale_f32 v5, s[0:1], v4, v4, 1.0
	v_rcp_f32_e32 v7, v5
	v_fma_f32 v10, -v5, v7, 1.0
	v_fmac_f32_e32 v7, v10, v7
	v_div_scale_f32 v10, vcc, 1.0, v4, 1.0
	v_mul_f32_e32 v11, v10, v7
	v_fma_f32 v12, -v5, v11, v10
	v_fmac_f32_e32 v11, v12, v7
	v_fma_f32 v5, -v5, v11, v10
	v_div_fmas_f32 v5, v5, v7, v11
	v_pk_mul_f32 v[6:7], v[2:3], v[6:7] op_sel_hi:[1,0]
	v_pk_add_f32 v[10:11], v[2:3], v[6:7] op_sel:[0,1] op_sel_hi:[1,0] neg_lo:[0,1] neg_hi:[0,1]
	v_pk_add_f32 v[2:3], v[2:3], v[6:7] op_sel:[0,1] op_sel_hi:[1,0]
	v_div_fixup_f32 v4, v5, v4, 1.0
	v_mov_b32_e32 v3, v11
	v_pk_mul_f32 v[6:7], v[2:3], v[4:5] op_sel_hi:[1,0]
	s_branch .LBB142_175
.LBB142_188:
	s_and_saveexec_b64 s[0:1], s[28:29]
	s_cbranch_execz .LBB142_195
; %bb.189:
	s_ashr_i32 s15, s14, 31
	s_mov_b32 s6, 0
	s_cmp_lt_u32 s16, 4
	v_lshlrev_b32_e32 v4, 3, v0
	s_cbranch_scc1 .LBB142_192
; %bb.190:
	v_mov_b32_e32 v1, s49
	v_add_co_u32_e32 v2, vcc, s48, v4
	v_addc_co_u32_e32 v3, vcc, 0, v1, vcc
	v_mov_b32_e32 v1, 0x200
	s_mul_hi_i32 s9, s14, 24
	s_lshl_b64 s[0:1], s[14:15], 5
	s_lshl_b64 s[2:3], s[14:15], 4
	;; [unrolled: 1-line block ×3, first 2 shown]
	s_and_b32 s6, s16, 0x7ffffffc
	v_lshl_or_b32 v0, v0, 3, v1
	s_mul_i32 s7, s14, 24
	s_mov_b32 s8, 0
	v_mov_b32_e32 v1, s5
	v_mov_b32_e32 v5, s3
	;; [unrolled: 1-line block ×4, first 2 shown]
.LBB142_191:                            ; =>This Inner Loop Header: Depth=1
	v_add_co_u32_e32 v16, vcc, s4, v2
	ds_read2_b64 v[8:11], v0 offset1:8
	v_addc_co_u32_e32 v17, vcc, v3, v1, vcc
	v_add_co_u32_e32 v18, vcc, s2, v2
	v_addc_co_u32_e32 v19, vcc, v3, v5, vcc
	ds_read2_b64 v[12:15], v0 offset0:16 offset1:24
	v_add_co_u32_e32 v20, vcc, s7, v2
	v_addc_co_u32_e32 v21, vcc, v3, v6, vcc
	s_add_i32 s8, s8, 4
	s_waitcnt lgkmcnt(1)
	global_store_dwordx2 v[2:3], v[8:9], off
	global_store_dwordx2 v[16:17], v[10:11], off
	s_waitcnt lgkmcnt(0)
	global_store_dwordx2 v[18:19], v[12:13], off
	global_store_dwordx2 v[20:21], v[14:15], off
	v_add_co_u32_e32 v2, vcc, s0, v2
	v_add_u32_e32 v0, 0x100, v0
	s_cmp_lg_u32 s6, s8
	v_addc_co_u32_e32 v3, vcc, v3, v7, vcc
	s_cbranch_scc1 .LBB142_191
.LBB142_192:
	s_and_b32 s2, s16, 3
	s_cmp_eq_u32 s2, 0
	s_cbranch_scc1 .LBB142_195
; %bb.193:
	s_mul_hi_i32 s1, s14, s6
	s_mul_i32 s0, s14, s6
	s_lshl_b64 s[0:1], s[0:1], 3
	s_add_u32 s0, s24, s0
	s_addc_u32 s1, s25, s1
	s_add_u32 s0, s0, s26
	s_addc_u32 s1, s1, s27
	;; [unrolled: 2-line block ×4, first 2 shown]
	v_mov_b32_e32 v1, s1
	v_add_co_u32_e32 v0, vcc, s0, v4
	s_lshl_b64 s[0:1], s[14:15], 3
	v_lshl_or_b32 v2, s6, 6, v4
	v_addc_co_u32_e32 v1, vcc, 0, v1, vcc
	v_add_u32_e32 v2, 0x200, v2
	v_mov_b32_e32 v3, s1
.LBB142_194:                            ; =>This Inner Loop Header: Depth=1
	ds_read_b64 v[4:5], v2
	s_add_i32 s2, s2, -1
	v_add_u32_e32 v2, 64, v2
	s_cmp_lg_u32 s2, 0
	s_waitcnt lgkmcnt(0)
	global_store_dwordx2 v[0:1], v[4:5], off
	v_add_co_u32_e32 v0, vcc, s0, v0
	v_addc_co_u32_e32 v1, vcc, v1, v3, vcc
	s_cbranch_scc1 .LBB142_194
.LBB142_195:
	s_endpgm
	.section	.rodata,"a",@progbits
	.p2align	6, 0x0
	.amdhsa_kernel _ZL31rocblas_trsm_small_right_deviceI19rocblas_complex_numIfES1_PKS1_PS1_Li8EEv13rocblas_fill_18rocblas_operation_17rocblas_diagonal_iiT0_T1_lilT2_lili
		.amdhsa_group_segment_fixed_size 1024
		.amdhsa_private_segment_fixed_size 0
		.amdhsa_kernarg_size 360
		.amdhsa_user_sgpr_count 6
		.amdhsa_user_sgpr_private_segment_buffer 1
		.amdhsa_user_sgpr_dispatch_ptr 0
		.amdhsa_user_sgpr_queue_ptr 0
		.amdhsa_user_sgpr_kernarg_segment_ptr 1
		.amdhsa_user_sgpr_dispatch_id 0
		.amdhsa_user_sgpr_flat_scratch_init 0
		.amdhsa_user_sgpr_kernarg_preload_length 0
		.amdhsa_user_sgpr_kernarg_preload_offset 0
		.amdhsa_user_sgpr_private_segment_size 0
		.amdhsa_uses_dynamic_stack 0
		.amdhsa_system_sgpr_private_segment_wavefront_offset 0
		.amdhsa_system_sgpr_workgroup_id_x 1
		.amdhsa_system_sgpr_workgroup_id_y 0
		.amdhsa_system_sgpr_workgroup_id_z 1
		.amdhsa_system_sgpr_workgroup_info 0
		.amdhsa_system_vgpr_workitem_id 0
		.amdhsa_next_free_vgpr 58
		.amdhsa_next_free_sgpr 60
		.amdhsa_accum_offset 60
		.amdhsa_reserve_vcc 1
		.amdhsa_reserve_flat_scratch 0
		.amdhsa_float_round_mode_32 0
		.amdhsa_float_round_mode_16_64 0
		.amdhsa_float_denorm_mode_32 3
		.amdhsa_float_denorm_mode_16_64 3
		.amdhsa_dx10_clamp 1
		.amdhsa_ieee_mode 1
		.amdhsa_fp16_overflow 0
		.amdhsa_tg_split 0
		.amdhsa_exception_fp_ieee_invalid_op 0
		.amdhsa_exception_fp_denorm_src 0
		.amdhsa_exception_fp_ieee_div_zero 0
		.amdhsa_exception_fp_ieee_overflow 0
		.amdhsa_exception_fp_ieee_underflow 0
		.amdhsa_exception_fp_ieee_inexact 0
		.amdhsa_exception_int_div_zero 0
	.end_amdhsa_kernel
	.section	.text._ZL31rocblas_trsm_small_right_deviceI19rocblas_complex_numIfES1_PKS1_PS1_Li8EEv13rocblas_fill_18rocblas_operation_17rocblas_diagonal_iiT0_T1_lilT2_lili,"axG",@progbits,_ZL31rocblas_trsm_small_right_deviceI19rocblas_complex_numIfES1_PKS1_PS1_Li8EEv13rocblas_fill_18rocblas_operation_17rocblas_diagonal_iiT0_T1_lilT2_lili,comdat
.Lfunc_end142:
	.size	_ZL31rocblas_trsm_small_right_deviceI19rocblas_complex_numIfES1_PKS1_PS1_Li8EEv13rocblas_fill_18rocblas_operation_17rocblas_diagonal_iiT0_T1_lilT2_lili, .Lfunc_end142-_ZL31rocblas_trsm_small_right_deviceI19rocblas_complex_numIfES1_PKS1_PS1_Li8EEv13rocblas_fill_18rocblas_operation_17rocblas_diagonal_iiT0_T1_lilT2_lili
                                        ; -- End function
	.section	.AMDGPU.csdata,"",@progbits
; Kernel info:
; codeLenInByte = 15460
; NumSgprs: 64
; NumVgprs: 58
; NumAgprs: 0
; TotalNumVgprs: 58
; ScratchSize: 0
; MemoryBound: 0
; FloatMode: 240
; IeeeMode: 1
; LDSByteSize: 1024 bytes/workgroup (compile time only)
; SGPRBlocks: 7
; VGPRBlocks: 7
; NumSGPRsForWavesPerEU: 64
; NumVGPRsForWavesPerEU: 58
; AccumOffset: 60
; Occupancy: 8
; WaveLimiterHint : 0
; COMPUTE_PGM_RSRC2:SCRATCH_EN: 0
; COMPUTE_PGM_RSRC2:USER_SGPR: 6
; COMPUTE_PGM_RSRC2:TRAP_HANDLER: 0
; COMPUTE_PGM_RSRC2:TGID_X_EN: 1
; COMPUTE_PGM_RSRC2:TGID_Y_EN: 0
; COMPUTE_PGM_RSRC2:TGID_Z_EN: 1
; COMPUTE_PGM_RSRC2:TIDIG_COMP_CNT: 0
; COMPUTE_PGM_RSRC3_GFX90A:ACCUM_OFFSET: 14
; COMPUTE_PGM_RSRC3_GFX90A:TG_SPLIT: 0
	.section	.text._ZL38rocblas_trsm_small_left_device_sharedBILi12ELi12ELb0E19rocblas_complex_numIfES1_PKS1_PS1_Ev13rocblas_fill_18rocblas_operation_17rocblas_diagonal_iiT3_T4_lilT5_lili,"axG",@progbits,_ZL38rocblas_trsm_small_left_device_sharedBILi12ELi12ELb0E19rocblas_complex_numIfES1_PKS1_PS1_Ev13rocblas_fill_18rocblas_operation_17rocblas_diagonal_iiT3_T4_lilT5_lili,comdat
	.globl	_ZL38rocblas_trsm_small_left_device_sharedBILi12ELi12ELb0E19rocblas_complex_numIfES1_PKS1_PS1_Ev13rocblas_fill_18rocblas_operation_17rocblas_diagonal_iiT3_T4_lilT5_lili ; -- Begin function _ZL38rocblas_trsm_small_left_device_sharedBILi12ELi12ELb0E19rocblas_complex_numIfES1_PKS1_PS1_Ev13rocblas_fill_18rocblas_operation_17rocblas_diagonal_iiT3_T4_lilT5_lili
	.p2align	8
	.type	_ZL38rocblas_trsm_small_left_device_sharedBILi12ELi12ELb0E19rocblas_complex_numIfES1_PKS1_PS1_Ev13rocblas_fill_18rocblas_operation_17rocblas_diagonal_iiT3_T4_lilT5_lili,@function
_ZL38rocblas_trsm_small_left_device_sharedBILi12ELi12ELb0E19rocblas_complex_numIfES1_PKS1_PS1_Ev13rocblas_fill_18rocblas_operation_17rocblas_diagonal_iiT3_T4_lilT5_lili: ; @_ZL38rocblas_trsm_small_left_device_sharedBILi12ELi12ELb0E19rocblas_complex_numIfES1_PKS1_PS1_Ev13rocblas_fill_18rocblas_operation_17rocblas_diagonal_iiT3_T4_lilT5_lili
; %bb.0:
	s_add_u32 s0, s0, s10
	s_load_dwordx4 s[16:19], s[4:5], 0x4
	s_load_dwordx2 s[24:25], s[4:5], 0x14
	s_load_dwordx4 s[12:15], s[4:5], 0x38
	s_load_dwordx2 s[26:27], s[4:5], 0x48
	s_load_dword s43, s[4:5], 0x68
	s_addc_u32 s1, s1, 0
	s_waitcnt lgkmcnt(0)
	s_min_i32 s33, s18, 12
	s_mov_b32 s44, 0
	s_add_i32 s42, s33, -1
	v_cmp_gt_i32_e32 vcc, s33, v0
	s_and_saveexec_b64 s[28:29], vcc
	s_cbranch_execz .LBB143_35
; %bb.1:
	s_load_dword s30, s[4:5], 0x30
	s_load_dwordx4 s[20:23], s[4:5], 0x20
	s_mul_i32 s6, s9, s13
	s_mul_hi_u32 s7, s9, s12
	s_mul_i32 s12, s9, s12
	s_waitcnt lgkmcnt(0)
	s_ashr_i32 s31, s30, 31
	s_cmpk_lg_i32 s16, 0x71
	s_cselect_b64 s[34:35], -1, 0
	s_add_i32 s13, s7, s6
	v_cndmask_b32_e64 v1, 0, 1, s[34:35]
	s_cmp_lt_u32 s42, 3
	v_cmp_ne_u32_e64 s[6:7], 1, v1
	s_cbranch_scc1 .LBB143_20
; %bb.2:
	s_lshl_b64 s[10:11], s[12:13], 3
	s_add_u32 s36, s20, s10
	s_addc_u32 s37, s21, s11
	s_lshl_b64 s[10:11], s[22:23], 3
	s_add_u32 s10, s36, s10
	s_addc_u32 s11, s37, s11
	v_lshlrev_b32_e32 v1, 3, v0
	v_mov_b32_e32 v3, s11
	v_add_co_u32_e32 v2, vcc, s10, v1
	s_mul_hi_i32 s10, s30, 24
	s_lshl_b64 s[36:37], s[30:31], 5
	s_lshl_b64 s[38:39], s[30:31], 4
	;; [unrolled: 1-line block ×3, first 2 shown]
	v_addc_co_u32_e32 v3, vcc, 0, v3, vcc
	s_and_b32 s44, s33, -4
	s_mul_i32 s45, s30, 24
	s_mov_b32 s46, 0
	v_mov_b32_e32 v8, s41
	v_mov_b32_e32 v9, s39
	;; [unrolled: 1-line block ×4, first 2 shown]
	s_branch .LBB143_4
.LBB143_3:                              ;   in Loop: Header=BB143_4 Depth=1
	global_load_dword v4, v[6:7], off
	s_add_i32 s46, s46, 4
	v_add_co_u32_e32 v2, vcc, s36, v2
	v_addc_co_u32_e32 v3, vcc, v3, v11, vcc
	s_cmp_eq_u32 s44, s46
	s_waitcnt vmcnt(0)
	ds_write_b64 v1, v[4:5] offset:288
	v_add_u32_e32 v1, 0x180, v1
	s_cbranch_scc1 .LBB143_20
.LBB143_4:                              ; =>This Inner Loop Header: Depth=1
	s_and_b64 vcc, exec, s[34:35]
	s_cbranch_vccz .LBB143_6
; %bb.5:                                ;   in Loop: Header=BB143_4 Depth=1
	global_load_dword v5, v[2:3], off offset:4
	s_cbranch_execz .LBB143_7
	s_branch .LBB143_8
.LBB143_6:                              ;   in Loop: Header=BB143_4 Depth=1
                                        ; implicit-def: $vgpr5
.LBB143_7:                              ;   in Loop: Header=BB143_4 Depth=1
	global_load_dword v4, v[2:3], off offset:4
	s_waitcnt vmcnt(0)
	v_xor_b32_e32 v5, 0x80000000, v4
.LBB143_8:                              ;   in Loop: Header=BB143_4 Depth=1
	global_load_dword v4, v[2:3], off
	v_add_co_u32_e64 v6, s[10:11], s40, v2
	s_and_b64 vcc, exec, s[6:7]
	v_addc_co_u32_e64 v7, s[10:11], v3, v8, s[10:11]
	s_waitcnt vmcnt(0)
	ds_write_b64 v1, v[4:5]
	s_cbranch_vccnz .LBB143_10
; %bb.9:                                ;   in Loop: Header=BB143_4 Depth=1
	global_load_dword v5, v[6:7], off offset:4
	s_cbranch_execz .LBB143_11
	s_branch .LBB143_12
.LBB143_10:                             ;   in Loop: Header=BB143_4 Depth=1
                                        ; implicit-def: $vgpr5
.LBB143_11:                             ;   in Loop: Header=BB143_4 Depth=1
	global_load_dword v4, v[6:7], off offset:4
	s_waitcnt vmcnt(0)
	v_xor_b32_e32 v5, 0x80000000, v4
.LBB143_12:                             ;   in Loop: Header=BB143_4 Depth=1
	global_load_dword v4, v[6:7], off
	v_add_co_u32_e64 v6, s[10:11], s38, v2
	s_and_b64 vcc, exec, s[6:7]
	v_addc_co_u32_e64 v7, s[10:11], v3, v9, s[10:11]
	s_waitcnt vmcnt(0)
	ds_write_b64 v1, v[4:5] offset:96
	s_cbranch_vccnz .LBB143_14
; %bb.13:                               ;   in Loop: Header=BB143_4 Depth=1
	global_load_dword v5, v[6:7], off offset:4
	s_cbranch_execz .LBB143_15
	s_branch .LBB143_16
.LBB143_14:                             ;   in Loop: Header=BB143_4 Depth=1
                                        ; implicit-def: $vgpr5
.LBB143_15:                             ;   in Loop: Header=BB143_4 Depth=1
	global_load_dword v4, v[6:7], off offset:4
	s_waitcnt vmcnt(0)
	v_xor_b32_e32 v5, 0x80000000, v4
.LBB143_16:                             ;   in Loop: Header=BB143_4 Depth=1
	global_load_dword v4, v[6:7], off
	v_add_co_u32_e64 v6, s[10:11], s45, v2
	s_and_b64 vcc, exec, s[6:7]
	v_addc_co_u32_e64 v7, s[10:11], v3, v10, s[10:11]
	s_waitcnt vmcnt(0)
	ds_write_b64 v1, v[4:5] offset:192
	s_cbranch_vccnz .LBB143_18
; %bb.17:                               ;   in Loop: Header=BB143_4 Depth=1
	global_load_dword v5, v[6:7], off offset:4
	s_cbranch_execnz .LBB143_3
	s_branch .LBB143_19
.LBB143_18:                             ;   in Loop: Header=BB143_4 Depth=1
                                        ; implicit-def: $vgpr5
.LBB143_19:                             ;   in Loop: Header=BB143_4 Depth=1
	global_load_dword v4, v[6:7], off offset:4
	s_waitcnt vmcnt(0)
	v_xor_b32_e32 v5, 0x80000000, v4
	s_branch .LBB143_3
.LBB143_20:
	s_and_b32 s34, s33, 3
	s_cmp_eq_u32 s34, 0
	s_cbranch_scc1 .LBB143_27
; %bb.21:
	s_mul_i32 s10, s44, 0x60
	v_lshl_add_u32 v1, v0, 3, s10
	s_lshl_b64 s[10:11], s[12:13], 3
	s_mul_i32 s12, s31, s44
	s_mul_hi_u32 s13, s30, s44
	s_add_i32 s13, s13, s12
	s_mul_i32 s12, s30, s44
	s_lshl_b64 s[12:13], s[12:13], 3
	s_add_u32 s12, s10, s12
	s_addc_u32 s13, s11, s13
	s_lshl_b64 s[10:11], s[22:23], 3
	s_add_u32 s10, s12, s10
	s_addc_u32 s11, s13, s11
	s_add_u32 s10, s20, s10
	v_lshlrev_b32_e32 v2, 3, v0
	s_addc_u32 s11, s21, s11
	v_mov_b32_e32 v3, s11
	v_add_co_u32_e32 v2, vcc, s10, v2
	v_addc_co_u32_e32 v3, vcc, 0, v3, vcc
	v_add_co_u32_e32 v2, vcc, 4, v2
	s_lshl_b64 s[10:11], s[30:31], 3
	v_addc_co_u32_e32 v3, vcc, 0, v3, vcc
	v_mov_b32_e32 v6, s11
	s_branch .LBB143_23
.LBB143_22:                             ;   in Loop: Header=BB143_23 Depth=1
	global_load_dword v4, v[2:3], off offset:-4
	s_add_i32 s34, s34, -1
	v_add_co_u32_e32 v2, vcc, s10, v2
	s_cmp_lg_u32 s34, 0
	v_addc_co_u32_e32 v3, vcc, v3, v6, vcc
	s_waitcnt vmcnt(0)
	ds_write_b64 v1, v[4:5]
	v_add_u32_e32 v1, 0x60, v1
	s_cbranch_scc0 .LBB143_27
.LBB143_23:                             ; =>This Inner Loop Header: Depth=1
	s_and_b64 vcc, exec, s[6:7]
	s_cbranch_vccnz .LBB143_25
; %bb.24:                               ;   in Loop: Header=BB143_23 Depth=1
	global_load_dword v5, v[2:3], off
	s_cbranch_execnz .LBB143_22
	s_branch .LBB143_26
.LBB143_25:                             ;   in Loop: Header=BB143_23 Depth=1
                                        ; implicit-def: $vgpr5
.LBB143_26:                             ;   in Loop: Header=BB143_23 Depth=1
	global_load_dword v4, v[2:3], off
	s_waitcnt vmcnt(0)
	v_xor_b32_e32 v5, 0x80000000, v4
	s_branch .LBB143_22
.LBB143_27:
	v_mul_u32_u24_e32 v1, 13, v0
	s_cmpk_lg_i32 s17, 0x84
	v_lshlrev_b32_e32 v1, 3, v1
	s_mov_b64 s[6:7], -1
	s_cbranch_scc0 .LBB143_33
; %bb.28:
	ds_read_b64 v[2:3], v1
	s_mov_b32 s6, 0
	s_waitcnt lgkmcnt(0)
	v_cmp_gt_f32_e32 vcc, 0, v3
	v_cndmask_b32_e64 v4, v3, -v3, vcc
	v_cmp_gt_f32_e32 vcc, 0, v2
	v_cndmask_b32_e64 v5, v2, -v2, vcc
	v_cmp_ngt_f32_e32 vcc, v5, v4
                                        ; implicit-def: $vgpr4_vgpr5
	s_and_saveexec_b64 s[10:11], vcc
	s_xor_b64 s[10:11], exec, s[10:11]
	s_cbranch_execz .LBB143_30
; %bb.29:
	v_div_scale_f32 v4, s[12:13], v3, v3, v2
	v_rcp_f32_e32 v5, v4
	v_div_scale_f32 v6, vcc, v2, v3, v2
	s_mov_b32 s7, -1.0
	v_fma_f32 v7, -v4, v5, 1.0
	v_fmac_f32_e32 v5, v7, v5
	v_mul_f32_e32 v7, v6, v5
	v_fma_f32 v8, -v4, v7, v6
	v_fmac_f32_e32 v7, v8, v5
	v_fma_f32 v4, -v4, v7, v6
	v_div_fmas_f32 v4, v4, v5, v7
	v_div_fixup_f32 v4, v4, v3, v2
	v_fmac_f32_e32 v3, v2, v4
	v_div_scale_f32 v2, s[12:13], v3, v3, 1.0
	v_rcp_f32_e32 v5, v2
	v_fma_f32 v6, -v2, v5, 1.0
	v_fmac_f32_e32 v5, v6, v5
	v_div_scale_f32 v6, vcc, 1.0, v3, 1.0
	v_mul_f32_e32 v7, v6, v5
	v_fma_f32 v8, -v2, v7, v6
	v_fmac_f32_e32 v7, v8, v5
	v_fma_f32 v2, -v2, v7, v6
	v_div_fmas_f32 v2, v2, v5, v7
	v_mul_f32_e32 v5, 0, v4
	v_div_fixup_f32 v2, v2, v3, 1.0
	v_pk_add_f32 v[4:5], v[4:5], s[6:7]
	v_pk_mul_f32 v[4:5], v[4:5], v[2:3] op_sel_hi:[1,0]
                                        ; implicit-def: $vgpr2_vgpr3
.LBB143_30:
	s_andn2_saveexec_b64 s[6:7], s[10:11]
	s_cbranch_execz .LBB143_32
; %bb.31:
	v_div_scale_f32 v4, s[10:11], v2, v2, v3
	v_rcp_f32_e32 v5, v4
	v_div_scale_f32 v6, vcc, v3, v2, v3
	v_fma_f32 v7, -v4, v5, 1.0
	v_fmac_f32_e32 v5, v7, v5
	v_mul_f32_e32 v7, v6, v5
	v_fma_f32 v8, -v4, v7, v6
	v_fmac_f32_e32 v7, v8, v5
	v_fma_f32 v4, -v4, v7, v6
	v_div_fmas_f32 v4, v4, v5, v7
	v_div_fixup_f32 v5, v4, v2, v3
	v_fmac_f32_e32 v2, v3, v5
	v_div_scale_f32 v3, s[10:11], v2, v2, 1.0
	v_rcp_f32_e32 v4, v3
	s_mov_b32 s10, 1.0
	s_mov_b32 s11, 0
	v_fma_f32 v6, -v3, v4, 1.0
	v_fmac_f32_e32 v4, v6, v4
	v_div_scale_f32 v6, vcc, 1.0, v2, 1.0
	v_mul_f32_e32 v7, v6, v4
	v_fma_f32 v8, -v3, v7, v6
	v_fmac_f32_e32 v7, v8, v4
	v_fma_f32 v3, -v3, v7, v6
	v_div_fmas_f32 v3, v3, v4, v7
	v_mul_f32_e32 v4, 0, v5
	v_pk_add_f32 v[6:7], v[4:5], s[10:11]
	v_pk_add_f32 v[4:5], v[4:5], s[10:11] neg_lo:[1,0] neg_hi:[1,0]
	v_div_fixup_f32 v2, v3, v2, 1.0
	v_mov_b32_e32 v7, v5
	v_pk_mul_f32 v[4:5], v[6:7], v[2:3] op_sel_hi:[1,0]
.LBB143_32:
	s_or_b64 exec, exec, s[6:7]
	s_mov_b64 s[6:7], 0
	ds_write_b64 v1, v[4:5]
.LBB143_33:
	s_and_b64 vcc, exec, s[6:7]
	s_cbranch_vccz .LBB143_35
; %bb.34:
	v_mov_b32_e32 v2, 1.0
	v_mov_b32_e32 v3, 0
	ds_write_b64 v1, v[2:3]
.LBB143_35:
	s_or_b64 exec, exec, s[28:29]
	s_load_dword s28, s[4:5], 0x50
	s_load_dwordx2 s[6:7], s[4:5], 0x58
	s_mov_b32 s20, 0
	s_waitcnt lgkmcnt(0)
	s_ashr_i32 s29, s28, 31
	s_mul_i32 s5, s9, s7
	s_mul_hi_u32 s7, s9, s6
	s_mul_i32 s4, s9, s6
	s_add_i32 s5, s7, s5
	s_lshl_b64 s[4:5], s[4:5], 3
	s_add_u32 s9, s14, s4
	s_addc_u32 s10, s15, s5
	s_lshl_b64 s[6:7], s[26:27], 3
	s_add_u32 s12, s9, s6
	s_mul_i32 s9, s8, -12
	s_addc_u32 s13, s10, s7
	s_add_i32 s43, s43, -1
	s_add_i32 s9, s9, s19
	s_cmp_ge_u32 s8, s43
	s_mul_i32 s8, s8, 12
	s_mul_hi_i32 s11, s28, s8
	s_mul_i32 s10, s28, s8
	s_cselect_b32 s17, s9, 12
	s_ashr_i32 s9, s8, 31
	s_lshl_b64 s[10:11], s[10:11], 3
	s_add_u32 s19, s12, s10
	s_addc_u32 s26, s13, s11
	s_cmp_gt_i32 s18, 0
	v_cmp_gt_i32_e32 vcc, s17, v0
	s_cselect_b64 s[10:11], -1, 0
	s_and_b64 s[10:11], vcc, s[10:11]
	s_and_saveexec_b64 s[12:13], s[10:11]
	s_cbranch_execz .LBB143_43
; %bb.36:
	s_cmp_lt_i32 s18, 8
	s_cbranch_scc1 .LBB143_40
; %bb.37:
	v_mad_i64_i32 v[2:3], s[20:21], s28, v0, 0
	v_lshlrev_b64 v[2:3], 3, v[2:3]
	v_mov_b32_e32 v4, s26
	v_add_co_u32_e32 v1, vcc, s19, v2
	v_addc_co_u32_e32 v2, vcc, v4, v3, vcc
	v_mov_b32_e32 v3, 0x480
	s_lshl_b32 s17, s33, 3
	v_lshl_or_b32 v3, v0, 3, v3
	s_and_b32 s17, s17, 64
	s_mov_b64 s[20:21], 0
.LBB143_38:                             ; =>This Inner Loop Header: Depth=1
	v_mov_b32_e32 v4, s21
	v_add_co_u32_e32 v20, vcc, s20, v1
	v_addc_co_u32_e32 v21, vcc, v2, v4, vcc
	global_load_dwordx4 v[4:7], v[20:21], off
	global_load_dwordx4 v[8:11], v[20:21], off offset:16
	global_load_dwordx4 v[12:15], v[20:21], off offset:32
	;; [unrolled: 1-line block ×3, first 2 shown]
	s_add_u32 s20, s20, 64
	s_addc_u32 s21, s21, 0
	s_cmp_lg_u32 s17, s20
	s_waitcnt vmcnt(3)
	v_mul_f32_e32 v20, s25, v5
	v_mul_f32_e32 v21, s24, v5
	v_mul_f32_e32 v22, s25, v7
	v_mul_f32_e32 v5, s24, v7
	s_waitcnt vmcnt(2)
	v_mul_f32_e32 v23, s25, v9
	v_mul_f32_e32 v7, s24, v9
	v_mul_f32_e32 v24, s25, v11
	v_mul_f32_e32 v9, s24, v11
	;; [unrolled: 5-line block ×4, first 2 shown]
	v_fma_f32 v20, s24, v4, -v20
	v_fmac_f32_e32 v21, s25, v4
	v_fma_f32 v4, s24, v6, -v22
	v_fmac_f32_e32 v5, s25, v6
	;; [unrolled: 2-line block ×8, first 2 shown]
	ds_write2_b64 v3, v[20:21], v[4:5] offset1:12
	ds_write2_b64 v3, v[6:7], v[8:9] offset0:24 offset1:36
	ds_write2_b64 v3, v[10:11], v[12:13] offset0:48 offset1:60
	;; [unrolled: 1-line block ×3, first 2 shown]
	v_add_u32_e32 v3, 0x300, v3
	s_cbranch_scc1 .LBB143_38
; %bb.39:
	s_mov_b32 s20, 8
.LBB143_40:
	s_and_b32 s17, s33, 7
	s_cmp_eq_u32 s17, 0
	s_cbranch_scc1 .LBB143_43
; %bb.41:
	s_mul_i32 s21, s20, 0x60
	s_lshl_b64 s[22:23], s[8:9], 3
	s_lshl_b32 s20, s20, 3
	s_add_u32 s20, s14, s20
	v_lshl_add_u32 v1, v0, 3, s21
	s_addc_u32 s21, s15, 0
	s_add_u32 s20, s20, s6
	s_addc_u32 s21, s21, s7
	v_lshlrev_b32_e32 v2, 3, v0
	s_add_u32 s20, s20, s4
	v_mov_b32_e32 v3, s23
	v_add_co_u32_e32 v4, vcc, s22, v2
	s_addc_u32 s21, s21, s5
	v_addc_co_u32_e32 v5, vcc, 0, v3, vcc
	v_pk_mov_b32 v[2:3], s[20:21], s[20:21] op_sel:[0,1]
	v_mad_u64_u32 v[2:3], s[20:21], v4, s28, v[2:3]
	v_mul_lo_u32 v4, v4, s29
	v_mul_lo_u32 v5, v5, s28
	v_add3_u32 v3, v5, v3, v4
	v_add_co_u32_e32 v2, vcc, 4, v2
	v_add_u32_e32 v1, 0x480, v1
	v_addc_co_u32_e32 v3, vcc, 0, v3, vcc
.LBB143_42:                             ; =>This Inner Loop Header: Depth=1
	global_load_dwordx2 v[4:5], v[2:3], off offset:-4
	v_add_co_u32_e32 v2, vcc, 8, v2
	s_add_i32 s17, s17, -1
	v_addc_co_u32_e32 v3, vcc, 0, v3, vcc
	s_cmp_lg_u32 s17, 0
	s_waitcnt vmcnt(0)
	v_mul_f32_e32 v6, s25, v5
	v_mul_f32_e32 v7, s24, v5
	v_fma_f32 v6, s24, v4, -v6
	v_fmac_f32_e32 v7, s25, v4
	ds_write_b64 v1, v[6:7]
	v_add_u32_e32 v1, 0x60, v1
	s_cbranch_scc1 .LBB143_42
.LBB143_43:
	s_or_b64 exec, exec, s[12:13]
	s_cmpk_eq_i32 s16, 0x6f
	s_mov_b64 s[12:13], -1
	s_waitcnt lgkmcnt(0)
	; wave barrier
	s_waitcnt lgkmcnt(0)
	s_cbranch_scc1 .LBB143_72
; %bb.44:
	v_mov_b32_e32 v1, 0x480
	s_mov_b32 s13, 0
	v_lshl_or_b32 v1, v0, 3, v1
	v_mov_b32_e32 v10, 0
	s_mov_b32 s12, s13
	s_mov_b32 s27, s13
	s_branch .LBB143_46
.LBB143_45:                             ;   in Loop: Header=BB143_46 Depth=1
	s_cmp_ge_i32 s27, s33
	s_cselect_b64 s[16:17], -1, 0
	s_add_i32 s12, s12, 1
	s_cmp_eq_u32 s12, 3
	s_cselect_b64 s[20:21], -1, 0
	s_or_b64 s[16:17], s[16:17], s[20:21]
	s_andn2_b64 vcc, exec, s[16:17]
	s_cbranch_vccz .LBB143_71
.LBB143_46:                             ; =>This Loop Header: Depth=1
                                        ;     Child Loop BB143_49 Depth 2
                                        ;       Child Loop BB143_50 Depth 3
                                        ;       Child Loop BB143_54 Depth 3
                                        ;         Child Loop BB143_56 Depth 4
                                        ;         Child Loop BB143_62 Depth 4
                                        ;       Child Loop BB143_65 Depth 3
                                        ;         Child Loop BB143_67 Depth 4
	s_lshl_b64 s[16:17], s[12:13], 2
	s_getpc_b64 s[20:21]
	s_add_u32 s20, s20, __const._ZL38rocblas_trsm_small_left_device_sharedBILi12ELi12ELb0E19rocblas_complex_numIfES1_PKS1_PS1_Ev13rocblas_fill_18rocblas_operation_17rocblas_diagonal_iiT3_T4_lilT5_lili.step_sizes@rel32@lo+4
	s_addc_u32 s21, s21, __const._ZL38rocblas_trsm_small_left_device_sharedBILi12ELi12ELb0E19rocblas_complex_numIfES1_PKS1_PS1_Ev13rocblas_fill_18rocblas_operation_17rocblas_diagonal_iiT3_T4_lilT5_lili.step_sizes@rel32@hi+12
	s_add_u32 s16, s16, s20
	s_addc_u32 s17, s17, s21
	s_load_dword s30, s[16:17], 0x0
	s_waitcnt lgkmcnt(0)
	s_add_i32 s31, s30, -1
	s_add_i32 s16, s31, s27
	s_cmp_ge_i32 s16, s33
	s_cbranch_scc1 .LBB143_45
; %bb.47:                               ;   in Loop: Header=BB143_46 Depth=1
	s_max_i32 s34, s30, 1
	s_cmp_lg_u32 s12, 2
	s_cselect_b64 s[16:17], -1, 0
	s_and_b32 s35, s34, 0x7ffffffe
	s_cmp_lg_u32 s34, s35
	s_mul_i32 s22, s27, 0x60
	s_cselect_b64 s[20:21], -1, 0
	v_add_u32_e32 v11, s22, v1
	s_mul_i32 s36, s30, 0x60
	s_mul_i32 s37, s27, 0x68
	;; [unrolled: 1-line block ×3, first 2 shown]
	s_branch .LBB143_49
.LBB143_48:                             ;   in Loop: Header=BB143_49 Depth=2
	s_add_i32 s27, s27, s30
	s_add_i32 s22, s31, s27
	;; [unrolled: 1-line block ×3, first 2 shown]
	s_cmp_ge_i32 s22, s33
	v_add_u32_e32 v11, s36, v11
	s_cbranch_scc1 .LBB143_45
.LBB143_49:                             ;   Parent Loop BB143_46 Depth=1
                                        ; =>  This Loop Header: Depth=2
                                        ;       Child Loop BB143_50 Depth 3
                                        ;       Child Loop BB143_54 Depth 3
                                        ;         Child Loop BB143_56 Depth 4
                                        ;         Child Loop BB143_62 Depth 4
                                        ;       Child Loop BB143_65 Depth 3
                                        ;         Child Loop BB143_67 Depth 4
	v_mov_b32_e32 v2, 0
	v_mov_b32_e32 v3, v11
	s_mov_b32 s22, s34
.LBB143_50:                             ;   Parent Loop BB143_46 Depth=1
                                        ;     Parent Loop BB143_49 Depth=2
                                        ; =>    This Inner Loop Header: Depth=3
	ds_read_b64 v[4:5], v3
	s_add_i32 s22, s22, -1
	v_add_u32_e32 v3, 0x60, v3
	s_cmp_eq_u32 s22, 0
	s_waitcnt lgkmcnt(0)
	buffer_store_dword v5, v2, s[0:3], 0 offen offset:4
	buffer_store_dword v4, v2, s[0:3], 0 offen
	v_add_u32_e32 v2, 8, v2
	s_cbranch_scc0 .LBB143_50
; %bb.51:                               ;   in Loop: Header=BB143_49 Depth=2
	s_cmp_lt_i32 s27, 1
	s_cbranch_scc1 .LBB143_63
; %bb.52:                               ;   in Loop: Header=BB143_49 Depth=2
	s_mov_b32 s39, s27
	s_mov_b32 s40, 0
	s_mov_b32 s41, 0
	s_branch .LBB143_54
.LBB143_53:                             ;   in Loop: Header=BB143_54 Depth=3
	s_add_i32 s41, s41, 1
	s_add_i32 s40, s40, 8
	s_cmp_ge_i32 s41, s27
	s_cbranch_scc1 .LBB143_63
.LBB143_54:                             ;   Parent Loop BB143_46 Depth=1
                                        ;     Parent Loop BB143_49 Depth=2
                                        ; =>    This Loop Header: Depth=3
                                        ;         Child Loop BB143_56 Depth 4
                                        ;         Child Loop BB143_62 Depth 4
	s_mul_i32 s22, s41, 12
	s_waitcnt lgkmcnt(0)
	v_add_lshl_u32 v2, s22, v0, 3
	ds_read_b64 v[2:3], v2 offset:1152
	s_and_b64 vcc, exec, s[16:17]
	s_cbranch_vccz .LBB143_58
; %bb.55:                               ;   in Loop: Header=BB143_54 Depth=3
	s_mov_b32 s22, s41
	s_waitcnt lgkmcnt(0)
	v_mov_b32_e32 v6, v2
	v_mov_b32_e32 v7, v2
	;; [unrolled: 1-line block ×6, first 2 shown]
	s_mov_b32 s23, 1
	s_mov_b32 s24, 0
	;; [unrolled: 1-line block ×3, first 2 shown]
.LBB143_56:                             ;   Parent Loop BB143_46 Depth=1
                                        ;     Parent Loop BB143_49 Depth=2
                                        ;       Parent Loop BB143_54 Depth=3
                                        ; =>      This Inner Loop Header: Depth=4
	buffer_load_dword v12, v5, s[0:3], 0 offen
	buffer_load_dword v14, v5, s[0:3], 0 offen offset:4
	buffer_load_dword v13, v5, s[0:3], 0 offen offset:8
	;; [unrolled: 1-line block ×3, first 2 shown]
	s_add_i32 s43, s23, s39
	s_add_i32 s44, s24, s27
	s_mul_i32 s44, s44, 12
	s_mul_i32 s43, s43, 12
	s_add_i32 s43, s43, s22
	s_add_i32 s44, s44, s41
	s_lshl_b32 s44, s44, 3
	s_lshl_b32 s43, s43, 3
	v_mov_b32_e32 v16, s44
	v_mov_b32_e32 v18, s43
	ds_read_b64 v[16:17], v16
	ds_read_b64 v[18:19], v18
	s_add_i32 s24, s24, 2
	s_add_i32 s23, s23, 2
	s_add_i32 s25, s25, -2
	s_waitcnt lgkmcnt(1)
	v_mov_b32_e32 v20, v16
	s_waitcnt lgkmcnt(0)
	v_mov_b32_e32 v21, v18
	v_mov_b32_e32 v18, v17
	v_pk_mul_f32 v[16:17], v[18:19], v[8:9]
	v_pk_mul_f32 v[18:19], v[18:19], v[6:7]
	v_pk_fma_f32 v[16:17], v[20:21], v[6:7], v[16:17] neg_lo:[0,0,1] neg_hi:[0,0,1]
	v_pk_fma_f32 v[18:19], v[20:21], v[8:9], v[18:19]
	s_cmp_lg_u32 s25, 0
	s_waitcnt vmcnt(1)
	v_pk_add_f32 v[12:13], v[12:13], v[16:17] neg_lo:[0,1] neg_hi:[0,1]
	s_waitcnt vmcnt(0)
	v_pk_add_f32 v[14:15], v[14:15], v[18:19] neg_lo:[0,1] neg_hi:[0,1]
	buffer_store_dword v12, v5, s[0:3], 0 offen
	buffer_store_dword v14, v5, s[0:3], 0 offen offset:4
	buffer_store_dword v13, v5, s[0:3], 0 offen offset:8
	buffer_store_dword v15, v5, s[0:3], 0 offen offset:12
	v_add_u32_e32 v5, 16, v5
	s_cbranch_scc1 .LBB143_56
; %bb.57:                               ;   in Loop: Header=BB143_54 Depth=3
	s_mov_b64 s[22:23], s[20:21]
	s_mov_b32 s24, s35
	s_branch .LBB143_60
.LBB143_58:                             ;   in Loop: Header=BB143_54 Depth=3
	s_mov_b64 s[22:23], 0
                                        ; implicit-def: $vgpr4_vgpr5
	s_mov_b32 s24, s35
	s_cbranch_execz .LBB143_60
; %bb.59:                               ;   in Loop: Header=BB143_54 Depth=3
	s_waitcnt lgkmcnt(0)
	v_mov_b32_e32 v4, v3
	s_mov_b64 s[22:23], -1
	s_mov_b32 s24, 0
.LBB143_60:                             ;   in Loop: Header=BB143_54 Depth=3
	s_andn2_b64 vcc, exec, s[22:23]
	s_cbranch_vccnz .LBB143_53
; %bb.61:                               ;   in Loop: Header=BB143_54 Depth=3
	s_add_i32 s23, s27, s24
	s_sub_i32 s22, s34, s24
	s_mulk_i32 s23, 0x60
	s_lshl_b32 s24, s24, 3
	s_waitcnt lgkmcnt(0)
	v_mov_b32_e32 v5, v3
	v_mov_b32_e32 v3, v2
	s_add_i32 s23, s40, s23
	v_add_u32_e32 v6, s24, v10
.LBB143_62:                             ;   Parent Loop BB143_46 Depth=1
                                        ;     Parent Loop BB143_49 Depth=2
                                        ;       Parent Loop BB143_54 Depth=3
                                        ; =>      This Inner Loop Header: Depth=4
	buffer_load_dword v8, v6, s[0:3], 0 offen
	buffer_load_dword v9, v6, s[0:3], 0 offen offset:4
	v_mov_b32_e32 v7, s23
	ds_read_b64 v[12:13], v7
	s_add_i32 s22, s22, -1
	s_addk_i32 s23, 0x60
	s_cmp_eq_u32 s22, 0
	s_waitcnt lgkmcnt(0)
	v_pk_mul_f32 v[14:15], v[12:13], v[4:5]
	v_pk_fma_f32 v[16:17], v[12:13], v[2:3], v[14:15] op_sel:[0,0,1] op_sel_hi:[1,1,0] neg_lo:[0,0,1] neg_hi:[0,0,1]
	v_pk_fma_f32 v[12:13], v[12:13], v[2:3], v[14:15] op_sel:[0,0,1] op_sel_hi:[1,1,0]
	v_mov_b32_e32 v17, v13
	s_waitcnt vmcnt(0)
	v_pk_add_f32 v[8:9], v[8:9], v[16:17] neg_lo:[0,1] neg_hi:[0,1]
	buffer_store_dword v8, v6, s[0:3], 0 offen
	buffer_store_dword v9, v6, s[0:3], 0 offen offset:4
	v_add_u32_e32 v6, 8, v6
	s_cbranch_scc0 .LBB143_62
	s_branch .LBB143_53
.LBB143_63:                             ;   in Loop: Header=BB143_49 Depth=2
	s_mul_i32 s24, s27, 12
	s_mov_b32 s25, 0
	s_mov_b32 s39, s37
	s_branch .LBB143_65
.LBB143_64:                             ;   in Loop: Header=BB143_65 Depth=3
	s_mul_i32 s22, s41, 0x68
	v_mov_b32_e32 v4, s22
	ds_read_b64 v[4:5], v4
	s_lshl_b32 s22, s25, 3
	s_add_i32 s25, s25, 1
	s_addk_i32 s39, 0x60
	v_add_u32_e32 v8, s22, v10
	s_waitcnt vmcnt(0) lgkmcnt(0)
	v_mul_f32_e32 v6, v5, v3
	v_mul_f32_e32 v7, v4, v3
	v_fma_f32 v6, v4, v2, -v6
	v_fmac_f32_e32 v7, v5, v2
	v_add_lshl_u32 v2, s40, v0, 3
	s_cmp_eq_u32 s25, s34
	buffer_store_dword v6, v8, s[0:3], 0 offen
	buffer_store_dword v7, v8, s[0:3], 0 offen offset:4
	ds_write_b64 v2, v[6:7] offset:1152
	s_cbranch_scc1 .LBB143_48
.LBB143_65:                             ;   Parent Loop BB143_46 Depth=1
                                        ;     Parent Loop BB143_49 Depth=2
                                        ; =>    This Loop Header: Depth=3
                                        ;         Child Loop BB143_67 Depth 4
	s_cmp_lg_u32 s25, 0
	s_cbranch_scc0 .LBB143_69
; %bb.66:                               ;   in Loop: Header=BB143_65 Depth=3
	s_lshl_b32 s22, s25, 3
	v_add_u32_e32 v4, s22, v10
	s_waitcnt lgkmcnt(0)
	buffer_load_dword v2, v4, s[0:3], 0 offen
	buffer_load_dword v3, v4, s[0:3], 0 offen offset:4
	v_mov_b32_e32 v5, 0
	s_mov_b32 s22, 0
	s_mov_b32 s23, s39
.LBB143_67:                             ;   Parent Loop BB143_46 Depth=1
                                        ;     Parent Loop BB143_49 Depth=2
                                        ;       Parent Loop BB143_65 Depth=3
                                        ; =>      This Inner Loop Header: Depth=4
	buffer_load_dword v7, v5, s[0:3], 0 offen offset:4
	buffer_load_dword v6, v5, s[0:3], 0 offen
	v_mov_b32_e32 v8, s23
	ds_read_b64 v[8:9], v8
	s_add_i32 s22, s22, 1
	s_add_i32 s23, s23, 8
	v_add_u32_e32 v5, 8, v5
	s_cmp_ge_u32 s22, s25
	s_waitcnt vmcnt(1)
	v_mov_b32_e32 v12, v7
	s_waitcnt lgkmcnt(0)
	v_pk_mul_f32 v[12:13], v[8:9], v[12:13] op_sel_hi:[1,0]
	s_waitcnt vmcnt(0)
	v_pk_fma_f32 v[14:15], v[8:9], v[6:7], v[12:13] op_sel:[0,0,1] op_sel_hi:[1,1,0] neg_lo:[0,0,1] neg_hi:[0,0,1]
	v_pk_fma_f32 v[6:7], v[8:9], v[6:7], v[12:13] op_sel:[0,0,1] op_sel_hi:[1,0,0]
	v_mov_b32_e32 v15, v7
	v_pk_add_f32 v[2:3], v[2:3], v[14:15] neg_lo:[0,1] neg_hi:[0,1]
	buffer_store_dword v2, v4, s[0:3], 0 offen
	buffer_store_dword v3, v4, s[0:3], 0 offen offset:4
	s_cbranch_scc0 .LBB143_67
; %bb.68:                               ;   in Loop: Header=BB143_65 Depth=3
	s_add_i32 s41, s25, s27
	s_mul_i32 s40, s41, 12
	s_branch .LBB143_64
.LBB143_69:                             ;   in Loop: Header=BB143_65 Depth=3
                                        ; implicit-def: $vgpr2
                                        ; implicit-def: $sgpr41
                                        ; implicit-def: $sgpr40
	s_cbranch_execz .LBB143_64
; %bb.70:                               ;   in Loop: Header=BB143_65 Depth=3
	s_waitcnt lgkmcnt(0)
	buffer_load_dword v2, off, s[0:3], 0
	buffer_load_dword v3, off, s[0:3], 0 offset:4
	s_mov_b32 s40, s24
	s_mov_b32 s41, s27
	s_branch .LBB143_64
.LBB143_71:
	s_mov_b64 s[12:13], 0
.LBB143_72:
	s_and_b64 vcc, exec, s[12:13]
	s_cbranch_vccz .LBB143_99
; %bb.73:
	v_mov_b32_e32 v1, 0x480
	s_mul_i32 s27, s33, 0x60
	s_mov_b32 s13, 0
	v_lshl_or_b32 v1, v0, 3, v1
	s_addk_i32 s27, 0xffa0
	v_mov_b32_e32 v10, 0
	s_mov_b32 s12, s13
	s_mov_b32 s30, s42
	s_branch .LBB143_75
.LBB143_74:                             ;   in Loop: Header=BB143_75 Depth=1
	s_cmp_lt_i32 s30, 0
	s_cselect_b64 s[16:17], -1, 0
	s_add_i32 s12, s12, 1
	s_cmp_eq_u32 s12, 3
	s_cselect_b64 s[20:21], -1, 0
	s_or_b64 s[16:17], s[16:17], s[20:21]
	s_and_b64 vcc, exec, s[16:17]
	s_cbranch_vccnz .LBB143_99
.LBB143_75:                             ; =>This Loop Header: Depth=1
                                        ;     Child Loop BB143_78 Depth 2
                                        ;       Child Loop BB143_79 Depth 3
                                        ;       Child Loop BB143_90 Depth 3
                                        ;         Child Loop BB143_92 Depth 4
                                        ;         Child Loop BB143_98 Depth 4
                                        ;       Child Loop BB143_83 Depth 3
                                        ;         Child Loop BB143_85 Depth 4
	s_lshl_b64 s[16:17], s[12:13], 2
	s_getpc_b64 s[20:21]
	s_add_u32 s20, s20, __const._ZL38rocblas_trsm_small_left_device_sharedBILi12ELi12ELb0E19rocblas_complex_numIfES1_PKS1_PS1_Ev13rocblas_fill_18rocblas_operation_17rocblas_diagonal_iiT3_T4_lilT5_lili.step_sizes@rel32@lo+4
	s_addc_u32 s21, s21, __const._ZL38rocblas_trsm_small_left_device_sharedBILi12ELi12ELb0E19rocblas_complex_numIfES1_PKS1_PS1_Ev13rocblas_fill_18rocblas_operation_17rocblas_diagonal_iiT3_T4_lilT5_lili.step_sizes@rel32@hi+12
	s_add_u32 s16, s16, s20
	s_addc_u32 s17, s17, s21
	s_load_dword s31, s[16:17], 0x0
	s_waitcnt lgkmcnt(0)
	s_add_i32 s34, s31, -1
	s_cmp_lt_i32 s30, s34
	s_cbranch_scc1 .LBB143_74
; %bb.76:                               ;   in Loop: Header=BB143_75 Depth=1
	s_max_i32 s35, s31, 1
	s_cmp_lg_u32 s12, 2
	s_cselect_b64 s[16:17], -1, 0
	s_and_b32 s36, s35, 0x7ffffffe
	s_cmp_lg_u32 s35, s36
	s_mul_i32 s22, s30, 0x60
	s_cselect_b64 s[20:21], -1, 0
	v_add_u32_e32 v11, s22, v1
	s_lshl_b32 s22, s30, 3
	s_add_i32 s38, s27, s22
	s_lshl_b32 s22, s31, 3
	s_mul_i32 s37, s31, 0xffffffa0
	s_sub_i32 s39, 0, s22
	s_mul_i32 s40, s30, 0x68
	s_mul_i32 s41, s31, 0xffffff98
	s_branch .LBB143_78
.LBB143_77:                             ;   in Loop: Header=BB143_78 Depth=2
	s_sub_i32 s30, s30, s31
	s_add_i32 s38, s38, s39
	s_add_i32 s40, s40, s41
	s_cmp_lt_i32 s30, s34
	v_add_u32_e32 v11, s37, v11
	s_cbranch_scc1 .LBB143_74
.LBB143_78:                             ;   Parent Loop BB143_75 Depth=1
                                        ; =>  This Loop Header: Depth=2
                                        ;       Child Loop BB143_79 Depth 3
                                        ;       Child Loop BB143_90 Depth 3
                                        ;         Child Loop BB143_92 Depth 4
                                        ;         Child Loop BB143_98 Depth 4
                                        ;       Child Loop BB143_83 Depth 3
                                        ;         Child Loop BB143_85 Depth 4
	v_mov_b32_e32 v2, 0
	v_mov_b32_e32 v3, v11
	s_mov_b32 s22, s35
.LBB143_79:                             ;   Parent Loop BB143_75 Depth=1
                                        ;     Parent Loop BB143_78 Depth=2
                                        ; =>    This Inner Loop Header: Depth=3
	ds_read_b64 v[4:5], v3
	s_add_i32 s22, s22, -1
	v_add_u32_e32 v3, 0xffffffa0, v3
	s_cmp_eq_u32 s22, 0
	s_waitcnt lgkmcnt(0)
	buffer_store_dword v5, v2, s[0:3], 0 offen offset:4
	buffer_store_dword v4, v2, s[0:3], 0 offen
	v_add_u32_e32 v2, 8, v2
	s_cbranch_scc0 .LBB143_79
; %bb.80:                               ;   in Loop: Header=BB143_78 Depth=2
	s_cmp_le_i32 s42, s30
	s_mov_b32 s43, s38
	s_mov_b32 s44, s42
	s_cbranch_scc0 .LBB143_90
.LBB143_81:                             ;   in Loop: Header=BB143_78 Depth=2
	s_mov_b32 s24, 0
	s_mov_b32 s25, s40
	s_branch .LBB143_83
.LBB143_82:                             ;   in Loop: Header=BB143_83 Depth=3
	s_mul_i32 s22, s43, 0x68
	v_mov_b32_e32 v4, s22
	ds_read_b64 v[4:5], v4
	s_mul_i32 s22, s43, 12
	s_lshl_b32 s23, s24, 3
	s_add_i32 s24, s24, 1
	s_add_i32 s25, s25, -8
	s_waitcnt vmcnt(0) lgkmcnt(0)
	v_mul_f32_e32 v6, v5, v3
	v_mul_f32_e32 v7, v4, v3
	v_add_u32_e32 v8, s23, v10
	v_fma_f32 v6, v4, v2, -v6
	v_fmac_f32_e32 v7, v5, v2
	v_add_lshl_u32 v2, s22, v0, 3
	s_cmp_eq_u32 s24, s35
	buffer_store_dword v6, v8, s[0:3], 0 offen
	buffer_store_dword v7, v8, s[0:3], 0 offen offset:4
	ds_write_b64 v2, v[6:7] offset:1152
	s_cbranch_scc1 .LBB143_77
.LBB143_83:                             ;   Parent Loop BB143_75 Depth=1
                                        ;     Parent Loop BB143_78 Depth=2
                                        ; =>    This Loop Header: Depth=3
                                        ;         Child Loop BB143_85 Depth 4
	s_cmp_lg_u32 s24, 0
	s_cbranch_scc0 .LBB143_87
; %bb.84:                               ;   in Loop: Header=BB143_83 Depth=3
	s_lshl_b32 s22, s24, 3
	v_add_u32_e32 v4, s22, v10
	s_waitcnt lgkmcnt(0)
	buffer_load_dword v2, v4, s[0:3], 0 offen
	buffer_load_dword v3, v4, s[0:3], 0 offen offset:4
	v_mov_b32_e32 v5, 0
	s_mov_b32 s22, 0
	s_mov_b32 s23, s25
.LBB143_85:                             ;   Parent Loop BB143_75 Depth=1
                                        ;     Parent Loop BB143_78 Depth=2
                                        ;       Parent Loop BB143_83 Depth=3
                                        ; =>      This Inner Loop Header: Depth=4
	buffer_load_dword v7, v5, s[0:3], 0 offen offset:4
	buffer_load_dword v6, v5, s[0:3], 0 offen
	v_mov_b32_e32 v8, s23
	ds_read_b64 v[8:9], v8
	s_add_i32 s22, s22, 1
	s_addk_i32 s23, 0xffa0
	v_add_u32_e32 v5, 8, v5
	s_cmp_ge_u32 s22, s24
	s_waitcnt vmcnt(1)
	v_mov_b32_e32 v12, v7
	s_waitcnt lgkmcnt(0)
	v_pk_mul_f32 v[12:13], v[8:9], v[12:13] op_sel_hi:[1,0]
	s_waitcnt vmcnt(0)
	v_pk_fma_f32 v[14:15], v[8:9], v[6:7], v[12:13] op_sel:[0,0,1] op_sel_hi:[1,1,0] neg_lo:[0,0,1] neg_hi:[0,0,1]
	v_pk_fma_f32 v[6:7], v[8:9], v[6:7], v[12:13] op_sel:[0,0,1] op_sel_hi:[1,0,0]
	v_mov_b32_e32 v15, v7
	v_pk_add_f32 v[2:3], v[2:3], v[14:15] neg_lo:[0,1] neg_hi:[0,1]
	buffer_store_dword v2, v4, s[0:3], 0 offen
	buffer_store_dword v3, v4, s[0:3], 0 offen offset:4
	s_cbranch_scc0 .LBB143_85
; %bb.86:                               ;   in Loop: Header=BB143_83 Depth=3
	s_sub_i32 s43, s30, s24
	s_branch .LBB143_82
.LBB143_87:                             ;   in Loop: Header=BB143_83 Depth=3
                                        ; implicit-def: $vgpr2
                                        ; implicit-def: $sgpr43
	s_cbranch_execz .LBB143_82
; %bb.88:                               ;   in Loop: Header=BB143_83 Depth=3
	s_waitcnt lgkmcnt(0)
	buffer_load_dword v2, off, s[0:3], 0
	buffer_load_dword v3, off, s[0:3], 0 offset:4
	s_mov_b32 s43, s30
	s_branch .LBB143_82
.LBB143_89:                             ;   in Loop: Header=BB143_90 Depth=3
	s_add_i32 s44, s44, -1
	s_addk_i32 s43, 0xffa0
	s_cmp_le_i32 s44, s30
	s_cbranch_scc1 .LBB143_81
.LBB143_90:                             ;   Parent Loop BB143_75 Depth=1
                                        ;     Parent Loop BB143_78 Depth=2
                                        ; =>    This Loop Header: Depth=3
                                        ;         Child Loop BB143_92 Depth 4
                                        ;         Child Loop BB143_98 Depth 4
	s_mul_i32 s22, s44, 12
	s_waitcnt lgkmcnt(0)
	v_add_lshl_u32 v2, s22, v0, 3
	ds_read_b64 v[2:3], v2 offset:1152
	s_and_b64 vcc, exec, s[16:17]
	s_cbranch_vccz .LBB143_94
; %bb.91:                               ;   in Loop: Header=BB143_90 Depth=3
	s_add_i32 s22, s22, s30
	s_mov_b32 s23, s22
	s_waitcnt lgkmcnt(0)
	v_mov_b32_e32 v6, v2
	v_mov_b32_e32 v7, v2
	;; [unrolled: 1-line block ×6, first 2 shown]
	s_mov_b32 s24, 1
	s_mov_b32 s25, 0
	;; [unrolled: 1-line block ×3, first 2 shown]
.LBB143_92:                             ;   Parent Loop BB143_75 Depth=1
                                        ;     Parent Loop BB143_78 Depth=2
                                        ;       Parent Loop BB143_90 Depth=3
                                        ; =>      This Inner Loop Header: Depth=4
	buffer_load_dword v12, v5, s[0:3], 0 offen
	buffer_load_dword v14, v5, s[0:3], 0 offen offset:4
	buffer_load_dword v13, v5, s[0:3], 0 offen offset:8
	;; [unrolled: 1-line block ×3, first 2 shown]
	s_sub_i32 s46, s23, s24
	s_sub_i32 s47, s22, s25
	s_lshl_b32 s47, s47, 3
	s_lshl_b32 s46, s46, 3
	v_mov_b32_e32 v16, s47
	v_mov_b32_e32 v18, s46
	ds_read_b64 v[16:17], v16
	ds_read_b64 v[18:19], v18
	s_add_i32 s25, s25, 2
	s_add_i32 s24, s24, 2
	s_add_i32 s45, s45, -2
	s_waitcnt lgkmcnt(1)
	v_mov_b32_e32 v20, v16
	s_waitcnt lgkmcnt(0)
	v_mov_b32_e32 v21, v18
	v_mov_b32_e32 v18, v17
	v_pk_mul_f32 v[16:17], v[18:19], v[8:9]
	v_pk_mul_f32 v[18:19], v[18:19], v[6:7]
	v_pk_fma_f32 v[16:17], v[20:21], v[6:7], v[16:17] neg_lo:[0,0,1] neg_hi:[0,0,1]
	v_pk_fma_f32 v[18:19], v[20:21], v[8:9], v[18:19]
	s_cmp_lg_u32 s45, 0
	s_waitcnt vmcnt(1)
	v_pk_add_f32 v[12:13], v[12:13], v[16:17] neg_lo:[0,1] neg_hi:[0,1]
	s_waitcnt vmcnt(0)
	v_pk_add_f32 v[14:15], v[14:15], v[18:19] neg_lo:[0,1] neg_hi:[0,1]
	buffer_store_dword v12, v5, s[0:3], 0 offen
	buffer_store_dword v14, v5, s[0:3], 0 offen offset:4
	buffer_store_dword v13, v5, s[0:3], 0 offen offset:8
	;; [unrolled: 1-line block ×3, first 2 shown]
	v_add_u32_e32 v5, 16, v5
	s_cbranch_scc1 .LBB143_92
; %bb.93:                               ;   in Loop: Header=BB143_90 Depth=3
	s_mov_b64 s[22:23], s[20:21]
	s_mov_b32 s24, s36
	s_branch .LBB143_96
.LBB143_94:                             ;   in Loop: Header=BB143_90 Depth=3
	s_mov_b64 s[22:23], 0
                                        ; implicit-def: $vgpr4_vgpr5
	s_mov_b32 s24, s36
	s_cbranch_execz .LBB143_96
; %bb.95:                               ;   in Loop: Header=BB143_90 Depth=3
	s_waitcnt lgkmcnt(0)
	v_mov_b32_e32 v4, v3
	s_mov_b64 s[22:23], -1
	s_mov_b32 s24, 0
.LBB143_96:                             ;   in Loop: Header=BB143_90 Depth=3
	s_andn2_b64 vcc, exec, s[22:23]
	s_cbranch_vccnz .LBB143_89
; %bb.97:                               ;   in Loop: Header=BB143_90 Depth=3
	s_lshl_b32 s25, s24, 3
	s_waitcnt lgkmcnt(0)
	v_mov_b32_e32 v5, v3
	v_mov_b32_e32 v3, v2
	s_sub_i32 s22, s43, s25
	s_sub_i32 s23, s35, s24
	v_add_u32_e32 v6, s25, v10
.LBB143_98:                             ;   Parent Loop BB143_75 Depth=1
                                        ;     Parent Loop BB143_78 Depth=2
                                        ;       Parent Loop BB143_90 Depth=3
                                        ; =>      This Inner Loop Header: Depth=4
	buffer_load_dword v8, v6, s[0:3], 0 offen
	buffer_load_dword v9, v6, s[0:3], 0 offen offset:4
	v_mov_b32_e32 v7, s22
	ds_read_b64 v[12:13], v7
	s_add_i32 s22, s22, -8
	s_add_i32 s23, s23, -1
	s_cmp_eq_u32 s23, 0
	s_waitcnt lgkmcnt(0)
	v_pk_mul_f32 v[14:15], v[12:13], v[4:5]
	v_pk_fma_f32 v[16:17], v[12:13], v[2:3], v[14:15] op_sel:[0,0,1] op_sel_hi:[1,1,0] neg_lo:[0,0,1] neg_hi:[0,0,1]
	v_pk_fma_f32 v[12:13], v[12:13], v[2:3], v[14:15] op_sel:[0,0,1] op_sel_hi:[1,1,0]
	v_mov_b32_e32 v17, v13
	s_waitcnt vmcnt(0)
	v_pk_add_f32 v[8:9], v[8:9], v[16:17] neg_lo:[0,1] neg_hi:[0,1]
	buffer_store_dword v8, v6, s[0:3], 0 offen
	buffer_store_dword v9, v6, s[0:3], 0 offen offset:4
	v_add_u32_e32 v6, 8, v6
	s_cbranch_scc0 .LBB143_98
	s_branch .LBB143_89
.LBB143_99:
	s_waitcnt lgkmcnt(0)
	; wave barrier
	s_waitcnt lgkmcnt(0)
	s_and_saveexec_b64 s[12:13], s[10:11]
	s_cbranch_execz .LBB143_107
; %bb.100:
	s_cmp_lt_i32 s18, 8
	s_mov_b32 s11, 0
	s_cbranch_scc1 .LBB143_104
; %bb.101:
	v_mad_i64_i32 v[2:3], s[10:11], s28, v0, 0
	v_lshlrev_b64 v[2:3], 3, v[2:3]
	v_mov_b32_e32 v4, s26
	v_add_co_u32_e32 v1, vcc, s19, v2
	v_addc_co_u32_e32 v2, vcc, v4, v3, vcc
	v_mov_b32_e32 v3, 0x480
	s_lshl_b32 s10, s33, 3
	v_lshl_or_b32 v3, v0, 3, v3
	s_and_b32 s12, s10, 64
	s_mov_b64 s[10:11], 0
.LBB143_102:                            ; =>This Inner Loop Header: Depth=1
	ds_read2_b64 v[4:7], v3 offset1:12
	ds_read2_b64 v[8:11], v3 offset0:24 offset1:36
	ds_read2_b64 v[12:15], v3 offset0:48 offset1:60
	;; [unrolled: 1-line block ×3, first 2 shown]
	v_add_co_u32_e32 v20, vcc, s10, v1
	s_add_u32 s10, s10, 64
	v_mov_b32_e32 v21, s11
	s_addc_u32 s11, s11, 0
	v_add_u32_e32 v3, 0x300, v3
	v_addc_co_u32_e32 v21, vcc, v2, v21, vcc
	s_cmp_lg_u32 s12, s10
	s_waitcnt lgkmcnt(3)
	global_store_dwordx4 v[20:21], v[4:7], off
	s_waitcnt lgkmcnt(2)
	global_store_dwordx4 v[20:21], v[8:11], off offset:16
	s_waitcnt lgkmcnt(1)
	global_store_dwordx4 v[20:21], v[12:15], off offset:32
	;; [unrolled: 2-line block ×3, first 2 shown]
	s_cbranch_scc1 .LBB143_102
; %bb.103:
	s_mov_b32 s11, 8
.LBB143_104:
	s_and_b32 s10, s33, 7
	s_cmp_eq_u32 s10, 0
	s_cbranch_scc1 .LBB143_107
; %bb.105:
	s_lshl_b64 s[8:9], s[8:9], 3
	v_lshlrev_b32_e32 v1, 3, v0
	v_add_co_u32_e32 v1, vcc, s8, v1
	s_lshl_b32 s8, s11, 3
	s_add_u32 s8, s14, s8
	v_mov_b32_e32 v2, s9
	s_addc_u32 s9, s15, 0
	s_add_u32 s6, s8, s6
	s_addc_u32 s7, s9, s7
	s_add_u32 s4, s6, s4
	s_addc_u32 s5, s7, s5
	v_addc_co_u32_e32 v4, vcc, 0, v2, vcc
	v_pk_mov_b32 v[2:3], s[4:5], s[4:5] op_sel:[0,1]
	v_mad_u64_u32 v[2:3], s[4:5], v1, s28, v[2:3]
	s_mul_i32 s4, s11, 0x60
	v_mul_lo_u32 v1, v1, s29
	v_mul_lo_u32 v4, v4, s28
	v_lshl_add_u32 v0, v0, 3, s4
	v_add3_u32 v3, v4, v3, v1
	v_add_u32_e32 v0, 0x480, v0
.LBB143_106:                            ; =>This Inner Loop Header: Depth=1
	ds_read_b64 v[4:5], v0
	s_add_i32 s10, s10, -1
	v_add_u32_e32 v0, 0x60, v0
	s_cmp_lg_u32 s10, 0
	s_waitcnt lgkmcnt(0)
	global_store_dwordx2 v[2:3], v[4:5], off
	v_add_co_u32_e32 v2, vcc, 8, v2
	v_addc_co_u32_e32 v3, vcc, 0, v3, vcc
	s_cbranch_scc1 .LBB143_106
.LBB143_107:
	s_endpgm
	.section	.rodata,"a",@progbits
	.p2align	6, 0x0
	.amdhsa_kernel _ZL38rocblas_trsm_small_left_device_sharedBILi12ELi12ELb0E19rocblas_complex_numIfES1_PKS1_PS1_Ev13rocblas_fill_18rocblas_operation_17rocblas_diagonal_iiT3_T4_lilT5_lili
		.amdhsa_group_segment_fixed_size 2304
		.amdhsa_private_segment_fixed_size 112
		.amdhsa_kernarg_size 360
		.amdhsa_user_sgpr_count 8
		.amdhsa_user_sgpr_private_segment_buffer 1
		.amdhsa_user_sgpr_dispatch_ptr 0
		.amdhsa_user_sgpr_queue_ptr 0
		.amdhsa_user_sgpr_kernarg_segment_ptr 1
		.amdhsa_user_sgpr_dispatch_id 0
		.amdhsa_user_sgpr_flat_scratch_init 1
		.amdhsa_user_sgpr_kernarg_preload_length 0
		.amdhsa_user_sgpr_kernarg_preload_offset 0
		.amdhsa_user_sgpr_private_segment_size 0
		.amdhsa_uses_dynamic_stack 0
		.amdhsa_system_sgpr_private_segment_wavefront_offset 1
		.amdhsa_system_sgpr_workgroup_id_x 1
		.amdhsa_system_sgpr_workgroup_id_y 0
		.amdhsa_system_sgpr_workgroup_id_z 1
		.amdhsa_system_sgpr_workgroup_info 0
		.amdhsa_system_vgpr_workitem_id 0
		.amdhsa_next_free_vgpr 29
		.amdhsa_next_free_sgpr 48
		.amdhsa_accum_offset 32
		.amdhsa_reserve_vcc 1
		.amdhsa_reserve_flat_scratch 0
		.amdhsa_float_round_mode_32 0
		.amdhsa_float_round_mode_16_64 0
		.amdhsa_float_denorm_mode_32 3
		.amdhsa_float_denorm_mode_16_64 3
		.amdhsa_dx10_clamp 1
		.amdhsa_ieee_mode 1
		.amdhsa_fp16_overflow 0
		.amdhsa_tg_split 0
		.amdhsa_exception_fp_ieee_invalid_op 0
		.amdhsa_exception_fp_denorm_src 0
		.amdhsa_exception_fp_ieee_div_zero 0
		.amdhsa_exception_fp_ieee_overflow 0
		.amdhsa_exception_fp_ieee_underflow 0
		.amdhsa_exception_fp_ieee_inexact 0
		.amdhsa_exception_int_div_zero 0
	.end_amdhsa_kernel
	.section	.text._ZL38rocblas_trsm_small_left_device_sharedBILi12ELi12ELb0E19rocblas_complex_numIfES1_PKS1_PS1_Ev13rocblas_fill_18rocblas_operation_17rocblas_diagonal_iiT3_T4_lilT5_lili,"axG",@progbits,_ZL38rocblas_trsm_small_left_device_sharedBILi12ELi12ELb0E19rocblas_complex_numIfES1_PKS1_PS1_Ev13rocblas_fill_18rocblas_operation_17rocblas_diagonal_iiT3_T4_lilT5_lili,comdat
.Lfunc_end143:
	.size	_ZL38rocblas_trsm_small_left_device_sharedBILi12ELi12ELb0E19rocblas_complex_numIfES1_PKS1_PS1_Ev13rocblas_fill_18rocblas_operation_17rocblas_diagonal_iiT3_T4_lilT5_lili, .Lfunc_end143-_ZL38rocblas_trsm_small_left_device_sharedBILi12ELi12ELb0E19rocblas_complex_numIfES1_PKS1_PS1_Ev13rocblas_fill_18rocblas_operation_17rocblas_diagonal_iiT3_T4_lilT5_lili
                                        ; -- End function
	.section	.AMDGPU.csdata,"",@progbits
; Kernel info:
; codeLenInByte = 4648
; NumSgprs: 52
; NumVgprs: 29
; NumAgprs: 0
; TotalNumVgprs: 29
; ScratchSize: 112
; MemoryBound: 0
; FloatMode: 240
; IeeeMode: 1
; LDSByteSize: 2304 bytes/workgroup (compile time only)
; SGPRBlocks: 6
; VGPRBlocks: 3
; NumSGPRsForWavesPerEU: 52
; NumVGPRsForWavesPerEU: 29
; AccumOffset: 32
; Occupancy: 7
; WaveLimiterHint : 0
; COMPUTE_PGM_RSRC2:SCRATCH_EN: 1
; COMPUTE_PGM_RSRC2:USER_SGPR: 8
; COMPUTE_PGM_RSRC2:TRAP_HANDLER: 0
; COMPUTE_PGM_RSRC2:TGID_X_EN: 1
; COMPUTE_PGM_RSRC2:TGID_Y_EN: 0
; COMPUTE_PGM_RSRC2:TGID_Z_EN: 1
; COMPUTE_PGM_RSRC2:TIDIG_COMP_CNT: 0
; COMPUTE_PGM_RSRC3_GFX90A:ACCUM_OFFSET: 7
; COMPUTE_PGM_RSRC3_GFX90A:TG_SPLIT: 0
	.section	.text._ZL30rocblas_trsm_small_left_deviceILi12ELi12ELb0E19rocblas_complex_numIfES1_PKS1_PS1_Ev13rocblas_fill_18rocblas_operation_17rocblas_diagonal_iiT3_T4_lilT5_lili,"axG",@progbits,_ZL30rocblas_trsm_small_left_deviceILi12ELi12ELb0E19rocblas_complex_numIfES1_PKS1_PS1_Ev13rocblas_fill_18rocblas_operation_17rocblas_diagonal_iiT3_T4_lilT5_lili,comdat
	.globl	_ZL30rocblas_trsm_small_left_deviceILi12ELi12ELb0E19rocblas_complex_numIfES1_PKS1_PS1_Ev13rocblas_fill_18rocblas_operation_17rocblas_diagonal_iiT3_T4_lilT5_lili ; -- Begin function _ZL30rocblas_trsm_small_left_deviceILi12ELi12ELb0E19rocblas_complex_numIfES1_PKS1_PS1_Ev13rocblas_fill_18rocblas_operation_17rocblas_diagonal_iiT3_T4_lilT5_lili
	.p2align	8
	.type	_ZL30rocblas_trsm_small_left_deviceILi12ELi12ELb0E19rocblas_complex_numIfES1_PKS1_PS1_Ev13rocblas_fill_18rocblas_operation_17rocblas_diagonal_iiT3_T4_lilT5_lili,@function
_ZL30rocblas_trsm_small_left_deviceILi12ELi12ELb0E19rocblas_complex_numIfES1_PKS1_PS1_Ev13rocblas_fill_18rocblas_operation_17rocblas_diagonal_iiT3_T4_lilT5_lili: ; @_ZL30rocblas_trsm_small_left_deviceILi12ELi12ELb0E19rocblas_complex_numIfES1_PKS1_PS1_Ev13rocblas_fill_18rocblas_operation_17rocblas_diagonal_iiT3_T4_lilT5_lili
; %bb.0:
	s_add_u32 s0, s0, s10
	s_load_dwordx4 s[16:19], s[4:5], 0x4
	s_load_dwordx2 s[24:25], s[4:5], 0x14
	s_load_dwordx4 s[12:15], s[4:5], 0x38
	s_load_dwordx2 s[26:27], s[4:5], 0x48
	s_load_dword s43, s[4:5], 0x68
	s_addc_u32 s1, s1, 0
	s_waitcnt lgkmcnt(0)
	s_min_i32 s42, s18, 12
	s_mov_b32 s44, 0
	s_add_i32 s33, s42, -1
	v_cmp_gt_i32_e32 vcc, s42, v0
	s_and_saveexec_b64 s[28:29], vcc
	s_cbranch_execz .LBB144_35
; %bb.1:
	s_load_dword s30, s[4:5], 0x30
	s_load_dwordx4 s[20:23], s[4:5], 0x20
	s_mul_i32 s6, s9, s13
	s_mul_hi_u32 s7, s9, s12
	s_mul_i32 s12, s9, s12
	s_waitcnt lgkmcnt(0)
	s_ashr_i32 s31, s30, 31
	s_cmpk_lg_i32 s16, 0x71
	s_cselect_b64 s[34:35], -1, 0
	s_add_i32 s13, s7, s6
	v_cndmask_b32_e64 v2, 0, 1, s[34:35]
	s_cmp_lt_u32 s33, 3
	v_lshlrev_b32_e32 v1, 3, v0
	v_cmp_ne_u32_e64 s[6:7], 1, v2
	s_cbranch_scc1 .LBB144_20
; %bb.2:
	s_lshl_b64 s[10:11], s[12:13], 3
	s_add_u32 s18, s20, s10
	s_addc_u32 s36, s21, s11
	s_lshl_b64 s[10:11], s[22:23], 3
	s_add_u32 s10, s18, s10
	s_addc_u32 s11, s36, s11
	v_mov_b32_e32 v3, s11
	v_add_co_u32_e32 v2, vcc, s10, v1
	s_mul_hi_i32 s10, s30, 24
	s_lshl_b64 s[36:37], s[30:31], 5
	s_lshl_b64 s[38:39], s[30:31], 4
	;; [unrolled: 1-line block ×3, first 2 shown]
	v_addc_co_u32_e32 v3, vcc, 0, v3, vcc
	s_and_b32 s44, s42, -4
	s_mul_i32 s18, s30, 24
	s_mov_b32 s45, 0
	v_mov_b32_e32 v8, s41
	v_mov_b32_e32 v9, s39
	;; [unrolled: 1-line block ×5, first 2 shown]
	s_branch .LBB144_4
.LBB144_3:                              ;   in Loop: Header=BB144_4 Depth=1
	global_load_dword v4, v[6:7], off
	s_add_i32 s45, s45, 4
	v_add_co_u32_e32 v2, vcc, s36, v2
	v_addc_co_u32_e32 v3, vcc, v3, v11, vcc
	s_cmp_eq_u32 s44, s45
	s_waitcnt vmcnt(0)
	ds_write_b64 v12, v[4:5] offset:288
	v_add_u32_e32 v12, 0x180, v12
	s_cbranch_scc1 .LBB144_20
.LBB144_4:                              ; =>This Inner Loop Header: Depth=1
	s_and_b64 vcc, exec, s[34:35]
	s_cbranch_vccz .LBB144_6
; %bb.5:                                ;   in Loop: Header=BB144_4 Depth=1
	global_load_dword v5, v[2:3], off offset:4
	s_cbranch_execz .LBB144_7
	s_branch .LBB144_8
.LBB144_6:                              ;   in Loop: Header=BB144_4 Depth=1
                                        ; implicit-def: $vgpr5
.LBB144_7:                              ;   in Loop: Header=BB144_4 Depth=1
	global_load_dword v4, v[2:3], off offset:4
	s_waitcnt vmcnt(0)
	v_xor_b32_e32 v5, 0x80000000, v4
.LBB144_8:                              ;   in Loop: Header=BB144_4 Depth=1
	global_load_dword v4, v[2:3], off
	v_add_co_u32_e64 v6, s[10:11], s40, v2
	s_and_b64 vcc, exec, s[6:7]
	v_addc_co_u32_e64 v7, s[10:11], v3, v8, s[10:11]
	s_waitcnt vmcnt(0)
	ds_write_b64 v12, v[4:5]
	s_cbranch_vccnz .LBB144_10
; %bb.9:                                ;   in Loop: Header=BB144_4 Depth=1
	global_load_dword v5, v[6:7], off offset:4
	s_cbranch_execz .LBB144_11
	s_branch .LBB144_12
.LBB144_10:                             ;   in Loop: Header=BB144_4 Depth=1
                                        ; implicit-def: $vgpr5
.LBB144_11:                             ;   in Loop: Header=BB144_4 Depth=1
	global_load_dword v4, v[6:7], off offset:4
	s_waitcnt vmcnt(0)
	v_xor_b32_e32 v5, 0x80000000, v4
.LBB144_12:                             ;   in Loop: Header=BB144_4 Depth=1
	global_load_dword v4, v[6:7], off
	v_add_co_u32_e64 v6, s[10:11], s38, v2
	s_and_b64 vcc, exec, s[6:7]
	v_addc_co_u32_e64 v7, s[10:11], v3, v9, s[10:11]
	s_waitcnt vmcnt(0)
	ds_write_b64 v12, v[4:5] offset:96
	s_cbranch_vccnz .LBB144_14
; %bb.13:                               ;   in Loop: Header=BB144_4 Depth=1
	global_load_dword v5, v[6:7], off offset:4
	s_cbranch_execz .LBB144_15
	s_branch .LBB144_16
.LBB144_14:                             ;   in Loop: Header=BB144_4 Depth=1
                                        ; implicit-def: $vgpr5
.LBB144_15:                             ;   in Loop: Header=BB144_4 Depth=1
	global_load_dword v4, v[6:7], off offset:4
	s_waitcnt vmcnt(0)
	v_xor_b32_e32 v5, 0x80000000, v4
.LBB144_16:                             ;   in Loop: Header=BB144_4 Depth=1
	global_load_dword v4, v[6:7], off
	v_add_co_u32_e64 v6, s[10:11], s18, v2
	s_and_b64 vcc, exec, s[6:7]
	v_addc_co_u32_e64 v7, s[10:11], v3, v10, s[10:11]
	s_waitcnt vmcnt(0)
	ds_write_b64 v12, v[4:5] offset:192
	s_cbranch_vccnz .LBB144_18
; %bb.17:                               ;   in Loop: Header=BB144_4 Depth=1
	global_load_dword v5, v[6:7], off offset:4
	s_cbranch_execnz .LBB144_3
	s_branch .LBB144_19
.LBB144_18:                             ;   in Loop: Header=BB144_4 Depth=1
                                        ; implicit-def: $vgpr5
.LBB144_19:                             ;   in Loop: Header=BB144_4 Depth=1
	global_load_dword v4, v[6:7], off offset:4
	s_waitcnt vmcnt(0)
	v_xor_b32_e32 v5, 0x80000000, v4
	s_branch .LBB144_3
.LBB144_20:
	s_and_b32 s18, s42, 3
	s_cmp_eq_u32 s18, 0
	s_cbranch_scc1 .LBB144_27
; %bb.21:
	s_mul_i32 s10, s44, 0x60
	v_lshl_add_u32 v6, v0, 3, s10
	s_lshl_b64 s[10:11], s[12:13], 3
	s_mul_i32 s12, s31, s44
	s_mul_hi_u32 s13, s30, s44
	s_add_i32 s13, s13, s12
	s_mul_i32 s12, s30, s44
	s_lshl_b64 s[12:13], s[12:13], 3
	s_add_u32 s12, s10, s12
	s_addc_u32 s13, s11, s13
	s_lshl_b64 s[10:11], s[22:23], 3
	s_add_u32 s10, s12, s10
	s_addc_u32 s11, s13, s11
	s_add_u32 s10, s20, s10
	s_addc_u32 s11, s21, s11
	v_mov_b32_e32 v2, s11
	v_add_co_u32_e32 v1, vcc, s10, v1
	v_addc_co_u32_e32 v3, vcc, 0, v2, vcc
	v_add_co_u32_e32 v2, vcc, 4, v1
	s_lshl_b64 s[10:11], s[30:31], 3
	v_addc_co_u32_e32 v3, vcc, 0, v3, vcc
	v_mov_b32_e32 v1, s11
	s_branch .LBB144_23
.LBB144_22:                             ;   in Loop: Header=BB144_23 Depth=1
	global_load_dword v4, v[2:3], off offset:-4
	s_add_i32 s18, s18, -1
	v_add_co_u32_e32 v2, vcc, s10, v2
	s_cmp_lg_u32 s18, 0
	v_addc_co_u32_e32 v3, vcc, v3, v1, vcc
	s_waitcnt vmcnt(0)
	ds_write_b64 v6, v[4:5]
	v_add_u32_e32 v6, 0x60, v6
	s_cbranch_scc0 .LBB144_27
.LBB144_23:                             ; =>This Inner Loop Header: Depth=1
	s_and_b64 vcc, exec, s[6:7]
	s_cbranch_vccnz .LBB144_25
; %bb.24:                               ;   in Loop: Header=BB144_23 Depth=1
	global_load_dword v5, v[2:3], off
	s_cbranch_execnz .LBB144_22
	s_branch .LBB144_26
.LBB144_25:                             ;   in Loop: Header=BB144_23 Depth=1
                                        ; implicit-def: $vgpr5
.LBB144_26:                             ;   in Loop: Header=BB144_23 Depth=1
	global_load_dword v4, v[2:3], off
	s_waitcnt vmcnt(0)
	v_xor_b32_e32 v5, 0x80000000, v4
	s_branch .LBB144_22
.LBB144_27:
	v_mul_u32_u24_e32 v1, 13, v0
	s_cmpk_lg_i32 s17, 0x84
	v_lshlrev_b32_e32 v1, 3, v1
	s_mov_b64 s[6:7], -1
	s_cbranch_scc0 .LBB144_33
; %bb.28:
	ds_read_b64 v[2:3], v1
	s_mov_b32 s6, 0
	s_waitcnt lgkmcnt(0)
	v_cmp_gt_f32_e32 vcc, 0, v3
	v_cndmask_b32_e64 v4, v3, -v3, vcc
	v_cmp_gt_f32_e32 vcc, 0, v2
	v_cndmask_b32_e64 v5, v2, -v2, vcc
	v_cmp_ngt_f32_e32 vcc, v5, v4
                                        ; implicit-def: $vgpr4_vgpr5
	s_and_saveexec_b64 s[10:11], vcc
	s_xor_b64 s[10:11], exec, s[10:11]
	s_cbranch_execz .LBB144_30
; %bb.29:
	v_div_scale_f32 v4, s[12:13], v3, v3, v2
	v_rcp_f32_e32 v5, v4
	v_div_scale_f32 v6, vcc, v2, v3, v2
	s_mov_b32 s7, -1.0
	v_fma_f32 v7, -v4, v5, 1.0
	v_fmac_f32_e32 v5, v7, v5
	v_mul_f32_e32 v7, v6, v5
	v_fma_f32 v8, -v4, v7, v6
	v_fmac_f32_e32 v7, v8, v5
	v_fma_f32 v4, -v4, v7, v6
	v_div_fmas_f32 v4, v4, v5, v7
	v_div_fixup_f32 v4, v4, v3, v2
	v_fmac_f32_e32 v3, v2, v4
	v_div_scale_f32 v2, s[12:13], v3, v3, 1.0
	v_rcp_f32_e32 v5, v2
	v_fma_f32 v6, -v2, v5, 1.0
	v_fmac_f32_e32 v5, v6, v5
	v_div_scale_f32 v6, vcc, 1.0, v3, 1.0
	v_mul_f32_e32 v7, v6, v5
	v_fma_f32 v8, -v2, v7, v6
	v_fmac_f32_e32 v7, v8, v5
	v_fma_f32 v2, -v2, v7, v6
	v_div_fmas_f32 v2, v2, v5, v7
	v_mul_f32_e32 v5, 0, v4
	v_div_fixup_f32 v2, v2, v3, 1.0
	v_pk_add_f32 v[4:5], v[4:5], s[6:7]
	v_pk_mul_f32 v[4:5], v[4:5], v[2:3] op_sel_hi:[1,0]
                                        ; implicit-def: $vgpr2_vgpr3
.LBB144_30:
	s_andn2_saveexec_b64 s[6:7], s[10:11]
	s_cbranch_execz .LBB144_32
; %bb.31:
	v_div_scale_f32 v4, s[10:11], v2, v2, v3
	v_rcp_f32_e32 v5, v4
	v_div_scale_f32 v6, vcc, v3, v2, v3
	v_fma_f32 v7, -v4, v5, 1.0
	v_fmac_f32_e32 v5, v7, v5
	v_mul_f32_e32 v7, v6, v5
	v_fma_f32 v8, -v4, v7, v6
	v_fmac_f32_e32 v7, v8, v5
	v_fma_f32 v4, -v4, v7, v6
	v_div_fmas_f32 v4, v4, v5, v7
	v_div_fixup_f32 v5, v4, v2, v3
	v_fmac_f32_e32 v2, v3, v5
	v_div_scale_f32 v3, s[10:11], v2, v2, 1.0
	v_rcp_f32_e32 v4, v3
	s_mov_b32 s10, 1.0
	s_mov_b32 s11, 0
	v_fma_f32 v6, -v3, v4, 1.0
	v_fmac_f32_e32 v4, v6, v4
	v_div_scale_f32 v6, vcc, 1.0, v2, 1.0
	v_mul_f32_e32 v7, v6, v4
	v_fma_f32 v8, -v3, v7, v6
	v_fmac_f32_e32 v7, v8, v4
	v_fma_f32 v3, -v3, v7, v6
	v_div_fmas_f32 v3, v3, v4, v7
	v_mul_f32_e32 v4, 0, v5
	v_pk_add_f32 v[6:7], v[4:5], s[10:11]
	v_pk_add_f32 v[4:5], v[4:5], s[10:11] neg_lo:[1,0] neg_hi:[1,0]
	v_div_fixup_f32 v2, v3, v2, 1.0
	v_mov_b32_e32 v7, v5
	v_pk_mul_f32 v[4:5], v[6:7], v[2:3] op_sel_hi:[1,0]
.LBB144_32:
	s_or_b64 exec, exec, s[6:7]
	s_mov_b64 s[6:7], 0
	ds_write_b64 v1, v[4:5]
.LBB144_33:
	s_and_b64 vcc, exec, s[6:7]
	s_cbranch_vccz .LBB144_35
; %bb.34:
	v_mov_b32_e32 v2, 1.0
	v_mov_b32_e32 v3, 0
	ds_write_b64 v1, v[2:3]
.LBB144_35:
	s_or_b64 exec, exec, s[28:29]
	s_mul_i32 s6, s8, -12
	s_add_i32 s43, s43, -1
	s_add_i32 s6, s6, s19
	s_cmp_ge_u32 s8, s43
	s_cselect_b32 s6, s6, 12
	v_cmp_gt_i32_e32 vcc, s6, v0
	s_waitcnt lgkmcnt(0)
	; wave barrier
	s_waitcnt lgkmcnt(0)
	s_and_saveexec_b64 s[6:7], vcc
	s_cbranch_execz .LBB144_102
; %bb.36:
	s_load_dwordx2 s[6:7], s[4:5], 0x58
	s_load_dword s12, s[4:5], 0x50
	s_waitcnt lgkmcnt(0)
	s_mul_i32 s5, s9, s7
	s_mul_hi_u32 s7, s9, s6
	s_mul_i32 s4, s9, s6
	s_add_i32 s5, s7, s5
	s_lshl_b64 s[6:7], s[4:5], 3
	s_add_u32 s4, s14, s6
	s_addc_u32 s5, s15, s7
	s_lshl_b64 s[10:11], s[26:27], 3
	s_add_u32 s9, s4, s10
	s_addc_u32 s13, s5, s11
	v_mad_u64_u32 v[0:1], s[4:5], s8, 12, v[0:1]
	v_mad_i64_i32 v[0:1], s[4:5], s12, v0, 0
	v_lshlrev_b64 v[0:1], 3, v[0:1]
	v_mov_b32_e32 v2, s13
	v_add_co_u32_e32 v10, vcc, s9, v0
	v_addc_co_u32_e32 v11, vcc, v2, v1, vcc
	s_cmpk_eq_i32 s16, 0x6f
	s_mov_b64 s[4:5], -1
	s_cbranch_scc1 .LBB144_70
; %bb.37:
	s_add_u32 s4, s14, s10
	s_addc_u32 s5, s15, s11
	s_add_u32 s4, s4, s6
	s_addc_u32 s5, s5, s7
	v_mov_b32_e32 v2, s5
	v_add_co_u32_e32 v3, vcc, s4, v0
	v_addc_co_u32_e32 v2, vcc, v2, v1, vcc
	v_add_co_u32_e32 v12, vcc, 4, v3
	s_mov_b32 s17, 0
	s_mov_b32 s8, s24
	;; [unrolled: 1-line block ×5, first 2 shown]
	v_addc_co_u32_e32 v13, vcc, 0, v2, vcc
	v_mov_b32_e32 v14, 0
	s_mov_b32 s16, s17
	s_mov_b32 s28, s17
	s_branch .LBB144_39
.LBB144_38:                             ;   in Loop: Header=BB144_39 Depth=1
	s_cmp_ge_i32 s28, s42
	s_cselect_b64 s[4:5], -1, 0
	s_add_i32 s16, s16, 1
	s_cmp_eq_u32 s16, 3
	s_cselect_b64 s[18:19], -1, 0
	s_or_b64 s[4:5], s[4:5], s[18:19]
	s_andn2_b64 vcc, exec, s[4:5]
	s_cbranch_vccz .LBB144_69
.LBB144_39:                             ; =>This Loop Header: Depth=1
                                        ;     Child Loop BB144_42 Depth 2
                                        ;       Child Loop BB144_44 Depth 3
                                        ;       Child Loop BB144_48 Depth 3
	;; [unrolled: 1-line block ×3, first 2 shown]
                                        ;         Child Loop BB144_54 Depth 4
                                        ;         Child Loop BB144_60 Depth 4
                                        ;       Child Loop BB144_63 Depth 3
                                        ;         Child Loop BB144_65 Depth 4
	s_lshl_b64 s[4:5], s[16:17], 2
	s_getpc_b64 s[18:19]
	s_add_u32 s18, s18, __const._ZL30rocblas_trsm_small_left_deviceILi12ELi12ELb0E19rocblas_complex_numIfES1_PKS1_PS1_Ev13rocblas_fill_18rocblas_operation_17rocblas_diagonal_iiT3_T4_lilT5_lili.step_sizes@rel32@lo+4
	s_addc_u32 s19, s19, __const._ZL30rocblas_trsm_small_left_deviceILi12ELi12ELb0E19rocblas_complex_numIfES1_PKS1_PS1_Ev13rocblas_fill_18rocblas_operation_17rocblas_diagonal_iiT3_T4_lilT5_lili.step_sizes@rel32@hi+12
	s_add_u32 s4, s4, s18
	s_addc_u32 s5, s5, s19
	s_load_dword s29, s[4:5], 0x0
	s_waitcnt lgkmcnt(0)
	s_add_i32 s30, s29, -1
	s_add_i32 s4, s30, s28
	s_cmp_ge_i32 s4, s42
	s_cbranch_scc1 .LBB144_38
; %bb.40:                               ;   in Loop: Header=BB144_39 Depth=1
	s_max_i32 s31, s29, 1
	s_cmp_lg_u32 s16, 2
	s_cselect_b64 s[18:19], -1, 0
	s_and_b32 s34, s31, 0x7ffffffe
	s_cmp_lg_u32 s31, s34
	s_cselect_b64 s[20:21], -1, 0
	s_ashr_i32 s35, s28, 31
	s_ashr_i32 s36, s29, 31
	s_mul_i32 s37, s28, 0x68
	s_mul_i32 s38, s29, 0x68
	s_branch .LBB144_42
.LBB144_41:                             ;   in Loop: Header=BB144_42 Depth=2
	s_add_u32 s28, s28, s29
	s_addc_u32 s35, s35, s36
	s_add_i32 s4, s30, s28
	s_add_i32 s37, s37, s38
	s_cmp_ge_i32 s4, s42
	s_cbranch_scc1 .LBB144_38
.LBB144_42:                             ;   Parent Loop BB144_39 Depth=1
                                        ; =>  This Loop Header: Depth=2
                                        ;       Child Loop BB144_44 Depth 3
                                        ;       Child Loop BB144_48 Depth 3
	;; [unrolled: 1-line block ×3, first 2 shown]
                                        ;         Child Loop BB144_54 Depth 4
                                        ;         Child Loop BB144_60 Depth 4
                                        ;       Child Loop BB144_63 Depth 3
                                        ;         Child Loop BB144_65 Depth 4
	s_and_b64 vcc, exec, s[18:19]
	s_cbranch_vccz .LBB144_46
; %bb.43:                               ;   in Loop: Header=BB144_42 Depth=2
	v_mov_b32_e32 v2, 0
	s_mov_b32 s22, s28
	s_mov_b32 s23, s28
	;; [unrolled: 1-line block ×5, first 2 shown]
.LBB144_44:                             ;   Parent Loop BB144_39 Depth=1
                                        ;     Parent Loop BB144_42 Depth=2
                                        ; =>    This Inner Loop Header: Depth=3
	s_add_i32 s4, s27, s22
	s_add_i32 s40, s26, s23
	s_ashr_i32 s5, s4, 31
	s_ashr_i32 s41, s40, 31
	s_lshl_b64 s[4:5], s[4:5], 3
	s_lshl_b64 s[40:41], s[40:41], 3
	v_mov_b32_e32 v3, s5
	v_add_co_u32_e64 v6, s[4:5], s4, v10
	v_mov_b32_e32 v5, s41
	v_add_co_u32_e32 v4, vcc, s40, v10
	v_addc_co_u32_e64 v7, s[4:5], v11, v3, s[4:5]
	v_addc_co_u32_e32 v5, vcc, v11, v5, vcc
	global_load_dwordx2 v[8:9], v[6:7], off
	global_load_dwordx2 v[16:17], v[4:5], off
	s_add_i32 s27, s27, 2
	s_add_i32 s26, s26, 2
	s_add_i32 s39, s39, -2
	s_mov_b32 s40, s34
	s_mov_b64 s[4:5], s[20:21]
	s_cmp_lg_u32 s39, 0
	s_waitcnt vmcnt(1)
	v_mov_b32_e32 v4, v8
	s_waitcnt vmcnt(0)
	v_mov_b32_e32 v5, v16
	v_mov_b32_e32 v16, v9
	v_pk_mul_f32 v[6:7], v[16:17], s[12:13]
	v_pk_mul_f32 v[8:9], v[16:17], s[8:9]
	v_pk_fma_f32 v[6:7], v[4:5], s[8:9], v[6:7] neg_lo:[0,0,1] neg_hi:[0,0,1]
	v_pk_fma_f32 v[4:5], v[4:5], s[12:13], v[8:9]
	buffer_store_dword v4, v2, s[0:3], 0 offen offset:4
	buffer_store_dword v6, v2, s[0:3], 0 offen
	buffer_store_dword v5, v2, s[0:3], 0 offen offset:12
	buffer_store_dword v7, v2, s[0:3], 0 offen offset:8
	v_add_u32_e32 v2, 16, v2
	s_cbranch_scc1 .LBB144_44
; %bb.45:                               ;   in Loop: Header=BB144_42 Depth=2
	s_and_b64 vcc, exec, s[4:5]
	s_cbranch_vccnz .LBB144_47
	s_branch .LBB144_49
.LBB144_46:                             ;   in Loop: Header=BB144_42 Depth=2
	s_mov_b32 s40, 0
	s_cbranch_execz .LBB144_49
.LBB144_47:                             ;   in Loop: Header=BB144_42 Depth=2
	s_sub_i32 s4, s31, s40
	s_add_u32 s22, s28, s40
	s_addc_u32 s23, s35, 0
	s_lshl_b64 s[22:23], s[22:23], 3
	v_mov_b32_e32 v3, s23
	v_add_co_u32_e32 v2, vcc, s22, v12
	s_lshl_b32 s5, s40, 3
	v_addc_co_u32_e32 v3, vcc, v13, v3, vcc
	v_add_u32_e32 v4, s5, v14
.LBB144_48:                             ;   Parent Loop BB144_39 Depth=1
                                        ;     Parent Loop BB144_42 Depth=2
                                        ; =>    This Inner Loop Header: Depth=3
	global_load_dwordx2 v[6:7], v[2:3], off offset:-4
	s_add_i32 s4, s4, -1
	v_add_co_u32_e32 v2, vcc, 8, v2
	v_addc_co_u32_e32 v3, vcc, 0, v3, vcc
	s_cmp_eq_u32 s4, 0
	s_waitcnt vmcnt(0)
	v_mul_f32_e32 v5, s25, v7
	v_mul_f32_e32 v7, s24, v7
	v_fma_f32 v5, v6, s24, -v5
	v_fmac_f32_e32 v7, s25, v6
	buffer_store_dword v5, v4, s[0:3], 0 offen
	buffer_store_dword v7, v4, s[0:3], 0 offen offset:4
	v_add_u32_e32 v4, 8, v4
	s_cbranch_scc0 .LBB144_48
.LBB144_49:                             ;   in Loop: Header=BB144_42 Depth=2
	s_cmp_lt_i32 s28, 1
	s_cbranch_scc1 .LBB144_61
; %bb.50:                               ;   in Loop: Header=BB144_42 Depth=2
	s_mov_b32 s39, s28
	s_mov_b32 s40, s28
	;; [unrolled: 1-line block ×4, first 2 shown]
	s_branch .LBB144_52
.LBB144_51:                             ;   in Loop: Header=BB144_52 Depth=3
	s_add_i32 s4, s4, 1
	s_add_i32 s41, s41, 8
	s_cmp_ge_i32 s4, s28
	s_cbranch_scc1 .LBB144_61
.LBB144_52:                             ;   Parent Loop BB144_39 Depth=1
                                        ;     Parent Loop BB144_42 Depth=2
                                        ; =>    This Loop Header: Depth=3
                                        ;         Child Loop BB144_54 Depth 4
                                        ;         Child Loop BB144_60 Depth 4
	s_mov_b32 s5, s17
	s_lshl_b64 s[22:23], s[4:5], 3
	s_waitcnt vmcnt(0)
	v_mov_b32_e32 v3, s23
	v_add_co_u32_e32 v2, vcc, s22, v10
	v_addc_co_u32_e32 v3, vcc, v11, v3, vcc
	global_load_dwordx2 v[2:3], v[2:3], off
	s_and_b64 vcc, exec, s[18:19]
	s_cbranch_vccz .LBB144_56
; %bb.53:                               ;   in Loop: Header=BB144_52 Depth=3
	s_mov_b32 s5, s4
	s_waitcnt vmcnt(0)
	v_mov_b32_e32 v6, v2
	v_mov_b32_e32 v7, v2
	;; [unrolled: 1-line block ×6, first 2 shown]
	s_mov_b32 s22, 1
	s_mov_b32 s23, 0
	;; [unrolled: 1-line block ×3, first 2 shown]
.LBB144_54:                             ;   Parent Loop BB144_39 Depth=1
                                        ;     Parent Loop BB144_42 Depth=2
                                        ;       Parent Loop BB144_52 Depth=3
                                        ; =>      This Inner Loop Header: Depth=4
	buffer_load_dword v16, v5, s[0:3], 0 offen
	buffer_load_dword v18, v5, s[0:3], 0 offen offset:4
	buffer_load_dword v17, v5, s[0:3], 0 offen offset:8
	;; [unrolled: 1-line block ×3, first 2 shown]
	s_add_i32 s27, s22, s40
	s_add_i32 s43, s23, s39
	s_mul_i32 s43, s43, 12
	s_mul_i32 s27, s27, 12
	s_add_i32 s27, s27, s5
	s_add_i32 s43, s43, s4
	s_lshl_b32 s43, s43, 3
	s_lshl_b32 s27, s27, 3
	v_mov_b32_e32 v15, s43
	v_mov_b32_e32 v22, s27
	ds_read_b64 v[20:21], v15
	ds_read_b64 v[22:23], v22
	s_add_i32 s23, s23, 2
	s_add_i32 s22, s22, 2
	s_add_i32 s26, s26, -2
	s_waitcnt lgkmcnt(1)
	v_mov_b32_e32 v24, v20
	s_waitcnt lgkmcnt(0)
	v_mov_b32_e32 v25, v22
	v_mov_b32_e32 v22, v21
	v_pk_mul_f32 v[20:21], v[22:23], v[8:9]
	v_pk_mul_f32 v[22:23], v[22:23], v[6:7]
	v_pk_fma_f32 v[20:21], v[24:25], v[6:7], v[20:21] neg_lo:[0,0,1] neg_hi:[0,0,1]
	v_pk_fma_f32 v[22:23], v[24:25], v[8:9], v[22:23]
	s_cmp_lg_u32 s26, 0
	s_waitcnt vmcnt(1)
	v_pk_add_f32 v[16:17], v[16:17], v[20:21] neg_lo:[0,1] neg_hi:[0,1]
	s_waitcnt vmcnt(0)
	v_pk_add_f32 v[18:19], v[18:19], v[22:23] neg_lo:[0,1] neg_hi:[0,1]
	buffer_store_dword v16, v5, s[0:3], 0 offen
	buffer_store_dword v18, v5, s[0:3], 0 offen offset:4
	buffer_store_dword v17, v5, s[0:3], 0 offen offset:8
	;; [unrolled: 1-line block ×3, first 2 shown]
	v_add_u32_e32 v5, 16, v5
	s_cbranch_scc1 .LBB144_54
; %bb.55:                               ;   in Loop: Header=BB144_52 Depth=3
	s_mov_b64 s[22:23], s[20:21]
	s_mov_b32 s26, s34
	s_branch .LBB144_58
.LBB144_56:                             ;   in Loop: Header=BB144_52 Depth=3
	s_mov_b64 s[22:23], 0
                                        ; implicit-def: $vgpr4_vgpr5
	s_mov_b32 s26, s34
	s_cbranch_execz .LBB144_58
; %bb.57:                               ;   in Loop: Header=BB144_52 Depth=3
	s_waitcnt vmcnt(0)
	v_mov_b32_e32 v4, v3
	s_mov_b64 s[22:23], -1
	s_mov_b32 s26, 0
.LBB144_58:                             ;   in Loop: Header=BB144_52 Depth=3
	s_andn2_b64 vcc, exec, s[22:23]
	s_cbranch_vccnz .LBB144_51
; %bb.59:                               ;   in Loop: Header=BB144_52 Depth=3
	s_add_i32 s22, s28, s26
	s_mulk_i32 s22, 0x60
	s_lshl_b32 s23, s26, 3
	s_waitcnt vmcnt(0)
	v_mov_b32_e32 v5, v3
	v_mov_b32_e32 v3, v2
	s_sub_i32 s5, s31, s26
	s_add_i32 s22, s41, s22
	v_add_u32_e32 v6, s23, v14
.LBB144_60:                             ;   Parent Loop BB144_39 Depth=1
                                        ;     Parent Loop BB144_42 Depth=2
                                        ;       Parent Loop BB144_52 Depth=3
                                        ; =>      This Inner Loop Header: Depth=4
	buffer_load_dword v8, v6, s[0:3], 0 offen
	buffer_load_dword v9, v6, s[0:3], 0 offen offset:4
	v_mov_b32_e32 v7, s22
	ds_read_b64 v[16:17], v7
	s_add_i32 s5, s5, -1
	s_addk_i32 s22, 0x60
	s_cmp_eq_u32 s5, 0
	s_waitcnt lgkmcnt(0)
	v_pk_mul_f32 v[18:19], v[16:17], v[4:5]
	v_pk_fma_f32 v[20:21], v[16:17], v[2:3], v[18:19] op_sel:[0,0,1] op_sel_hi:[1,1,0] neg_lo:[0,0,1] neg_hi:[0,0,1]
	v_pk_fma_f32 v[16:17], v[16:17], v[2:3], v[18:19] op_sel:[0,0,1] op_sel_hi:[1,1,0]
	v_mov_b32_e32 v21, v17
	s_waitcnt vmcnt(0)
	v_pk_add_f32 v[8:9], v[8:9], v[20:21] neg_lo:[0,1] neg_hi:[0,1]
	buffer_store_dword v8, v6, s[0:3], 0 offen
	buffer_store_dword v9, v6, s[0:3], 0 offen offset:4
	v_add_u32_e32 v6, 8, v6
	s_cbranch_scc0 .LBB144_60
	s_branch .LBB144_51
.LBB144_61:                             ;   in Loop: Header=BB144_42 Depth=2
	s_mov_b32 s26, 0
	s_mov_b32 s27, s37
	s_branch .LBB144_63
.LBB144_62:                             ;   in Loop: Header=BB144_63 Depth=3
	s_mul_i32 s5, s4, 0x68
	v_mov_b32_e32 v4, s5
	ds_read_b64 v[4:5], v4
	s_lshl_b32 s5, s26, 3
	v_add_u32_e32 v8, s5, v14
	s_ashr_i32 s5, s4, 31
	s_lshl_b64 s[4:5], s[4:5], 3
	s_waitcnt vmcnt(0) lgkmcnt(0)
	v_mul_f32_e32 v6, v5, v3
	v_mul_f32_e32 v7, v4, v3
	v_fma_f32 v6, v4, v2, -v6
	v_fmac_f32_e32 v7, v5, v2
	v_mov_b32_e32 v3, s5
	v_add_co_u32_e32 v2, vcc, s4, v10
	s_add_i32 s26, s26, 1
	s_addk_i32 s27, 0x60
	v_addc_co_u32_e32 v3, vcc, v11, v3, vcc
	s_cmp_eq_u32 s26, s31
	buffer_store_dword v6, v8, s[0:3], 0 offen
	buffer_store_dword v7, v8, s[0:3], 0 offen offset:4
	global_store_dwordx2 v[2:3], v[6:7], off
	s_cbranch_scc1 .LBB144_41
.LBB144_63:                             ;   Parent Loop BB144_39 Depth=1
                                        ;     Parent Loop BB144_42 Depth=2
                                        ; =>    This Loop Header: Depth=3
                                        ;         Child Loop BB144_65 Depth 4
	s_cmp_lg_u32 s26, 0
	s_cbranch_scc0 .LBB144_67
; %bb.64:                               ;   in Loop: Header=BB144_63 Depth=3
	s_lshl_b32 s4, s26, 3
	v_add_u32_e32 v4, s4, v14
	buffer_load_dword v2, v4, s[0:3], 0 offen
	buffer_load_dword v3, v4, s[0:3], 0 offen offset:4
	v_mov_b32_e32 v5, 0
	s_mov_b32 s4, 0
	s_mov_b32 s5, s27
.LBB144_65:                             ;   Parent Loop BB144_39 Depth=1
                                        ;     Parent Loop BB144_42 Depth=2
                                        ;       Parent Loop BB144_63 Depth=3
                                        ; =>      This Inner Loop Header: Depth=4
	buffer_load_dword v7, v5, s[0:3], 0 offen offset:4
	buffer_load_dword v6, v5, s[0:3], 0 offen
	v_mov_b32_e32 v8, s5
	ds_read_b64 v[8:9], v8
	s_add_i32 s4, s4, 1
	s_add_i32 s5, s5, 8
	v_add_u32_e32 v5, 8, v5
	s_cmp_ge_u32 s4, s26
	s_waitcnt vmcnt(1)
	v_mov_b32_e32 v16, v7
	s_waitcnt lgkmcnt(0)
	v_pk_mul_f32 v[16:17], v[8:9], v[16:17] op_sel_hi:[1,0]
	s_waitcnt vmcnt(0)
	v_pk_fma_f32 v[18:19], v[8:9], v[6:7], v[16:17] op_sel:[0,0,1] op_sel_hi:[1,1,0] neg_lo:[0,0,1] neg_hi:[0,0,1]
	v_pk_fma_f32 v[6:7], v[8:9], v[6:7], v[16:17] op_sel:[0,0,1] op_sel_hi:[1,0,0]
	v_mov_b32_e32 v19, v7
	v_pk_add_f32 v[2:3], v[2:3], v[18:19] neg_lo:[0,1] neg_hi:[0,1]
	buffer_store_dword v2, v4, s[0:3], 0 offen
	buffer_store_dword v3, v4, s[0:3], 0 offen offset:4
	s_cbranch_scc0 .LBB144_65
; %bb.66:                               ;   in Loop: Header=BB144_63 Depth=3
	s_add_i32 s4, s26, s28
	s_branch .LBB144_62
.LBB144_67:                             ;   in Loop: Header=BB144_63 Depth=3
                                        ; implicit-def: $vgpr2
                                        ; implicit-def: $sgpr4
	s_cbranch_execz .LBB144_62
; %bb.68:                               ;   in Loop: Header=BB144_63 Depth=3
	buffer_load_dword v2, off, s[0:3], 0
	buffer_load_dword v3, off, s[0:3], 0 offset:4
	s_mov_b32 s4, s28
	s_branch .LBB144_62
.LBB144_69:
	s_mov_b64 s[4:5], 0
.LBB144_70:
	s_and_b64 vcc, exec, s[4:5]
	s_cbranch_vccz .LBB144_102
; %bb.71:
	s_add_u32 s4, s14, s10
	s_addc_u32 s5, s15, s11
	s_add_u32 s4, s4, s6
	s_addc_u32 s5, s5, s7
	v_mov_b32_e32 v2, s5
	v_add_co_u32_e32 v0, vcc, s4, v0
	v_addc_co_u32_e32 v1, vcc, v2, v1, vcc
	v_add_co_u32_e32 v8, vcc, 4, v0
	s_mul_i32 s26, s42, 0x60
	s_mov_b32 s7, 0
	s_mov_b32 s8, s24
	;; [unrolled: 1-line block ×5, first 2 shown]
	v_addc_co_u32_e32 v9, vcc, 0, v1, vcc
	s_addk_i32 s26, 0xffa0
	v_mov_b32_e32 v12, 0
	s_mov_b32 s10, s33
	s_mov_b32 s14, s7
	s_branch .LBB144_73
.LBB144_72:                             ;   in Loop: Header=BB144_73 Depth=1
	s_cmp_lt_i32 s10, 0
	s_cselect_b64 s[4:5], -1, 0
	s_add_i32 s14, s14, 1
	s_cmp_eq_u32 s14, 3
	s_cselect_b64 s[16:17], -1, 0
	s_or_b64 s[4:5], s[4:5], s[16:17]
	s_and_b64 vcc, exec, s[4:5]
	s_cbranch_vccnz .LBB144_102
.LBB144_73:                             ; =>This Loop Header: Depth=1
                                        ;     Child Loop BB144_76 Depth 2
                                        ;       Child Loop BB144_78 Depth 3
                                        ;       Child Loop BB144_82 Depth 3
	;; [unrolled: 1-line block ×3, first 2 shown]
                                        ;         Child Loop BB144_95 Depth 4
                                        ;         Child Loop BB144_101 Depth 4
                                        ;       Child Loop BB144_86 Depth 3
                                        ;         Child Loop BB144_88 Depth 4
	s_mov_b32 s15, s7
	s_lshl_b64 s[4:5], s[14:15], 2
	s_getpc_b64 s[16:17]
	s_add_u32 s16, s16, __const._ZL30rocblas_trsm_small_left_deviceILi12ELi12ELb0E19rocblas_complex_numIfES1_PKS1_PS1_Ev13rocblas_fill_18rocblas_operation_17rocblas_diagonal_iiT3_T4_lilT5_lili.step_sizes@rel32@lo+4
	s_addc_u32 s17, s17, __const._ZL30rocblas_trsm_small_left_deviceILi12ELi12ELb0E19rocblas_complex_numIfES1_PKS1_PS1_Ev13rocblas_fill_18rocblas_operation_17rocblas_diagonal_iiT3_T4_lilT5_lili.step_sizes@rel32@hi+12
	s_add_u32 s4, s4, s16
	s_addc_u32 s5, s5, s17
	s_load_dword s15, s[4:5], 0x0
	s_waitcnt lgkmcnt(0)
	s_add_i32 s27, s15, -1
	s_cmp_lt_i32 s10, s27
	s_cbranch_scc1 .LBB144_72
; %bb.74:                               ;   in Loop: Header=BB144_73 Depth=1
	s_max_i32 s28, s15, 1
	s_cmp_lg_u32 s14, 2
	s_cselect_b64 s[16:17], -1, 0
	s_and_b32 s29, s28, 0x7ffffffe
	s_cmp_lg_u32 s28, s29
	s_cselect_b64 s[18:19], -1, 0
	s_lshl_b32 s4, s10, 3
	s_add_i32 s30, s26, s4
	s_lshl_b32 s4, s15, 3
	s_sub_i32 s31, 0, s4
	s_mul_i32 s34, s10, 0x68
	s_mul_i32 s35, s15, 0xffffff98
	s_branch .LBB144_76
.LBB144_75:                             ;   in Loop: Header=BB144_76 Depth=2
	s_sub_i32 s10, s10, s15
	s_add_i32 s30, s30, s31
	s_add_i32 s34, s34, s35
	s_cmp_lt_i32 s10, s27
	s_cbranch_scc1 .LBB144_72
.LBB144_76:                             ;   Parent Loop BB144_73 Depth=1
                                        ; =>  This Loop Header: Depth=2
                                        ;       Child Loop BB144_78 Depth 3
                                        ;       Child Loop BB144_82 Depth 3
                                        ;       Child Loop BB144_93 Depth 3
                                        ;         Child Loop BB144_95 Depth 4
                                        ;         Child Loop BB144_101 Depth 4
                                        ;       Child Loop BB144_86 Depth 3
                                        ;         Child Loop BB144_88 Depth 4
	s_and_b64 vcc, exec, s[16:17]
	s_cbranch_vccz .LBB144_80
; %bb.77:                               ;   in Loop: Header=BB144_76 Depth=2
	v_mov_b32_e32 v0, 0
	s_mov_b32 s11, s10
	s_mov_b32 s20, 1
	;; [unrolled: 1-line block ×4, first 2 shown]
.LBB144_78:                             ;   Parent Loop BB144_73 Depth=1
                                        ;     Parent Loop BB144_76 Depth=2
                                        ; =>    This Inner Loop Header: Depth=3
	s_sub_i32 s4, s10, s21
	s_sub_i32 s36, s11, s20
	s_ashr_i32 s5, s4, 31
	s_ashr_i32 s37, s36, 31
	s_lshl_b64 s[4:5], s[4:5], 3
	s_lshl_b64 s[36:37], s[36:37], 3
	v_mov_b32_e32 v1, s5
	v_add_co_u32_e64 v4, s[4:5], s4, v10
	v_mov_b32_e32 v3, s37
	v_add_co_u32_e32 v2, vcc, s36, v10
	v_addc_co_u32_e64 v5, s[4:5], v11, v1, s[4:5]
	v_addc_co_u32_e32 v3, vcc, v11, v3, vcc
	global_load_dwordx2 v[6:7], v[4:5], off
	global_load_dwordx2 v[14:15], v[2:3], off
	s_add_i32 s21, s21, 2
	s_add_i32 s20, s20, 2
	s_add_i32 s22, s22, -2
	s_mov_b32 s6, s29
	s_mov_b64 s[4:5], s[18:19]
	s_cmp_lg_u32 s22, 0
	s_waitcnt vmcnt(1)
	v_mov_b32_e32 v2, v6
	s_waitcnt vmcnt(0)
	v_mov_b32_e32 v3, v14
	v_mov_b32_e32 v14, v7
	v_pk_mul_f32 v[4:5], v[14:15], s[12:13]
	v_pk_mul_f32 v[6:7], v[14:15], s[8:9]
	v_pk_fma_f32 v[4:5], v[2:3], s[8:9], v[4:5] neg_lo:[0,0,1] neg_hi:[0,0,1]
	v_pk_fma_f32 v[2:3], v[2:3], s[12:13], v[6:7]
	buffer_store_dword v2, v0, s[0:3], 0 offen offset:4
	buffer_store_dword v4, v0, s[0:3], 0 offen
	buffer_store_dword v3, v0, s[0:3], 0 offen offset:12
	buffer_store_dword v5, v0, s[0:3], 0 offen offset:8
	v_add_u32_e32 v0, 16, v0
	s_cbranch_scc1 .LBB144_78
; %bb.79:                               ;   in Loop: Header=BB144_76 Depth=2
	s_ashr_i32 s11, s10, 31
	s_and_b64 vcc, exec, s[4:5]
	s_cbranch_vccnz .LBB144_81
	s_branch .LBB144_83
.LBB144_80:                             ;   in Loop: Header=BB144_76 Depth=2
	s_mov_b32 s6, 0
	s_ashr_i32 s11, s10, 31
	s_cbranch_execz .LBB144_83
.LBB144_81:                             ;   in Loop: Header=BB144_76 Depth=2
	s_lshl_b64 s[20:21], s[10:11], 3
	s_sub_i32 s4, s28, s6
	s_lshl_b64 s[22:23], s[6:7], 3
	s_sub_u32 s5, s20, s22
	s_subb_u32 s20, s21, s23
	v_mov_b32_e32 v1, s20
	v_add_co_u32_e32 v0, vcc, s5, v8
	s_lshl_b32 s5, s6, 3
	v_addc_co_u32_e32 v1, vcc, v9, v1, vcc
	v_add_u32_e32 v2, s5, v12
.LBB144_82:                             ;   Parent Loop BB144_73 Depth=1
                                        ;     Parent Loop BB144_76 Depth=2
                                        ; =>    This Inner Loop Header: Depth=3
	global_load_dwordx2 v[4:5], v[0:1], off offset:-4
	s_add_i32 s4, s4, -1
	v_add_co_u32_e32 v0, vcc, -8, v0
	v_addc_co_u32_e32 v1, vcc, -1, v1, vcc
	s_cmp_eq_u32 s4, 0
	s_waitcnt vmcnt(0)
	v_mul_f32_e32 v3, s25, v5
	v_mul_f32_e32 v5, s24, v5
	v_fma_f32 v3, v4, s24, -v3
	v_fmac_f32_e32 v5, s25, v4
	buffer_store_dword v3, v2, s[0:3], 0 offen
	buffer_store_dword v5, v2, s[0:3], 0 offen offset:4
	v_add_u32_e32 v2, 8, v2
	s_cbranch_scc0 .LBB144_82
.LBB144_83:                             ;   in Loop: Header=BB144_76 Depth=2
	s_cmp_le_i32 s33, s10
	s_mov_b32 s6, s30
	s_mov_b32 s4, s33
	s_cbranch_scc0 .LBB144_93
.LBB144_84:                             ;   in Loop: Header=BB144_76 Depth=2
	s_mov_b32 s6, 0
	s_mov_b32 s36, s34
	s_branch .LBB144_86
.LBB144_85:                             ;   in Loop: Header=BB144_86 Depth=3
	s_mulk_i32 s20, 0x68
	v_mov_b32_e32 v2, s20
	ds_read_b64 v[2:3], v2
	s_lshl_b64 s[4:5], s[4:5], 3
	s_lshl_b32 s20, s6, 3
	s_add_i32 s6, s6, 1
	s_add_i32 s36, s36, -8
	s_waitcnt vmcnt(0) lgkmcnt(0)
	v_mul_f32_e32 v4, v3, v1
	v_mul_f32_e32 v5, v2, v1
	v_fma_f32 v4, v2, v0, -v4
	v_fmac_f32_e32 v5, v3, v0
	v_mov_b32_e32 v1, s5
	v_add_co_u32_e32 v0, vcc, s4, v10
	v_add_u32_e32 v6, s20, v12
	v_addc_co_u32_e32 v1, vcc, v11, v1, vcc
	s_cmp_eq_u32 s6, s28
	buffer_store_dword v4, v6, s[0:3], 0 offen
	buffer_store_dword v5, v6, s[0:3], 0 offen offset:4
	global_store_dwordx2 v[0:1], v[4:5], off
	s_cbranch_scc1 .LBB144_75
.LBB144_86:                             ;   Parent Loop BB144_73 Depth=1
                                        ;     Parent Loop BB144_76 Depth=2
                                        ; =>    This Loop Header: Depth=3
                                        ;         Child Loop BB144_88 Depth 4
	s_cmp_lg_u32 s6, 0
	s_cbranch_scc0 .LBB144_90
; %bb.87:                               ;   in Loop: Header=BB144_86 Depth=3
	s_lshl_b32 s4, s6, 3
	v_add_u32_e32 v2, s4, v12
	buffer_load_dword v0, v2, s[0:3], 0 offen
	buffer_load_dword v1, v2, s[0:3], 0 offen offset:4
	v_mov_b32_e32 v3, 0
	s_mov_b32 s4, 0
	s_mov_b32 s5, s36
.LBB144_88:                             ;   Parent Loop BB144_73 Depth=1
                                        ;     Parent Loop BB144_76 Depth=2
                                        ;       Parent Loop BB144_86 Depth=3
                                        ; =>      This Inner Loop Header: Depth=4
	buffer_load_dword v5, v3, s[0:3], 0 offen offset:4
	buffer_load_dword v4, v3, s[0:3], 0 offen
	v_mov_b32_e32 v6, s5
	ds_read_b64 v[6:7], v6
	s_add_i32 s4, s4, 1
	s_addk_i32 s5, 0xffa0
	v_add_u32_e32 v3, 8, v3
	s_cmp_ge_u32 s4, s6
	s_waitcnt vmcnt(1)
	v_mov_b32_e32 v14, v5
	s_waitcnt lgkmcnt(0)
	v_pk_mul_f32 v[14:15], v[6:7], v[14:15] op_sel_hi:[1,0]
	s_waitcnt vmcnt(0)
	v_pk_fma_f32 v[16:17], v[6:7], v[4:5], v[14:15] op_sel:[0,0,1] op_sel_hi:[1,1,0] neg_lo:[0,0,1] neg_hi:[0,0,1]
	v_pk_fma_f32 v[4:5], v[6:7], v[4:5], v[14:15] op_sel:[0,0,1] op_sel_hi:[1,0,0]
	v_mov_b32_e32 v17, v5
	v_pk_add_f32 v[0:1], v[0:1], v[16:17] neg_lo:[0,1] neg_hi:[0,1]
	buffer_store_dword v0, v2, s[0:3], 0 offen
	buffer_store_dword v1, v2, s[0:3], 0 offen offset:4
	s_cbranch_scc0 .LBB144_88
; %bb.89:                               ;   in Loop: Header=BB144_86 Depth=3
	s_sub_i32 s20, s10, s6
	s_ashr_i32 s21, s20, 31
	s_mov_b64 s[4:5], s[20:21]
	s_branch .LBB144_85
.LBB144_90:                             ;   in Loop: Header=BB144_86 Depth=3
                                        ; implicit-def: $vgpr0
                                        ; implicit-def: $sgpr20
                                        ; implicit-def: $sgpr4_sgpr5
	s_cbranch_execz .LBB144_85
; %bb.91:                               ;   in Loop: Header=BB144_86 Depth=3
	buffer_load_dword v0, off, s[0:3], 0
	buffer_load_dword v1, off, s[0:3], 0 offset:4
	s_mov_b64 s[4:5], s[10:11]
	s_mov_b32 s20, s10
	s_branch .LBB144_85
.LBB144_92:                             ;   in Loop: Header=BB144_93 Depth=3
	s_add_i32 s4, s4, -1
	s_addk_i32 s6, 0xffa0
	s_cmp_le_i32 s4, s10
	s_cbranch_scc1 .LBB144_84
.LBB144_93:                             ;   Parent Loop BB144_73 Depth=1
                                        ;     Parent Loop BB144_76 Depth=2
                                        ; =>    This Loop Header: Depth=3
                                        ;         Child Loop BB144_95 Depth 4
                                        ;         Child Loop BB144_101 Depth 4
	s_ashr_i32 s5, s4, 31
	s_lshl_b64 s[20:21], s[4:5], 3
	s_waitcnt vmcnt(0)
	v_mov_b32_e32 v1, s21
	v_add_co_u32_e32 v0, vcc, s20, v10
	v_addc_co_u32_e32 v1, vcc, v11, v1, vcc
	global_load_dwordx2 v[0:1], v[0:1], off
	s_and_b64 vcc, exec, s[16:17]
	s_cbranch_vccz .LBB144_97
; %bb.94:                               ;   in Loop: Header=BB144_93 Depth=3
	s_mul_i32 s5, s4, 12
	s_add_i32 s5, s5, s10
	s_mov_b32 s20, s5
	s_waitcnt vmcnt(0)
	v_mov_b32_e32 v4, v0
	v_mov_b32_e32 v5, v0
	;; [unrolled: 1-line block ×6, first 2 shown]
	s_mov_b32 s21, 1
	s_mov_b32 s22, 0
	;; [unrolled: 1-line block ×3, first 2 shown]
.LBB144_95:                             ;   Parent Loop BB144_73 Depth=1
                                        ;     Parent Loop BB144_76 Depth=2
                                        ;       Parent Loop BB144_93 Depth=3
                                        ; =>      This Inner Loop Header: Depth=4
	buffer_load_dword v14, v3, s[0:3], 0 offen
	buffer_load_dword v16, v3, s[0:3], 0 offen offset:4
	buffer_load_dword v15, v3, s[0:3], 0 offen offset:8
	;; [unrolled: 1-line block ×3, first 2 shown]
	s_sub_i32 s36, s20, s21
	s_sub_i32 s37, s5, s22
	s_lshl_b32 s37, s37, 3
	s_lshl_b32 s36, s36, 3
	v_mov_b32_e32 v13, s37
	v_mov_b32_e32 v20, s36
	ds_read_b64 v[18:19], v13
	ds_read_b64 v[20:21], v20
	s_add_i32 s22, s22, 2
	s_add_i32 s21, s21, 2
	s_add_i32 s23, s23, -2
	s_waitcnt lgkmcnt(1)
	v_mov_b32_e32 v22, v18
	s_waitcnt lgkmcnt(0)
	v_mov_b32_e32 v23, v20
	v_mov_b32_e32 v20, v19
	v_pk_mul_f32 v[18:19], v[20:21], v[6:7]
	v_pk_mul_f32 v[20:21], v[20:21], v[4:5]
	v_pk_fma_f32 v[18:19], v[22:23], v[4:5], v[18:19] neg_lo:[0,0,1] neg_hi:[0,0,1]
	v_pk_fma_f32 v[20:21], v[22:23], v[6:7], v[20:21]
	s_cmp_lg_u32 s23, 0
	s_waitcnt vmcnt(1)
	v_pk_add_f32 v[14:15], v[14:15], v[18:19] neg_lo:[0,1] neg_hi:[0,1]
	s_waitcnt vmcnt(0)
	v_pk_add_f32 v[16:17], v[16:17], v[20:21] neg_lo:[0,1] neg_hi:[0,1]
	buffer_store_dword v14, v3, s[0:3], 0 offen
	buffer_store_dword v16, v3, s[0:3], 0 offen offset:4
	buffer_store_dword v15, v3, s[0:3], 0 offen offset:8
	;; [unrolled: 1-line block ×3, first 2 shown]
	v_add_u32_e32 v3, 16, v3
	s_cbranch_scc1 .LBB144_95
; %bb.96:                               ;   in Loop: Header=BB144_93 Depth=3
	s_mov_b64 s[20:21], s[18:19]
	s_mov_b32 s22, s29
	s_branch .LBB144_99
.LBB144_97:                             ;   in Loop: Header=BB144_93 Depth=3
	s_mov_b64 s[20:21], 0
                                        ; implicit-def: $vgpr2_vgpr3
	s_mov_b32 s22, s29
	s_cbranch_execz .LBB144_99
; %bb.98:                               ;   in Loop: Header=BB144_93 Depth=3
	s_waitcnt vmcnt(0)
	v_mov_b32_e32 v2, v1
	s_mov_b64 s[20:21], -1
	s_mov_b32 s22, 0
.LBB144_99:                             ;   in Loop: Header=BB144_93 Depth=3
	s_andn2_b64 vcc, exec, s[20:21]
	s_cbranch_vccnz .LBB144_92
; %bb.100:                              ;   in Loop: Header=BB144_93 Depth=3
	s_lshl_b32 s21, s22, 3
	s_waitcnt vmcnt(0)
	v_mov_b32_e32 v3, v1
	v_mov_b32_e32 v1, v0
	s_sub_i32 s5, s6, s21
	s_sub_i32 s20, s28, s22
	v_add_u32_e32 v4, s21, v12
.LBB144_101:                            ;   Parent Loop BB144_73 Depth=1
                                        ;     Parent Loop BB144_76 Depth=2
                                        ;       Parent Loop BB144_93 Depth=3
                                        ; =>      This Inner Loop Header: Depth=4
	buffer_load_dword v6, v4, s[0:3], 0 offen
	buffer_load_dword v7, v4, s[0:3], 0 offen offset:4
	v_mov_b32_e32 v5, s5
	ds_read_b64 v[14:15], v5
	s_add_i32 s5, s5, -8
	s_add_i32 s20, s20, -1
	s_cmp_eq_u32 s20, 0
	s_waitcnt lgkmcnt(0)
	v_pk_mul_f32 v[16:17], v[14:15], v[2:3]
	v_pk_fma_f32 v[18:19], v[14:15], v[0:1], v[16:17] op_sel:[0,0,1] op_sel_hi:[1,1,0] neg_lo:[0,0,1] neg_hi:[0,0,1]
	v_pk_fma_f32 v[14:15], v[14:15], v[0:1], v[16:17] op_sel:[0,0,1] op_sel_hi:[1,1,0]
	v_mov_b32_e32 v19, v15
	s_waitcnt vmcnt(0)
	v_pk_add_f32 v[6:7], v[6:7], v[18:19] neg_lo:[0,1] neg_hi:[0,1]
	buffer_store_dword v6, v4, s[0:3], 0 offen
	buffer_store_dword v7, v4, s[0:3], 0 offen offset:4
	v_add_u32_e32 v4, 8, v4
	s_cbranch_scc0 .LBB144_101
	s_branch .LBB144_92
.LBB144_102:
	s_endpgm
	.section	.rodata,"a",@progbits
	.p2align	6, 0x0
	.amdhsa_kernel _ZL30rocblas_trsm_small_left_deviceILi12ELi12ELb0E19rocblas_complex_numIfES1_PKS1_PS1_Ev13rocblas_fill_18rocblas_operation_17rocblas_diagonal_iiT3_T4_lilT5_lili
		.amdhsa_group_segment_fixed_size 1152
		.amdhsa_private_segment_fixed_size 112
		.amdhsa_kernarg_size 360
		.amdhsa_user_sgpr_count 8
		.amdhsa_user_sgpr_private_segment_buffer 1
		.amdhsa_user_sgpr_dispatch_ptr 0
		.amdhsa_user_sgpr_queue_ptr 0
		.amdhsa_user_sgpr_kernarg_segment_ptr 1
		.amdhsa_user_sgpr_dispatch_id 0
		.amdhsa_user_sgpr_flat_scratch_init 1
		.amdhsa_user_sgpr_kernarg_preload_length 0
		.amdhsa_user_sgpr_kernarg_preload_offset 0
		.amdhsa_user_sgpr_private_segment_size 0
		.amdhsa_uses_dynamic_stack 0
		.amdhsa_system_sgpr_private_segment_wavefront_offset 1
		.amdhsa_system_sgpr_workgroup_id_x 1
		.amdhsa_system_sgpr_workgroup_id_y 0
		.amdhsa_system_sgpr_workgroup_id_z 1
		.amdhsa_system_sgpr_workgroup_info 0
		.amdhsa_system_vgpr_workitem_id 0
		.amdhsa_next_free_vgpr 26
		.amdhsa_next_free_sgpr 46
		.amdhsa_accum_offset 28
		.amdhsa_reserve_vcc 1
		.amdhsa_reserve_flat_scratch 0
		.amdhsa_float_round_mode_32 0
		.amdhsa_float_round_mode_16_64 0
		.amdhsa_float_denorm_mode_32 3
		.amdhsa_float_denorm_mode_16_64 3
		.amdhsa_dx10_clamp 1
		.amdhsa_ieee_mode 1
		.amdhsa_fp16_overflow 0
		.amdhsa_tg_split 0
		.amdhsa_exception_fp_ieee_invalid_op 0
		.amdhsa_exception_fp_denorm_src 0
		.amdhsa_exception_fp_ieee_div_zero 0
		.amdhsa_exception_fp_ieee_overflow 0
		.amdhsa_exception_fp_ieee_underflow 0
		.amdhsa_exception_fp_ieee_inexact 0
		.amdhsa_exception_int_div_zero 0
	.end_amdhsa_kernel
	.section	.text._ZL30rocblas_trsm_small_left_deviceILi12ELi12ELb0E19rocblas_complex_numIfES1_PKS1_PS1_Ev13rocblas_fill_18rocblas_operation_17rocblas_diagonal_iiT3_T4_lilT5_lili,"axG",@progbits,_ZL30rocblas_trsm_small_left_deviceILi12ELi12ELb0E19rocblas_complex_numIfES1_PKS1_PS1_Ev13rocblas_fill_18rocblas_operation_17rocblas_diagonal_iiT3_T4_lilT5_lili,comdat
.Lfunc_end144:
	.size	_ZL30rocblas_trsm_small_left_deviceILi12ELi12ELb0E19rocblas_complex_numIfES1_PKS1_PS1_Ev13rocblas_fill_18rocblas_operation_17rocblas_diagonal_iiT3_T4_lilT5_lili, .Lfunc_end144-_ZL30rocblas_trsm_small_left_deviceILi12ELi12ELb0E19rocblas_complex_numIfES1_PKS1_PS1_Ev13rocblas_fill_18rocblas_operation_17rocblas_diagonal_iiT3_T4_lilT5_lili
                                        ; -- End function
	.section	.AMDGPU.csdata,"",@progbits
; Kernel info:
; codeLenInByte = 4348
; NumSgprs: 50
; NumVgprs: 26
; NumAgprs: 0
; TotalNumVgprs: 26
; ScratchSize: 112
; MemoryBound: 0
; FloatMode: 240
; IeeeMode: 1
; LDSByteSize: 1152 bytes/workgroup (compile time only)
; SGPRBlocks: 6
; VGPRBlocks: 3
; NumSGPRsForWavesPerEU: 50
; NumVGPRsForWavesPerEU: 26
; AccumOffset: 28
; Occupancy: 8
; WaveLimiterHint : 0
; COMPUTE_PGM_RSRC2:SCRATCH_EN: 1
; COMPUTE_PGM_RSRC2:USER_SGPR: 8
; COMPUTE_PGM_RSRC2:TRAP_HANDLER: 0
; COMPUTE_PGM_RSRC2:TGID_X_EN: 1
; COMPUTE_PGM_RSRC2:TGID_Y_EN: 0
; COMPUTE_PGM_RSRC2:TGID_Z_EN: 1
; COMPUTE_PGM_RSRC2:TIDIG_COMP_CNT: 0
; COMPUTE_PGM_RSRC3_GFX90A:ACCUM_OFFSET: 6
; COMPUTE_PGM_RSRC3_GFX90A:TG_SPLIT: 0
	.section	.text._ZL38rocblas_trsm_small_left_device_sharedBILi12ELi12ELb1E19rocblas_complex_numIfES1_PKS1_PS1_Ev13rocblas_fill_18rocblas_operation_17rocblas_diagonal_iiT3_T4_lilT5_lili,"axG",@progbits,_ZL38rocblas_trsm_small_left_device_sharedBILi12ELi12ELb1E19rocblas_complex_numIfES1_PKS1_PS1_Ev13rocblas_fill_18rocblas_operation_17rocblas_diagonal_iiT3_T4_lilT5_lili,comdat
	.globl	_ZL38rocblas_trsm_small_left_device_sharedBILi12ELi12ELb1E19rocblas_complex_numIfES1_PKS1_PS1_Ev13rocblas_fill_18rocblas_operation_17rocblas_diagonal_iiT3_T4_lilT5_lili ; -- Begin function _ZL38rocblas_trsm_small_left_device_sharedBILi12ELi12ELb1E19rocblas_complex_numIfES1_PKS1_PS1_Ev13rocblas_fill_18rocblas_operation_17rocblas_diagonal_iiT3_T4_lilT5_lili
	.p2align	8
	.type	_ZL38rocblas_trsm_small_left_device_sharedBILi12ELi12ELb1E19rocblas_complex_numIfES1_PKS1_PS1_Ev13rocblas_fill_18rocblas_operation_17rocblas_diagonal_iiT3_T4_lilT5_lili,@function
_ZL38rocblas_trsm_small_left_device_sharedBILi12ELi12ELb1E19rocblas_complex_numIfES1_PKS1_PS1_Ev13rocblas_fill_18rocblas_operation_17rocblas_diagonal_iiT3_T4_lilT5_lili: ; @_ZL38rocblas_trsm_small_left_device_sharedBILi12ELi12ELb1E19rocblas_complex_numIfES1_PKS1_PS1_Ev13rocblas_fill_18rocblas_operation_17rocblas_diagonal_iiT3_T4_lilT5_lili
; %bb.0:
	s_add_u32 s0, s0, s10
	s_load_dwordx4 s[16:19], s[4:5], 0x4
	s_load_dwordx2 s[24:25], s[4:5], 0x14
	s_load_dwordx4 s[12:15], s[4:5], 0x38
	s_load_dwordx2 s[26:27], s[4:5], 0x48
	s_load_dword s43, s[4:5], 0x68
	s_addc_u32 s1, s1, 0
	s_waitcnt lgkmcnt(0)
	s_min_i32 s33, s18, 12
	s_mov_b32 s44, 0
	s_add_i32 s42, s33, -1
	v_cmp_gt_i32_e32 vcc, s33, v0
	s_and_saveexec_b64 s[28:29], vcc
	s_cbranch_execz .LBB145_35
; %bb.1:
	s_load_dword s30, s[4:5], 0x30
	s_load_dwordx4 s[20:23], s[4:5], 0x20
	s_mul_i32 s6, s9, s13
	s_mul_hi_u32 s7, s9, s12
	s_mul_i32 s12, s9, s12
	s_waitcnt lgkmcnt(0)
	s_ashr_i32 s31, s30, 31
	s_cmpk_lg_i32 s16, 0x71
	s_cselect_b64 s[34:35], -1, 0
	s_add_i32 s13, s7, s6
	v_cndmask_b32_e64 v1, 0, 1, s[34:35]
	s_cmp_lt_u32 s42, 3
	v_cmp_ne_u32_e64 s[6:7], 1, v1
	s_cbranch_scc1 .LBB145_20
; %bb.2:
	s_lshl_b64 s[10:11], s[12:13], 3
	s_add_u32 s36, s20, s10
	s_addc_u32 s37, s21, s11
	s_lshl_b64 s[10:11], s[22:23], 3
	s_add_u32 s10, s36, s10
	s_addc_u32 s11, s37, s11
	v_lshlrev_b32_e32 v1, 3, v0
	v_mov_b32_e32 v3, s11
	v_add_co_u32_e32 v2, vcc, s10, v1
	s_mul_hi_i32 s10, s30, 24
	s_lshl_b64 s[36:37], s[30:31], 5
	s_lshl_b64 s[38:39], s[30:31], 4
	;; [unrolled: 1-line block ×3, first 2 shown]
	v_addc_co_u32_e32 v3, vcc, 0, v3, vcc
	s_and_b32 s44, s33, -4
	s_mul_i32 s45, s30, 24
	s_mov_b32 s46, 0
	v_mov_b32_e32 v8, s41
	v_mov_b32_e32 v9, s39
	;; [unrolled: 1-line block ×4, first 2 shown]
	s_branch .LBB145_4
.LBB145_3:                              ;   in Loop: Header=BB145_4 Depth=1
	global_load_dword v4, v[6:7], off
	s_add_i32 s46, s46, 4
	v_add_co_u32_e32 v2, vcc, s36, v2
	v_addc_co_u32_e32 v3, vcc, v3, v11, vcc
	s_cmp_eq_u32 s44, s46
	s_waitcnt vmcnt(0)
	ds_write_b64 v1, v[4:5] offset:288
	v_add_u32_e32 v1, 0x180, v1
	s_cbranch_scc1 .LBB145_20
.LBB145_4:                              ; =>This Inner Loop Header: Depth=1
	s_and_b64 vcc, exec, s[34:35]
	s_cbranch_vccz .LBB145_6
; %bb.5:                                ;   in Loop: Header=BB145_4 Depth=1
	global_load_dword v5, v[2:3], off offset:4
	s_cbranch_execz .LBB145_7
	s_branch .LBB145_8
.LBB145_6:                              ;   in Loop: Header=BB145_4 Depth=1
                                        ; implicit-def: $vgpr5
.LBB145_7:                              ;   in Loop: Header=BB145_4 Depth=1
	global_load_dword v4, v[2:3], off offset:4
	s_waitcnt vmcnt(0)
	v_xor_b32_e32 v5, 0x80000000, v4
.LBB145_8:                              ;   in Loop: Header=BB145_4 Depth=1
	global_load_dword v4, v[2:3], off
	v_add_co_u32_e64 v6, s[10:11], s40, v2
	s_and_b64 vcc, exec, s[6:7]
	v_addc_co_u32_e64 v7, s[10:11], v3, v8, s[10:11]
	s_waitcnt vmcnt(0)
	ds_write_b64 v1, v[4:5]
	s_cbranch_vccnz .LBB145_10
; %bb.9:                                ;   in Loop: Header=BB145_4 Depth=1
	global_load_dword v5, v[6:7], off offset:4
	s_cbranch_execz .LBB145_11
	s_branch .LBB145_12
.LBB145_10:                             ;   in Loop: Header=BB145_4 Depth=1
                                        ; implicit-def: $vgpr5
.LBB145_11:                             ;   in Loop: Header=BB145_4 Depth=1
	global_load_dword v4, v[6:7], off offset:4
	s_waitcnt vmcnt(0)
	v_xor_b32_e32 v5, 0x80000000, v4
.LBB145_12:                             ;   in Loop: Header=BB145_4 Depth=1
	global_load_dword v4, v[6:7], off
	v_add_co_u32_e64 v6, s[10:11], s38, v2
	s_and_b64 vcc, exec, s[6:7]
	v_addc_co_u32_e64 v7, s[10:11], v3, v9, s[10:11]
	s_waitcnt vmcnt(0)
	ds_write_b64 v1, v[4:5] offset:96
	s_cbranch_vccnz .LBB145_14
; %bb.13:                               ;   in Loop: Header=BB145_4 Depth=1
	global_load_dword v5, v[6:7], off offset:4
	s_cbranch_execz .LBB145_15
	s_branch .LBB145_16
.LBB145_14:                             ;   in Loop: Header=BB145_4 Depth=1
                                        ; implicit-def: $vgpr5
.LBB145_15:                             ;   in Loop: Header=BB145_4 Depth=1
	global_load_dword v4, v[6:7], off offset:4
	s_waitcnt vmcnt(0)
	v_xor_b32_e32 v5, 0x80000000, v4
.LBB145_16:                             ;   in Loop: Header=BB145_4 Depth=1
	global_load_dword v4, v[6:7], off
	v_add_co_u32_e64 v6, s[10:11], s45, v2
	s_and_b64 vcc, exec, s[6:7]
	v_addc_co_u32_e64 v7, s[10:11], v3, v10, s[10:11]
	s_waitcnt vmcnt(0)
	ds_write_b64 v1, v[4:5] offset:192
	s_cbranch_vccnz .LBB145_18
; %bb.17:                               ;   in Loop: Header=BB145_4 Depth=1
	global_load_dword v5, v[6:7], off offset:4
	s_cbranch_execnz .LBB145_3
	s_branch .LBB145_19
.LBB145_18:                             ;   in Loop: Header=BB145_4 Depth=1
                                        ; implicit-def: $vgpr5
.LBB145_19:                             ;   in Loop: Header=BB145_4 Depth=1
	global_load_dword v4, v[6:7], off offset:4
	s_waitcnt vmcnt(0)
	v_xor_b32_e32 v5, 0x80000000, v4
	s_branch .LBB145_3
.LBB145_20:
	s_and_b32 s34, s33, 3
	s_cmp_eq_u32 s34, 0
	s_cbranch_scc1 .LBB145_27
; %bb.21:
	s_mul_i32 s10, s44, 0x60
	v_lshl_add_u32 v1, v0, 3, s10
	s_lshl_b64 s[10:11], s[12:13], 3
	s_mul_i32 s12, s31, s44
	s_mul_hi_u32 s13, s30, s44
	s_add_i32 s13, s13, s12
	s_mul_i32 s12, s30, s44
	s_lshl_b64 s[12:13], s[12:13], 3
	s_add_u32 s12, s10, s12
	s_addc_u32 s13, s11, s13
	s_lshl_b64 s[10:11], s[22:23], 3
	s_add_u32 s10, s12, s10
	s_addc_u32 s11, s13, s11
	s_add_u32 s10, s20, s10
	v_lshlrev_b32_e32 v2, 3, v0
	s_addc_u32 s11, s21, s11
	v_mov_b32_e32 v3, s11
	v_add_co_u32_e32 v2, vcc, s10, v2
	v_addc_co_u32_e32 v3, vcc, 0, v3, vcc
	v_add_co_u32_e32 v2, vcc, 4, v2
	s_lshl_b64 s[10:11], s[30:31], 3
	v_addc_co_u32_e32 v3, vcc, 0, v3, vcc
	v_mov_b32_e32 v6, s11
	s_branch .LBB145_23
.LBB145_22:                             ;   in Loop: Header=BB145_23 Depth=1
	global_load_dword v4, v[2:3], off offset:-4
	s_add_i32 s34, s34, -1
	v_add_co_u32_e32 v2, vcc, s10, v2
	s_cmp_lg_u32 s34, 0
	v_addc_co_u32_e32 v3, vcc, v3, v6, vcc
	s_waitcnt vmcnt(0)
	ds_write_b64 v1, v[4:5]
	v_add_u32_e32 v1, 0x60, v1
	s_cbranch_scc0 .LBB145_27
.LBB145_23:                             ; =>This Inner Loop Header: Depth=1
	s_and_b64 vcc, exec, s[6:7]
	s_cbranch_vccnz .LBB145_25
; %bb.24:                               ;   in Loop: Header=BB145_23 Depth=1
	global_load_dword v5, v[2:3], off
	s_cbranch_execnz .LBB145_22
	s_branch .LBB145_26
.LBB145_25:                             ;   in Loop: Header=BB145_23 Depth=1
                                        ; implicit-def: $vgpr5
.LBB145_26:                             ;   in Loop: Header=BB145_23 Depth=1
	global_load_dword v4, v[2:3], off
	s_waitcnt vmcnt(0)
	v_xor_b32_e32 v5, 0x80000000, v4
	s_branch .LBB145_22
.LBB145_27:
	v_mul_u32_u24_e32 v1, 13, v0
	s_cmpk_lg_i32 s17, 0x84
	v_lshlrev_b32_e32 v1, 3, v1
	s_mov_b64 s[6:7], -1
	s_cbranch_scc0 .LBB145_33
; %bb.28:
	ds_read_b64 v[2:3], v1
	s_mov_b32 s6, 0
	s_waitcnt lgkmcnt(0)
	v_cmp_gt_f32_e32 vcc, 0, v3
	v_cndmask_b32_e64 v4, v3, -v3, vcc
	v_cmp_gt_f32_e32 vcc, 0, v2
	v_cndmask_b32_e64 v5, v2, -v2, vcc
	v_cmp_ngt_f32_e32 vcc, v5, v4
                                        ; implicit-def: $vgpr4_vgpr5
	s_and_saveexec_b64 s[10:11], vcc
	s_xor_b64 s[10:11], exec, s[10:11]
	s_cbranch_execz .LBB145_30
; %bb.29:
	v_div_scale_f32 v4, s[12:13], v3, v3, v2
	v_rcp_f32_e32 v5, v4
	v_div_scale_f32 v6, vcc, v2, v3, v2
	s_mov_b32 s7, -1.0
	v_fma_f32 v7, -v4, v5, 1.0
	v_fmac_f32_e32 v5, v7, v5
	v_mul_f32_e32 v7, v6, v5
	v_fma_f32 v8, -v4, v7, v6
	v_fmac_f32_e32 v7, v8, v5
	v_fma_f32 v4, -v4, v7, v6
	v_div_fmas_f32 v4, v4, v5, v7
	v_div_fixup_f32 v4, v4, v3, v2
	v_fmac_f32_e32 v3, v2, v4
	v_div_scale_f32 v2, s[12:13], v3, v3, 1.0
	v_rcp_f32_e32 v5, v2
	v_fma_f32 v6, -v2, v5, 1.0
	v_fmac_f32_e32 v5, v6, v5
	v_div_scale_f32 v6, vcc, 1.0, v3, 1.0
	v_mul_f32_e32 v7, v6, v5
	v_fma_f32 v8, -v2, v7, v6
	v_fmac_f32_e32 v7, v8, v5
	v_fma_f32 v2, -v2, v7, v6
	v_div_fmas_f32 v2, v2, v5, v7
	v_mul_f32_e32 v5, 0, v4
	v_div_fixup_f32 v2, v2, v3, 1.0
	v_pk_add_f32 v[4:5], v[4:5], s[6:7]
	v_pk_mul_f32 v[4:5], v[4:5], v[2:3] op_sel_hi:[1,0]
                                        ; implicit-def: $vgpr2_vgpr3
.LBB145_30:
	s_andn2_saveexec_b64 s[6:7], s[10:11]
	s_cbranch_execz .LBB145_32
; %bb.31:
	v_div_scale_f32 v4, s[10:11], v2, v2, v3
	v_rcp_f32_e32 v5, v4
	v_div_scale_f32 v6, vcc, v3, v2, v3
	v_fma_f32 v7, -v4, v5, 1.0
	v_fmac_f32_e32 v5, v7, v5
	v_mul_f32_e32 v7, v6, v5
	v_fma_f32 v8, -v4, v7, v6
	v_fmac_f32_e32 v7, v8, v5
	v_fma_f32 v4, -v4, v7, v6
	v_div_fmas_f32 v4, v4, v5, v7
	v_div_fixup_f32 v5, v4, v2, v3
	v_fmac_f32_e32 v2, v3, v5
	v_div_scale_f32 v3, s[10:11], v2, v2, 1.0
	v_rcp_f32_e32 v4, v3
	s_mov_b32 s10, 1.0
	s_mov_b32 s11, 0
	v_fma_f32 v6, -v3, v4, 1.0
	v_fmac_f32_e32 v4, v6, v4
	v_div_scale_f32 v6, vcc, 1.0, v2, 1.0
	v_mul_f32_e32 v7, v6, v4
	v_fma_f32 v8, -v3, v7, v6
	v_fmac_f32_e32 v7, v8, v4
	v_fma_f32 v3, -v3, v7, v6
	v_div_fmas_f32 v3, v3, v4, v7
	v_mul_f32_e32 v4, 0, v5
	v_pk_add_f32 v[6:7], v[4:5], s[10:11]
	v_pk_add_f32 v[4:5], v[4:5], s[10:11] neg_lo:[1,0] neg_hi:[1,0]
	v_div_fixup_f32 v2, v3, v2, 1.0
	v_mov_b32_e32 v7, v5
	v_pk_mul_f32 v[4:5], v[6:7], v[2:3] op_sel_hi:[1,0]
.LBB145_32:
	s_or_b64 exec, exec, s[6:7]
	s_mov_b64 s[6:7], 0
	ds_write_b64 v1, v[4:5]
.LBB145_33:
	s_and_b64 vcc, exec, s[6:7]
	s_cbranch_vccz .LBB145_35
; %bb.34:
	v_mov_b32_e32 v2, 1.0
	v_mov_b32_e32 v3, 0
	ds_write_b64 v1, v[2:3]
.LBB145_35:
	s_or_b64 exec, exec, s[28:29]
	s_load_dword s28, s[4:5], 0x50
	s_load_dwordx2 s[6:7], s[4:5], 0x58
	s_mov_b32 s20, 0
	s_waitcnt lgkmcnt(0)
	s_ashr_i32 s29, s28, 31
	s_mul_i32 s5, s9, s7
	s_mul_hi_u32 s7, s9, s6
	s_mul_i32 s4, s9, s6
	s_add_i32 s5, s7, s5
	s_lshl_b64 s[4:5], s[4:5], 3
	s_add_u32 s9, s14, s4
	s_addc_u32 s10, s15, s5
	s_lshl_b64 s[6:7], s[26:27], 3
	s_add_u32 s12, s9, s6
	s_mul_i32 s9, s8, -12
	s_addc_u32 s13, s10, s7
	s_add_i32 s43, s43, -1
	s_add_i32 s9, s9, s19
	s_cmp_ge_u32 s8, s43
	s_mul_i32 s8, s8, 12
	s_mul_hi_i32 s11, s28, s8
	s_mul_i32 s10, s28, s8
	s_cselect_b32 s17, s9, 12
	s_ashr_i32 s9, s8, 31
	s_lshl_b64 s[10:11], s[10:11], 3
	s_add_u32 s19, s12, s10
	s_addc_u32 s26, s13, s11
	s_cmp_gt_i32 s18, 0
	v_cmp_gt_i32_e32 vcc, s17, v0
	s_cselect_b64 s[10:11], -1, 0
	s_and_b64 s[10:11], vcc, s[10:11]
	s_and_saveexec_b64 s[12:13], s[10:11]
	s_cbranch_execz .LBB145_43
; %bb.36:
	s_cmp_lt_i32 s18, 8
	s_cbranch_scc1 .LBB145_40
; %bb.37:
	v_mad_i64_i32 v[2:3], s[20:21], s28, v0, 0
	v_lshlrev_b64 v[2:3], 3, v[2:3]
	v_mov_b32_e32 v4, s26
	v_add_co_u32_e32 v1, vcc, s19, v2
	v_addc_co_u32_e32 v2, vcc, v4, v3, vcc
	v_mov_b32_e32 v3, 0x480
	s_lshl_b32 s17, s33, 3
	v_lshl_or_b32 v3, v0, 3, v3
	s_and_b32 s17, s17, 64
	s_mov_b64 s[20:21], 0
.LBB145_38:                             ; =>This Inner Loop Header: Depth=1
	v_mov_b32_e32 v4, s21
	v_add_co_u32_e32 v20, vcc, s20, v1
	v_addc_co_u32_e32 v21, vcc, v2, v4, vcc
	global_load_dwordx4 v[4:7], v[20:21], off
	global_load_dwordx4 v[8:11], v[20:21], off offset:16
	global_load_dwordx4 v[12:15], v[20:21], off offset:32
	;; [unrolled: 1-line block ×3, first 2 shown]
	s_add_u32 s20, s20, 64
	s_addc_u32 s21, s21, 0
	s_cmp_lg_u32 s17, s20
	s_waitcnt vmcnt(3)
	v_mul_f32_e32 v20, s25, v5
	v_mul_f32_e32 v21, s24, v5
	v_mul_f32_e32 v22, s25, v7
	v_mul_f32_e32 v5, s24, v7
	s_waitcnt vmcnt(2)
	v_mul_f32_e32 v23, s25, v9
	v_mul_f32_e32 v7, s24, v9
	v_mul_f32_e32 v24, s25, v11
	v_mul_f32_e32 v9, s24, v11
	;; [unrolled: 5-line block ×4, first 2 shown]
	v_fma_f32 v20, s24, v4, -v20
	v_fmac_f32_e32 v21, s25, v4
	v_fma_f32 v4, s24, v6, -v22
	v_fmac_f32_e32 v5, s25, v6
	;; [unrolled: 2-line block ×8, first 2 shown]
	ds_write2_b64 v3, v[20:21], v[4:5] offset1:12
	ds_write2_b64 v3, v[6:7], v[8:9] offset0:24 offset1:36
	ds_write2_b64 v3, v[10:11], v[12:13] offset0:48 offset1:60
	;; [unrolled: 1-line block ×3, first 2 shown]
	v_add_u32_e32 v3, 0x300, v3
	s_cbranch_scc1 .LBB145_38
; %bb.39:
	s_mov_b32 s20, 8
.LBB145_40:
	s_and_b32 s17, s33, 7
	s_cmp_eq_u32 s17, 0
	s_cbranch_scc1 .LBB145_43
; %bb.41:
	s_mul_i32 s21, s20, 0x60
	s_lshl_b64 s[22:23], s[8:9], 3
	s_lshl_b32 s20, s20, 3
	s_add_u32 s20, s14, s20
	v_lshl_add_u32 v1, v0, 3, s21
	s_addc_u32 s21, s15, 0
	s_add_u32 s20, s20, s6
	s_addc_u32 s21, s21, s7
	v_lshlrev_b32_e32 v2, 3, v0
	s_add_u32 s20, s20, s4
	v_mov_b32_e32 v3, s23
	v_add_co_u32_e32 v4, vcc, s22, v2
	s_addc_u32 s21, s21, s5
	v_addc_co_u32_e32 v5, vcc, 0, v3, vcc
	v_pk_mov_b32 v[2:3], s[20:21], s[20:21] op_sel:[0,1]
	v_mad_u64_u32 v[2:3], s[20:21], v4, s28, v[2:3]
	v_mul_lo_u32 v4, v4, s29
	v_mul_lo_u32 v5, v5, s28
	v_add3_u32 v3, v5, v3, v4
	v_add_co_u32_e32 v2, vcc, 4, v2
	v_add_u32_e32 v1, 0x480, v1
	v_addc_co_u32_e32 v3, vcc, 0, v3, vcc
.LBB145_42:                             ; =>This Inner Loop Header: Depth=1
	global_load_dwordx2 v[4:5], v[2:3], off offset:-4
	v_add_co_u32_e32 v2, vcc, 8, v2
	s_add_i32 s17, s17, -1
	v_addc_co_u32_e32 v3, vcc, 0, v3, vcc
	s_cmp_lg_u32 s17, 0
	s_waitcnt vmcnt(0)
	v_mul_f32_e32 v6, s25, v5
	v_mul_f32_e32 v7, s24, v5
	v_fma_f32 v6, s24, v4, -v6
	v_fmac_f32_e32 v7, s25, v4
	ds_write_b64 v1, v[6:7]
	v_add_u32_e32 v1, 0x60, v1
	s_cbranch_scc1 .LBB145_42
.LBB145_43:
	s_or_b64 exec, exec, s[12:13]
	s_cmpk_eq_i32 s16, 0x6f
	s_mov_b64 s[12:13], -1
	s_waitcnt lgkmcnt(0)
	; wave barrier
	s_waitcnt lgkmcnt(0)
	s_cbranch_scc1 .LBB145_72
; %bb.44:
	v_mov_b32_e32 v1, 0x480
	s_lshl_b32 s27, s33, 3
	s_mov_b32 s13, 0
	v_lshl_or_b32 v1, v0, 3, v1
	s_add_i32 s27, s27, -8
	v_mov_b32_e32 v10, 0
	s_mov_b32 s12, s13
	s_mov_b32 s30, s42
	s_branch .LBB145_46
.LBB145_45:                             ;   in Loop: Header=BB145_46 Depth=1
	s_cmp_lt_i32 s30, 0
	s_cselect_b64 s[16:17], -1, 0
	s_add_i32 s12, s12, 1
	s_cmp_eq_u32 s12, 3
	s_cselect_b64 s[20:21], -1, 0
	s_or_b64 s[16:17], s[16:17], s[20:21]
	s_andn2_b64 vcc, exec, s[16:17]
	s_cbranch_vccz .LBB145_71
.LBB145_46:                             ; =>This Loop Header: Depth=1
                                        ;     Child Loop BB145_49 Depth 2
                                        ;       Child Loop BB145_50 Depth 3
                                        ;       Child Loop BB145_54 Depth 3
                                        ;         Child Loop BB145_56 Depth 4
                                        ;         Child Loop BB145_62 Depth 4
                                        ;       Child Loop BB145_65 Depth 3
                                        ;         Child Loop BB145_67 Depth 4
	s_lshl_b64 s[16:17], s[12:13], 2
	s_getpc_b64 s[20:21]
	s_add_u32 s20, s20, __const._ZL38rocblas_trsm_small_left_device_sharedBILi12ELi12ELb1E19rocblas_complex_numIfES1_PKS1_PS1_Ev13rocblas_fill_18rocblas_operation_17rocblas_diagonal_iiT3_T4_lilT5_lili.step_sizes@rel32@lo+4
	s_addc_u32 s21, s21, __const._ZL38rocblas_trsm_small_left_device_sharedBILi12ELi12ELb1E19rocblas_complex_numIfES1_PKS1_PS1_Ev13rocblas_fill_18rocblas_operation_17rocblas_diagonal_iiT3_T4_lilT5_lili.step_sizes@rel32@hi+12
	s_add_u32 s16, s16, s20
	s_addc_u32 s17, s17, s21
	s_load_dword s31, s[16:17], 0x0
	s_waitcnt lgkmcnt(0)
	s_add_i32 s34, s31, -1
	s_cmp_lt_i32 s30, s34
	s_cbranch_scc1 .LBB145_45
; %bb.47:                               ;   in Loop: Header=BB145_46 Depth=1
	s_max_i32 s35, s31, 1
	s_cmp_lg_u32 s12, 2
	s_cselect_b64 s[16:17], -1, 0
	s_and_b32 s36, s35, 0x7ffffffe
	s_cmp_lg_u32 s35, s36
	s_mul_i32 s22, s30, 0x60
	s_cselect_b64 s[20:21], -1, 0
	v_add_u32_e32 v11, s22, v1
	s_mul_i32 s37, s31, 0xffffffa0
	s_add_i32 s38, s27, s22
	s_mul_i32 s39, s30, 0x68
	s_mul_i32 s40, s31, 0xffffff98
	s_branch .LBB145_49
.LBB145_48:                             ;   in Loop: Header=BB145_49 Depth=2
	s_sub_i32 s30, s30, s31
	s_add_i32 s38, s38, s37
	s_add_i32 s39, s39, s40
	s_cmp_lt_i32 s30, s34
	v_add_u32_e32 v11, s37, v11
	s_cbranch_scc1 .LBB145_45
.LBB145_49:                             ;   Parent Loop BB145_46 Depth=1
                                        ; =>  This Loop Header: Depth=2
                                        ;       Child Loop BB145_50 Depth 3
                                        ;       Child Loop BB145_54 Depth 3
                                        ;         Child Loop BB145_56 Depth 4
                                        ;         Child Loop BB145_62 Depth 4
                                        ;       Child Loop BB145_65 Depth 3
                                        ;         Child Loop BB145_67 Depth 4
	v_mov_b32_e32 v2, 0
	v_mov_b32_e32 v3, v11
	s_mov_b32 s22, s35
.LBB145_50:                             ;   Parent Loop BB145_46 Depth=1
                                        ;     Parent Loop BB145_49 Depth=2
                                        ; =>    This Inner Loop Header: Depth=3
	ds_read_b64 v[4:5], v3
	s_add_i32 s22, s22, -1
	v_add_u32_e32 v3, 0xffffffa0, v3
	s_cmp_eq_u32 s22, 0
	s_waitcnt lgkmcnt(0)
	buffer_store_dword v5, v2, s[0:3], 0 offen offset:4
	buffer_store_dword v4, v2, s[0:3], 0 offen
	v_add_u32_e32 v2, 8, v2
	s_cbranch_scc0 .LBB145_50
; %bb.51:                               ;   in Loop: Header=BB145_49 Depth=2
	s_cmp_le_i32 s42, s30
	s_cbranch_scc1 .LBB145_63
; %bb.52:                               ;   in Loop: Header=BB145_49 Depth=2
	s_mov_b32 s41, s30
	s_mov_b32 s43, s38
	;; [unrolled: 1-line block ×3, first 2 shown]
	s_branch .LBB145_54
.LBB145_53:                             ;   in Loop: Header=BB145_54 Depth=3
	s_add_i32 s44, s44, -1
	s_add_i32 s43, s43, -8
	s_cmp_le_i32 s44, s30
	s_cbranch_scc1 .LBB145_63
.LBB145_54:                             ;   Parent Loop BB145_46 Depth=1
                                        ;     Parent Loop BB145_49 Depth=2
                                        ; =>    This Loop Header: Depth=3
                                        ;         Child Loop BB145_56 Depth 4
                                        ;         Child Loop BB145_62 Depth 4
	s_mul_i32 s22, s44, 12
	s_waitcnt lgkmcnt(0)
	v_add_lshl_u32 v2, s22, v0, 3
	ds_read_b64 v[2:3], v2 offset:1152
	s_and_b64 vcc, exec, s[16:17]
	s_cbranch_vccz .LBB145_58
; %bb.55:                               ;   in Loop: Header=BB145_54 Depth=3
	s_mov_b32 s22, s44
	s_waitcnt lgkmcnt(0)
	v_mov_b32_e32 v6, v2
	v_mov_b32_e32 v7, v2
	;; [unrolled: 1-line block ×6, first 2 shown]
	s_mov_b32 s23, 1
	s_mov_b32 s24, 0
	s_mov_b32 s25, s36
.LBB145_56:                             ;   Parent Loop BB145_46 Depth=1
                                        ;     Parent Loop BB145_49 Depth=2
                                        ;       Parent Loop BB145_54 Depth=3
                                        ; =>      This Inner Loop Header: Depth=4
	buffer_load_dword v12, v5, s[0:3], 0 offen
	buffer_load_dword v14, v5, s[0:3], 0 offen offset:4
	buffer_load_dword v13, v5, s[0:3], 0 offen offset:8
	buffer_load_dword v15, v5, s[0:3], 0 offen offset:12
	s_sub_i32 s45, s41, s23
	s_sub_i32 s46, s30, s24
	s_mul_i32 s46, s46, 12
	s_mul_i32 s45, s45, 12
	s_add_i32 s45, s45, s22
	s_add_i32 s46, s46, s44
	s_lshl_b32 s46, s46, 3
	s_lshl_b32 s45, s45, 3
	v_mov_b32_e32 v16, s46
	v_mov_b32_e32 v18, s45
	ds_read_b64 v[16:17], v16
	ds_read_b64 v[18:19], v18
	s_add_i32 s24, s24, 2
	s_add_i32 s23, s23, 2
	s_add_i32 s25, s25, -2
	s_waitcnt lgkmcnt(1)
	v_mov_b32_e32 v20, v16
	s_waitcnt lgkmcnt(0)
	v_mov_b32_e32 v21, v18
	v_mov_b32_e32 v18, v17
	v_pk_mul_f32 v[16:17], v[18:19], v[8:9]
	v_pk_mul_f32 v[18:19], v[18:19], v[6:7]
	v_pk_fma_f32 v[16:17], v[20:21], v[6:7], v[16:17] neg_lo:[0,0,1] neg_hi:[0,0,1]
	v_pk_fma_f32 v[18:19], v[20:21], v[8:9], v[18:19]
	s_cmp_lg_u32 s25, 0
	s_waitcnt vmcnt(1)
	v_pk_add_f32 v[12:13], v[12:13], v[16:17] neg_lo:[0,1] neg_hi:[0,1]
	s_waitcnt vmcnt(0)
	v_pk_add_f32 v[14:15], v[14:15], v[18:19] neg_lo:[0,1] neg_hi:[0,1]
	buffer_store_dword v12, v5, s[0:3], 0 offen
	buffer_store_dword v14, v5, s[0:3], 0 offen offset:4
	buffer_store_dword v13, v5, s[0:3], 0 offen offset:8
	;; [unrolled: 1-line block ×3, first 2 shown]
	v_add_u32_e32 v5, 16, v5
	s_cbranch_scc1 .LBB145_56
; %bb.57:                               ;   in Loop: Header=BB145_54 Depth=3
	s_mov_b64 s[22:23], s[20:21]
	s_mov_b32 s24, s36
	s_branch .LBB145_60
.LBB145_58:                             ;   in Loop: Header=BB145_54 Depth=3
	s_mov_b64 s[22:23], 0
                                        ; implicit-def: $vgpr4_vgpr5
	s_mov_b32 s24, s36
	s_cbranch_execz .LBB145_60
; %bb.59:                               ;   in Loop: Header=BB145_54 Depth=3
	s_waitcnt lgkmcnt(0)
	v_mov_b32_e32 v4, v3
	s_mov_b64 s[22:23], -1
	s_mov_b32 s24, 0
.LBB145_60:                             ;   in Loop: Header=BB145_54 Depth=3
	s_andn2_b64 vcc, exec, s[22:23]
	s_cbranch_vccnz .LBB145_53
; %bb.61:                               ;   in Loop: Header=BB145_54 Depth=3
	s_sub_i32 s22, s35, s24
	s_mul_i32 s23, s24, 0xffffffa0
	s_lshl_b32 s24, s24, 3
	s_waitcnt lgkmcnt(0)
	v_mov_b32_e32 v5, v3
	v_mov_b32_e32 v3, v2
	s_add_i32 s23, s43, s23
	v_add_u32_e32 v6, s24, v10
.LBB145_62:                             ;   Parent Loop BB145_46 Depth=1
                                        ;     Parent Loop BB145_49 Depth=2
                                        ;       Parent Loop BB145_54 Depth=3
                                        ; =>      This Inner Loop Header: Depth=4
	buffer_load_dword v8, v6, s[0:3], 0 offen
	buffer_load_dword v9, v6, s[0:3], 0 offen offset:4
	v_mov_b32_e32 v7, s23
	ds_read_b64 v[12:13], v7
	s_add_i32 s22, s22, -1
	s_addk_i32 s23, 0xffa0
	s_cmp_eq_u32 s22, 0
	s_waitcnt lgkmcnt(0)
	v_pk_mul_f32 v[14:15], v[12:13], v[4:5]
	v_pk_fma_f32 v[16:17], v[12:13], v[2:3], v[14:15] op_sel:[0,0,1] op_sel_hi:[1,1,0] neg_lo:[0,0,1] neg_hi:[0,0,1]
	v_pk_fma_f32 v[12:13], v[12:13], v[2:3], v[14:15] op_sel:[0,0,1] op_sel_hi:[1,1,0]
	v_mov_b32_e32 v17, v13
	s_waitcnt vmcnt(0)
	v_pk_add_f32 v[8:9], v[8:9], v[16:17] neg_lo:[0,1] neg_hi:[0,1]
	buffer_store_dword v8, v6, s[0:3], 0 offen
	buffer_store_dword v9, v6, s[0:3], 0 offen offset:4
	v_add_u32_e32 v6, 8, v6
	s_cbranch_scc0 .LBB145_62
	s_branch .LBB145_53
.LBB145_63:                             ;   in Loop: Header=BB145_49 Depth=2
	s_mul_i32 s24, s30, 12
	s_mov_b32 s25, 0
	s_mov_b32 s41, s39
	s_branch .LBB145_65
.LBB145_64:                             ;   in Loop: Header=BB145_65 Depth=3
	s_mul_i32 s22, s44, 0x68
	v_mov_b32_e32 v4, s22
	ds_read_b64 v[4:5], v4
	s_lshl_b32 s22, s25, 3
	s_add_i32 s25, s25, 1
	s_addk_i32 s41, 0xffa0
	v_add_u32_e32 v8, s22, v10
	s_waitcnt vmcnt(0) lgkmcnt(0)
	v_mul_f32_e32 v6, v5, v3
	v_mul_f32_e32 v7, v4, v3
	v_fma_f32 v6, v4, v2, -v6
	v_fmac_f32_e32 v7, v5, v2
	v_add_lshl_u32 v2, s43, v0, 3
	s_cmp_eq_u32 s25, s35
	buffer_store_dword v6, v8, s[0:3], 0 offen
	buffer_store_dword v7, v8, s[0:3], 0 offen offset:4
	ds_write_b64 v2, v[6:7] offset:1152
	s_cbranch_scc1 .LBB145_48
.LBB145_65:                             ;   Parent Loop BB145_46 Depth=1
                                        ;     Parent Loop BB145_49 Depth=2
                                        ; =>    This Loop Header: Depth=3
                                        ;         Child Loop BB145_67 Depth 4
	s_cmp_lg_u32 s25, 0
	s_cbranch_scc0 .LBB145_69
; %bb.66:                               ;   in Loop: Header=BB145_65 Depth=3
	s_lshl_b32 s22, s25, 3
	v_add_u32_e32 v4, s22, v10
	s_waitcnt lgkmcnt(0)
	buffer_load_dword v2, v4, s[0:3], 0 offen
	buffer_load_dword v3, v4, s[0:3], 0 offen offset:4
	v_mov_b32_e32 v5, 0
	s_mov_b32 s22, 0
	s_mov_b32 s23, s41
.LBB145_67:                             ;   Parent Loop BB145_46 Depth=1
                                        ;     Parent Loop BB145_49 Depth=2
                                        ;       Parent Loop BB145_65 Depth=3
                                        ; =>      This Inner Loop Header: Depth=4
	buffer_load_dword v7, v5, s[0:3], 0 offen offset:4
	buffer_load_dword v6, v5, s[0:3], 0 offen
	v_mov_b32_e32 v8, s23
	ds_read_b64 v[8:9], v8
	s_add_i32 s22, s22, 1
	s_add_i32 s23, s23, -8
	v_add_u32_e32 v5, 8, v5
	s_cmp_ge_u32 s22, s25
	s_waitcnt vmcnt(1)
	v_mov_b32_e32 v12, v7
	s_waitcnt lgkmcnt(0)
	v_pk_mul_f32 v[12:13], v[8:9], v[12:13] op_sel_hi:[1,0]
	s_waitcnt vmcnt(0)
	v_pk_fma_f32 v[14:15], v[8:9], v[6:7], v[12:13] op_sel:[0,0,1] op_sel_hi:[1,1,0] neg_lo:[0,0,1] neg_hi:[0,0,1]
	v_pk_fma_f32 v[6:7], v[8:9], v[6:7], v[12:13] op_sel:[0,0,1] op_sel_hi:[1,0,0]
	v_mov_b32_e32 v15, v7
	v_pk_add_f32 v[2:3], v[2:3], v[14:15] neg_lo:[0,1] neg_hi:[0,1]
	buffer_store_dword v2, v4, s[0:3], 0 offen
	buffer_store_dword v3, v4, s[0:3], 0 offen offset:4
	s_cbranch_scc0 .LBB145_67
; %bb.68:                               ;   in Loop: Header=BB145_65 Depth=3
	s_sub_i32 s44, s30, s25
	s_mul_i32 s43, s44, 12
	s_branch .LBB145_64
.LBB145_69:                             ;   in Loop: Header=BB145_65 Depth=3
                                        ; implicit-def: $vgpr2
                                        ; implicit-def: $sgpr44
                                        ; implicit-def: $sgpr43
	s_cbranch_execz .LBB145_64
; %bb.70:                               ;   in Loop: Header=BB145_65 Depth=3
	s_waitcnt lgkmcnt(0)
	buffer_load_dword v2, off, s[0:3], 0
	buffer_load_dword v3, off, s[0:3], 0 offset:4
	s_mov_b32 s43, s24
	s_mov_b32 s44, s30
	s_branch .LBB145_64
.LBB145_71:
	s_mov_b64 s[12:13], 0
.LBB145_72:
	s_and_b64 vcc, exec, s[12:13]
	s_cbranch_vccz .LBB145_100
; %bb.73:
	v_mov_b32_e32 v1, 0x480
	s_mov_b32 s13, 0
	v_lshl_or_b32 v1, v0, 3, v1
	v_mov_b32_e32 v10, 0
	s_mov_b32 s12, s13
	s_mov_b32 s27, s13
	s_branch .LBB145_75
.LBB145_74:                             ;   in Loop: Header=BB145_75 Depth=1
	s_cmp_ge_i32 s27, s33
	s_cselect_b64 s[16:17], -1, 0
	s_add_i32 s12, s12, 1
	s_cmp_eq_u32 s12, 3
	s_cselect_b64 s[20:21], -1, 0
	s_or_b64 s[16:17], s[16:17], s[20:21]
	s_and_b64 vcc, exec, s[16:17]
	s_cbranch_vccnz .LBB145_100
.LBB145_75:                             ; =>This Loop Header: Depth=1
                                        ;     Child Loop BB145_78 Depth 2
                                        ;       Child Loop BB145_79 Depth 3
                                        ;       Child Loop BB145_83 Depth 3
                                        ;         Child Loop BB145_85 Depth 4
                                        ;         Child Loop BB145_91 Depth 4
                                        ;       Child Loop BB145_94 Depth 3
                                        ;         Child Loop BB145_96 Depth 4
	s_lshl_b64 s[16:17], s[12:13], 2
	s_getpc_b64 s[20:21]
	s_add_u32 s20, s20, __const._ZL38rocblas_trsm_small_left_device_sharedBILi12ELi12ELb1E19rocblas_complex_numIfES1_PKS1_PS1_Ev13rocblas_fill_18rocblas_operation_17rocblas_diagonal_iiT3_T4_lilT5_lili.step_sizes@rel32@lo+4
	s_addc_u32 s21, s21, __const._ZL38rocblas_trsm_small_left_device_sharedBILi12ELi12ELb1E19rocblas_complex_numIfES1_PKS1_PS1_Ev13rocblas_fill_18rocblas_operation_17rocblas_diagonal_iiT3_T4_lilT5_lili.step_sizes@rel32@hi+12
	s_add_u32 s16, s16, s20
	s_addc_u32 s17, s17, s21
	s_load_dword s30, s[16:17], 0x0
	s_waitcnt lgkmcnt(0)
	s_add_i32 s31, s30, -1
	s_add_i32 s16, s31, s27
	s_cmp_ge_i32 s16, s33
	s_cbranch_scc1 .LBB145_74
; %bb.76:                               ;   in Loop: Header=BB145_75 Depth=1
	s_max_i32 s34, s30, 1
	s_cmp_lg_u32 s12, 2
	s_cselect_b64 s[16:17], -1, 0
	s_and_b32 s35, s34, 0x7ffffffe
	s_cmp_lg_u32 s34, s35
	s_mul_i32 s22, s27, 0x60
	s_cselect_b64 s[20:21], -1, 0
	v_add_u32_e32 v11, s22, v1
	s_mul_i32 s36, s30, 0x60
	s_mul_i32 s37, s27, 0x68
	;; [unrolled: 1-line block ×3, first 2 shown]
	s_branch .LBB145_78
.LBB145_77:                             ;   in Loop: Header=BB145_78 Depth=2
	s_add_i32 s27, s27, s30
	s_add_i32 s22, s31, s27
	s_add_i32 s37, s37, s38
	s_cmp_ge_i32 s22, s33
	v_add_u32_e32 v11, s36, v11
	s_cbranch_scc1 .LBB145_74
.LBB145_78:                             ;   Parent Loop BB145_75 Depth=1
                                        ; =>  This Loop Header: Depth=2
                                        ;       Child Loop BB145_79 Depth 3
                                        ;       Child Loop BB145_83 Depth 3
                                        ;         Child Loop BB145_85 Depth 4
                                        ;         Child Loop BB145_91 Depth 4
                                        ;       Child Loop BB145_94 Depth 3
                                        ;         Child Loop BB145_96 Depth 4
	v_mov_b32_e32 v2, 0
	v_mov_b32_e32 v3, v11
	s_mov_b32 s22, s34
.LBB145_79:                             ;   Parent Loop BB145_75 Depth=1
                                        ;     Parent Loop BB145_78 Depth=2
                                        ; =>    This Inner Loop Header: Depth=3
	ds_read_b64 v[4:5], v3
	s_add_i32 s22, s22, -1
	v_add_u32_e32 v3, 0x60, v3
	s_cmp_eq_u32 s22, 0
	s_waitcnt lgkmcnt(0)
	buffer_store_dword v5, v2, s[0:3], 0 offen offset:4
	buffer_store_dword v4, v2, s[0:3], 0 offen
	v_add_u32_e32 v2, 8, v2
	s_cbranch_scc0 .LBB145_79
; %bb.80:                               ;   in Loop: Header=BB145_78 Depth=2
	s_cmp_lt_i32 s27, 1
	s_cbranch_scc1 .LBB145_92
; %bb.81:                               ;   in Loop: Header=BB145_78 Depth=2
	s_mov_b32 s39, 0
	s_mov_b32 s40, s27
	s_branch .LBB145_83
.LBB145_82:                             ;   in Loop: Header=BB145_83 Depth=3
	s_add_i32 s39, s39, 1
	s_add_i32 s40, s40, 12
	s_cmp_ge_i32 s39, s27
	s_cbranch_scc1 .LBB145_92
.LBB145_83:                             ;   Parent Loop BB145_75 Depth=1
                                        ;     Parent Loop BB145_78 Depth=2
                                        ; =>    This Loop Header: Depth=3
                                        ;         Child Loop BB145_85 Depth 4
                                        ;         Child Loop BB145_91 Depth 4
	s_mul_i32 s22, s39, 12
	s_waitcnt lgkmcnt(0)
	v_add_lshl_u32 v2, s22, v0, 3
	ds_read_b64 v[2:3], v2 offset:1152
	s_and_b64 vcc, exec, s[16:17]
	s_cbranch_vccz .LBB145_87
; %bb.84:                               ;   in Loop: Header=BB145_83 Depth=3
	s_add_i32 s22, s22, s27
	s_mov_b32 s23, s22
	s_waitcnt lgkmcnt(0)
	v_mov_b32_e32 v6, v2
	v_mov_b32_e32 v7, v2
	;; [unrolled: 1-line block ×6, first 2 shown]
	s_mov_b32 s24, 1
	s_mov_b32 s25, 0
	;; [unrolled: 1-line block ×3, first 2 shown]
.LBB145_85:                             ;   Parent Loop BB145_75 Depth=1
                                        ;     Parent Loop BB145_78 Depth=2
                                        ;       Parent Loop BB145_83 Depth=3
                                        ; =>      This Inner Loop Header: Depth=4
	buffer_load_dword v12, v5, s[0:3], 0 offen
	buffer_load_dword v14, v5, s[0:3], 0 offen offset:4
	buffer_load_dword v13, v5, s[0:3], 0 offen offset:8
	;; [unrolled: 1-line block ×3, first 2 shown]
	s_add_i32 s42, s23, s24
	s_add_i32 s43, s22, s25
	s_lshl_b32 s43, s43, 3
	s_lshl_b32 s42, s42, 3
	v_mov_b32_e32 v16, s43
	v_mov_b32_e32 v18, s42
	ds_read_b64 v[16:17], v16
	ds_read_b64 v[18:19], v18
	s_add_i32 s25, s25, 2
	s_add_i32 s24, s24, 2
	s_add_i32 s41, s41, -2
	s_waitcnt lgkmcnt(1)
	v_mov_b32_e32 v20, v16
	s_waitcnt lgkmcnt(0)
	v_mov_b32_e32 v21, v18
	v_mov_b32_e32 v18, v17
	v_pk_mul_f32 v[16:17], v[18:19], v[8:9]
	v_pk_mul_f32 v[18:19], v[18:19], v[6:7]
	v_pk_fma_f32 v[16:17], v[20:21], v[6:7], v[16:17] neg_lo:[0,0,1] neg_hi:[0,0,1]
	v_pk_fma_f32 v[18:19], v[20:21], v[8:9], v[18:19]
	s_cmp_lg_u32 s41, 0
	s_waitcnt vmcnt(1)
	v_pk_add_f32 v[12:13], v[12:13], v[16:17] neg_lo:[0,1] neg_hi:[0,1]
	s_waitcnt vmcnt(0)
	v_pk_add_f32 v[14:15], v[14:15], v[18:19] neg_lo:[0,1] neg_hi:[0,1]
	buffer_store_dword v12, v5, s[0:3], 0 offen
	buffer_store_dword v14, v5, s[0:3], 0 offen offset:4
	buffer_store_dword v13, v5, s[0:3], 0 offen offset:8
	;; [unrolled: 1-line block ×3, first 2 shown]
	v_add_u32_e32 v5, 16, v5
	s_cbranch_scc1 .LBB145_85
; %bb.86:                               ;   in Loop: Header=BB145_83 Depth=3
	s_mov_b64 s[22:23], s[20:21]
	s_mov_b32 s24, s35
	s_branch .LBB145_89
.LBB145_87:                             ;   in Loop: Header=BB145_83 Depth=3
	s_mov_b64 s[22:23], 0
                                        ; implicit-def: $vgpr4_vgpr5
	s_mov_b32 s24, s35
	s_cbranch_execz .LBB145_89
; %bb.88:                               ;   in Loop: Header=BB145_83 Depth=3
	s_waitcnt lgkmcnt(0)
	v_mov_b32_e32 v4, v3
	s_mov_b64 s[22:23], -1
	s_mov_b32 s24, 0
.LBB145_89:                             ;   in Loop: Header=BB145_83 Depth=3
	s_andn2_b64 vcc, exec, s[22:23]
	s_cbranch_vccnz .LBB145_82
; %bb.90:                               ;   in Loop: Header=BB145_83 Depth=3
	s_sub_i32 s22, s34, s24
	s_add_i32 s23, s24, s40
	s_lshl_b32 s24, s24, 3
	s_waitcnt lgkmcnt(0)
	v_mov_b32_e32 v5, v3
	v_mov_b32_e32 v3, v2
	s_lshl_b32 s23, s23, 3
	v_add_u32_e32 v6, s24, v10
.LBB145_91:                             ;   Parent Loop BB145_75 Depth=1
                                        ;     Parent Loop BB145_78 Depth=2
                                        ;       Parent Loop BB145_83 Depth=3
                                        ; =>      This Inner Loop Header: Depth=4
	buffer_load_dword v8, v6, s[0:3], 0 offen
	buffer_load_dword v9, v6, s[0:3], 0 offen offset:4
	v_mov_b32_e32 v7, s23
	ds_read_b64 v[12:13], v7
	s_add_i32 s22, s22, -1
	s_add_i32 s23, s23, 8
	s_cmp_eq_u32 s22, 0
	s_waitcnt lgkmcnt(0)
	v_pk_mul_f32 v[14:15], v[12:13], v[4:5]
	v_pk_fma_f32 v[16:17], v[12:13], v[2:3], v[14:15] op_sel:[0,0,1] op_sel_hi:[1,1,0] neg_lo:[0,0,1] neg_hi:[0,0,1]
	v_pk_fma_f32 v[12:13], v[12:13], v[2:3], v[14:15] op_sel:[0,0,1] op_sel_hi:[1,1,0]
	v_mov_b32_e32 v17, v13
	s_waitcnt vmcnt(0)
	v_pk_add_f32 v[8:9], v[8:9], v[16:17] neg_lo:[0,1] neg_hi:[0,1]
	buffer_store_dword v8, v6, s[0:3], 0 offen
	buffer_store_dword v9, v6, s[0:3], 0 offen offset:4
	v_add_u32_e32 v6, 8, v6
	s_cbranch_scc0 .LBB145_91
	s_branch .LBB145_82
.LBB145_92:                             ;   in Loop: Header=BB145_78 Depth=2
	s_mov_b32 s24, 0
	s_mov_b32 s25, s37
	s_branch .LBB145_94
.LBB145_93:                             ;   in Loop: Header=BB145_94 Depth=3
	s_mul_i32 s22, s39, 0x68
	v_mov_b32_e32 v4, s22
	ds_read_b64 v[4:5], v4
	s_mul_i32 s22, s39, 12
	s_lshl_b32 s23, s24, 3
	s_add_i32 s24, s24, 1
	s_add_i32 s25, s25, 8
	s_waitcnt vmcnt(0) lgkmcnt(0)
	v_mul_f32_e32 v6, v5, v3
	v_mul_f32_e32 v7, v4, v3
	v_add_u32_e32 v8, s23, v10
	v_fma_f32 v6, v4, v2, -v6
	v_fmac_f32_e32 v7, v5, v2
	v_add_lshl_u32 v2, s22, v0, 3
	s_cmp_eq_u32 s24, s34
	buffer_store_dword v6, v8, s[0:3], 0 offen
	buffer_store_dword v7, v8, s[0:3], 0 offen offset:4
	ds_write_b64 v2, v[6:7] offset:1152
	s_cbranch_scc1 .LBB145_77
.LBB145_94:                             ;   Parent Loop BB145_75 Depth=1
                                        ;     Parent Loop BB145_78 Depth=2
                                        ; =>    This Loop Header: Depth=3
                                        ;         Child Loop BB145_96 Depth 4
	s_cmp_lg_u32 s24, 0
	s_cbranch_scc0 .LBB145_98
; %bb.95:                               ;   in Loop: Header=BB145_94 Depth=3
	s_lshl_b32 s22, s24, 3
	v_add_u32_e32 v4, s22, v10
	s_waitcnt lgkmcnt(0)
	buffer_load_dword v2, v4, s[0:3], 0 offen
	buffer_load_dword v3, v4, s[0:3], 0 offen offset:4
	v_mov_b32_e32 v5, 0
	s_mov_b32 s22, 0
	s_mov_b32 s23, s25
.LBB145_96:                             ;   Parent Loop BB145_75 Depth=1
                                        ;     Parent Loop BB145_78 Depth=2
                                        ;       Parent Loop BB145_94 Depth=3
                                        ; =>      This Inner Loop Header: Depth=4
	buffer_load_dword v7, v5, s[0:3], 0 offen offset:4
	buffer_load_dword v6, v5, s[0:3], 0 offen
	v_mov_b32_e32 v8, s23
	ds_read_b64 v[8:9], v8
	s_add_i32 s22, s22, 1
	s_addk_i32 s23, 0x60
	v_add_u32_e32 v5, 8, v5
	s_cmp_ge_u32 s22, s24
	s_waitcnt vmcnt(1)
	v_mov_b32_e32 v12, v7
	s_waitcnt lgkmcnt(0)
	v_pk_mul_f32 v[12:13], v[8:9], v[12:13] op_sel_hi:[1,0]
	s_waitcnt vmcnt(0)
	v_pk_fma_f32 v[14:15], v[8:9], v[6:7], v[12:13] op_sel:[0,0,1] op_sel_hi:[1,1,0] neg_lo:[0,0,1] neg_hi:[0,0,1]
	v_pk_fma_f32 v[6:7], v[8:9], v[6:7], v[12:13] op_sel:[0,0,1] op_sel_hi:[1,0,0]
	v_mov_b32_e32 v15, v7
	v_pk_add_f32 v[2:3], v[2:3], v[14:15] neg_lo:[0,1] neg_hi:[0,1]
	buffer_store_dword v2, v4, s[0:3], 0 offen
	buffer_store_dword v3, v4, s[0:3], 0 offen offset:4
	s_cbranch_scc0 .LBB145_96
; %bb.97:                               ;   in Loop: Header=BB145_94 Depth=3
	s_add_i32 s39, s24, s27
	s_branch .LBB145_93
.LBB145_98:                             ;   in Loop: Header=BB145_94 Depth=3
                                        ; implicit-def: $vgpr2
                                        ; implicit-def: $sgpr39
	s_cbranch_execz .LBB145_93
; %bb.99:                               ;   in Loop: Header=BB145_94 Depth=3
	s_waitcnt lgkmcnt(0)
	buffer_load_dword v2, off, s[0:3], 0
	buffer_load_dword v3, off, s[0:3], 0 offset:4
	s_mov_b32 s39, s27
	s_branch .LBB145_93
.LBB145_100:
	s_waitcnt lgkmcnt(0)
	; wave barrier
	s_waitcnt lgkmcnt(0)
	s_and_saveexec_b64 s[12:13], s[10:11]
	s_cbranch_execz .LBB145_108
; %bb.101:
	s_cmp_lt_i32 s18, 8
	s_mov_b32 s11, 0
	s_cbranch_scc1 .LBB145_105
; %bb.102:
	v_mad_i64_i32 v[2:3], s[10:11], s28, v0, 0
	v_lshlrev_b64 v[2:3], 3, v[2:3]
	v_mov_b32_e32 v4, s26
	v_add_co_u32_e32 v1, vcc, s19, v2
	v_addc_co_u32_e32 v2, vcc, v4, v3, vcc
	v_mov_b32_e32 v3, 0x480
	s_lshl_b32 s10, s33, 3
	v_lshl_or_b32 v3, v0, 3, v3
	s_and_b32 s12, s10, 64
	s_mov_b64 s[10:11], 0
.LBB145_103:                            ; =>This Inner Loop Header: Depth=1
	ds_read2_b64 v[4:7], v3 offset1:12
	ds_read2_b64 v[8:11], v3 offset0:24 offset1:36
	ds_read2_b64 v[12:15], v3 offset0:48 offset1:60
	ds_read2_b64 v[16:19], v3 offset0:72 offset1:84
	v_add_co_u32_e32 v20, vcc, s10, v1
	s_add_u32 s10, s10, 64
	v_mov_b32_e32 v21, s11
	s_addc_u32 s11, s11, 0
	v_add_u32_e32 v3, 0x300, v3
	v_addc_co_u32_e32 v21, vcc, v2, v21, vcc
	s_cmp_lg_u32 s12, s10
	s_waitcnt lgkmcnt(3)
	global_store_dwordx4 v[20:21], v[4:7], off
	s_waitcnt lgkmcnt(2)
	global_store_dwordx4 v[20:21], v[8:11], off offset:16
	s_waitcnt lgkmcnt(1)
	global_store_dwordx4 v[20:21], v[12:15], off offset:32
	;; [unrolled: 2-line block ×3, first 2 shown]
	s_cbranch_scc1 .LBB145_103
; %bb.104:
	s_mov_b32 s11, 8
.LBB145_105:
	s_and_b32 s10, s33, 7
	s_cmp_eq_u32 s10, 0
	s_cbranch_scc1 .LBB145_108
; %bb.106:
	s_lshl_b64 s[8:9], s[8:9], 3
	v_lshlrev_b32_e32 v1, 3, v0
	v_add_co_u32_e32 v1, vcc, s8, v1
	s_lshl_b32 s8, s11, 3
	s_add_u32 s8, s14, s8
	v_mov_b32_e32 v2, s9
	s_addc_u32 s9, s15, 0
	s_add_u32 s6, s8, s6
	s_addc_u32 s7, s9, s7
	s_add_u32 s4, s6, s4
	s_addc_u32 s5, s7, s5
	v_addc_co_u32_e32 v4, vcc, 0, v2, vcc
	v_pk_mov_b32 v[2:3], s[4:5], s[4:5] op_sel:[0,1]
	v_mad_u64_u32 v[2:3], s[4:5], v1, s28, v[2:3]
	s_mul_i32 s4, s11, 0x60
	v_mul_lo_u32 v1, v1, s29
	v_mul_lo_u32 v4, v4, s28
	v_lshl_add_u32 v0, v0, 3, s4
	v_add3_u32 v3, v4, v3, v1
	v_add_u32_e32 v0, 0x480, v0
.LBB145_107:                            ; =>This Inner Loop Header: Depth=1
	ds_read_b64 v[4:5], v0
	s_add_i32 s10, s10, -1
	v_add_u32_e32 v0, 0x60, v0
	s_cmp_lg_u32 s10, 0
	s_waitcnt lgkmcnt(0)
	global_store_dwordx2 v[2:3], v[4:5], off
	v_add_co_u32_e32 v2, vcc, 8, v2
	v_addc_co_u32_e32 v3, vcc, 0, v3, vcc
	s_cbranch_scc1 .LBB145_107
.LBB145_108:
	s_endpgm
	.section	.rodata,"a",@progbits
	.p2align	6, 0x0
	.amdhsa_kernel _ZL38rocblas_trsm_small_left_device_sharedBILi12ELi12ELb1E19rocblas_complex_numIfES1_PKS1_PS1_Ev13rocblas_fill_18rocblas_operation_17rocblas_diagonal_iiT3_T4_lilT5_lili
		.amdhsa_group_segment_fixed_size 2304
		.amdhsa_private_segment_fixed_size 112
		.amdhsa_kernarg_size 360
		.amdhsa_user_sgpr_count 8
		.amdhsa_user_sgpr_private_segment_buffer 1
		.amdhsa_user_sgpr_dispatch_ptr 0
		.amdhsa_user_sgpr_queue_ptr 0
		.amdhsa_user_sgpr_kernarg_segment_ptr 1
		.amdhsa_user_sgpr_dispatch_id 0
		.amdhsa_user_sgpr_flat_scratch_init 1
		.amdhsa_user_sgpr_kernarg_preload_length 0
		.amdhsa_user_sgpr_kernarg_preload_offset 0
		.amdhsa_user_sgpr_private_segment_size 0
		.amdhsa_uses_dynamic_stack 0
		.amdhsa_system_sgpr_private_segment_wavefront_offset 1
		.amdhsa_system_sgpr_workgroup_id_x 1
		.amdhsa_system_sgpr_workgroup_id_y 0
		.amdhsa_system_sgpr_workgroup_id_z 1
		.amdhsa_system_sgpr_workgroup_info 0
		.amdhsa_system_vgpr_workitem_id 0
		.amdhsa_next_free_vgpr 29
		.amdhsa_next_free_sgpr 47
		.amdhsa_accum_offset 32
		.amdhsa_reserve_vcc 1
		.amdhsa_reserve_flat_scratch 0
		.amdhsa_float_round_mode_32 0
		.amdhsa_float_round_mode_16_64 0
		.amdhsa_float_denorm_mode_32 3
		.amdhsa_float_denorm_mode_16_64 3
		.amdhsa_dx10_clamp 1
		.amdhsa_ieee_mode 1
		.amdhsa_fp16_overflow 0
		.amdhsa_tg_split 0
		.amdhsa_exception_fp_ieee_invalid_op 0
		.amdhsa_exception_fp_denorm_src 0
		.amdhsa_exception_fp_ieee_div_zero 0
		.amdhsa_exception_fp_ieee_overflow 0
		.amdhsa_exception_fp_ieee_underflow 0
		.amdhsa_exception_fp_ieee_inexact 0
		.amdhsa_exception_int_div_zero 0
	.end_amdhsa_kernel
	.section	.text._ZL38rocblas_trsm_small_left_device_sharedBILi12ELi12ELb1E19rocblas_complex_numIfES1_PKS1_PS1_Ev13rocblas_fill_18rocblas_operation_17rocblas_diagonal_iiT3_T4_lilT5_lili,"axG",@progbits,_ZL38rocblas_trsm_small_left_device_sharedBILi12ELi12ELb1E19rocblas_complex_numIfES1_PKS1_PS1_Ev13rocblas_fill_18rocblas_operation_17rocblas_diagonal_iiT3_T4_lilT5_lili,comdat
.Lfunc_end145:
	.size	_ZL38rocblas_trsm_small_left_device_sharedBILi12ELi12ELb1E19rocblas_complex_numIfES1_PKS1_PS1_Ev13rocblas_fill_18rocblas_operation_17rocblas_diagonal_iiT3_T4_lilT5_lili, .Lfunc_end145-_ZL38rocblas_trsm_small_left_device_sharedBILi12ELi12ELb1E19rocblas_complex_numIfES1_PKS1_PS1_Ev13rocblas_fill_18rocblas_operation_17rocblas_diagonal_iiT3_T4_lilT5_lili
                                        ; -- End function
	.section	.AMDGPU.csdata,"",@progbits
; Kernel info:
; codeLenInByte = 4640
; NumSgprs: 51
; NumVgprs: 29
; NumAgprs: 0
; TotalNumVgprs: 29
; ScratchSize: 112
; MemoryBound: 0
; FloatMode: 240
; IeeeMode: 1
; LDSByteSize: 2304 bytes/workgroup (compile time only)
; SGPRBlocks: 6
; VGPRBlocks: 3
; NumSGPRsForWavesPerEU: 51
; NumVGPRsForWavesPerEU: 29
; AccumOffset: 32
; Occupancy: 7
; WaveLimiterHint : 0
; COMPUTE_PGM_RSRC2:SCRATCH_EN: 1
; COMPUTE_PGM_RSRC2:USER_SGPR: 8
; COMPUTE_PGM_RSRC2:TRAP_HANDLER: 0
; COMPUTE_PGM_RSRC2:TGID_X_EN: 1
; COMPUTE_PGM_RSRC2:TGID_Y_EN: 0
; COMPUTE_PGM_RSRC2:TGID_Z_EN: 1
; COMPUTE_PGM_RSRC2:TIDIG_COMP_CNT: 0
; COMPUTE_PGM_RSRC3_GFX90A:ACCUM_OFFSET: 7
; COMPUTE_PGM_RSRC3_GFX90A:TG_SPLIT: 0
	.section	.text._ZL30rocblas_trsm_small_left_deviceILi12ELi12ELb1E19rocblas_complex_numIfES1_PKS1_PS1_Ev13rocblas_fill_18rocblas_operation_17rocblas_diagonal_iiT3_T4_lilT5_lili,"axG",@progbits,_ZL30rocblas_trsm_small_left_deviceILi12ELi12ELb1E19rocblas_complex_numIfES1_PKS1_PS1_Ev13rocblas_fill_18rocblas_operation_17rocblas_diagonal_iiT3_T4_lilT5_lili,comdat
	.globl	_ZL30rocblas_trsm_small_left_deviceILi12ELi12ELb1E19rocblas_complex_numIfES1_PKS1_PS1_Ev13rocblas_fill_18rocblas_operation_17rocblas_diagonal_iiT3_T4_lilT5_lili ; -- Begin function _ZL30rocblas_trsm_small_left_deviceILi12ELi12ELb1E19rocblas_complex_numIfES1_PKS1_PS1_Ev13rocblas_fill_18rocblas_operation_17rocblas_diagonal_iiT3_T4_lilT5_lili
	.p2align	8
	.type	_ZL30rocblas_trsm_small_left_deviceILi12ELi12ELb1E19rocblas_complex_numIfES1_PKS1_PS1_Ev13rocblas_fill_18rocblas_operation_17rocblas_diagonal_iiT3_T4_lilT5_lili,@function
_ZL30rocblas_trsm_small_left_deviceILi12ELi12ELb1E19rocblas_complex_numIfES1_PKS1_PS1_Ev13rocblas_fill_18rocblas_operation_17rocblas_diagonal_iiT3_T4_lilT5_lili: ; @_ZL30rocblas_trsm_small_left_deviceILi12ELi12ELb1E19rocblas_complex_numIfES1_PKS1_PS1_Ev13rocblas_fill_18rocblas_operation_17rocblas_diagonal_iiT3_T4_lilT5_lili
; %bb.0:
	s_add_u32 s0, s0, s10
	s_load_dwordx4 s[16:19], s[4:5], 0x4
	s_load_dwordx2 s[24:25], s[4:5], 0x14
	s_load_dwordx4 s[12:15], s[4:5], 0x38
	s_load_dwordx2 s[26:27], s[4:5], 0x48
	s_load_dword s43, s[4:5], 0x68
	s_addc_u32 s1, s1, 0
	s_waitcnt lgkmcnt(0)
	s_min_i32 s33, s18, 12
	s_mov_b32 s44, 0
	s_add_i32 s42, s33, -1
	v_cmp_gt_i32_e32 vcc, s33, v0
	s_and_saveexec_b64 s[28:29], vcc
	s_cbranch_execz .LBB146_35
; %bb.1:
	s_load_dword s30, s[4:5], 0x30
	s_load_dwordx4 s[20:23], s[4:5], 0x20
	s_mul_i32 s6, s9, s13
	s_mul_hi_u32 s7, s9, s12
	s_mul_i32 s12, s9, s12
	s_waitcnt lgkmcnt(0)
	s_ashr_i32 s31, s30, 31
	s_cmpk_lg_i32 s16, 0x71
	s_cselect_b64 s[34:35], -1, 0
	s_add_i32 s13, s7, s6
	v_cndmask_b32_e64 v2, 0, 1, s[34:35]
	s_cmp_lt_u32 s42, 3
	v_lshlrev_b32_e32 v1, 3, v0
	v_cmp_ne_u32_e64 s[6:7], 1, v2
	s_cbranch_scc1 .LBB146_20
; %bb.2:
	s_lshl_b64 s[10:11], s[12:13], 3
	s_add_u32 s18, s20, s10
	s_addc_u32 s36, s21, s11
	s_lshl_b64 s[10:11], s[22:23], 3
	s_add_u32 s10, s18, s10
	s_addc_u32 s11, s36, s11
	v_mov_b32_e32 v3, s11
	v_add_co_u32_e32 v2, vcc, s10, v1
	s_mul_hi_i32 s10, s30, 24
	s_lshl_b64 s[36:37], s[30:31], 5
	s_lshl_b64 s[38:39], s[30:31], 4
	;; [unrolled: 1-line block ×3, first 2 shown]
	v_addc_co_u32_e32 v3, vcc, 0, v3, vcc
	s_and_b32 s44, s33, -4
	s_mul_i32 s18, s30, 24
	s_mov_b32 s45, 0
	v_mov_b32_e32 v8, s41
	v_mov_b32_e32 v9, s39
	;; [unrolled: 1-line block ×5, first 2 shown]
	s_branch .LBB146_4
.LBB146_3:                              ;   in Loop: Header=BB146_4 Depth=1
	global_load_dword v4, v[6:7], off
	s_add_i32 s45, s45, 4
	v_add_co_u32_e32 v2, vcc, s36, v2
	v_addc_co_u32_e32 v3, vcc, v3, v11, vcc
	s_cmp_eq_u32 s44, s45
	s_waitcnt vmcnt(0)
	ds_write_b64 v12, v[4:5] offset:288
	v_add_u32_e32 v12, 0x180, v12
	s_cbranch_scc1 .LBB146_20
.LBB146_4:                              ; =>This Inner Loop Header: Depth=1
	s_and_b64 vcc, exec, s[34:35]
	s_cbranch_vccz .LBB146_6
; %bb.5:                                ;   in Loop: Header=BB146_4 Depth=1
	global_load_dword v5, v[2:3], off offset:4
	s_cbranch_execz .LBB146_7
	s_branch .LBB146_8
.LBB146_6:                              ;   in Loop: Header=BB146_4 Depth=1
                                        ; implicit-def: $vgpr5
.LBB146_7:                              ;   in Loop: Header=BB146_4 Depth=1
	global_load_dword v4, v[2:3], off offset:4
	s_waitcnt vmcnt(0)
	v_xor_b32_e32 v5, 0x80000000, v4
.LBB146_8:                              ;   in Loop: Header=BB146_4 Depth=1
	global_load_dword v4, v[2:3], off
	v_add_co_u32_e64 v6, s[10:11], s40, v2
	s_and_b64 vcc, exec, s[6:7]
	v_addc_co_u32_e64 v7, s[10:11], v3, v8, s[10:11]
	s_waitcnt vmcnt(0)
	ds_write_b64 v12, v[4:5]
	s_cbranch_vccnz .LBB146_10
; %bb.9:                                ;   in Loop: Header=BB146_4 Depth=1
	global_load_dword v5, v[6:7], off offset:4
	s_cbranch_execz .LBB146_11
	s_branch .LBB146_12
.LBB146_10:                             ;   in Loop: Header=BB146_4 Depth=1
                                        ; implicit-def: $vgpr5
.LBB146_11:                             ;   in Loop: Header=BB146_4 Depth=1
	global_load_dword v4, v[6:7], off offset:4
	s_waitcnt vmcnt(0)
	v_xor_b32_e32 v5, 0x80000000, v4
.LBB146_12:                             ;   in Loop: Header=BB146_4 Depth=1
	global_load_dword v4, v[6:7], off
	v_add_co_u32_e64 v6, s[10:11], s38, v2
	s_and_b64 vcc, exec, s[6:7]
	v_addc_co_u32_e64 v7, s[10:11], v3, v9, s[10:11]
	s_waitcnt vmcnt(0)
	ds_write_b64 v12, v[4:5] offset:96
	s_cbranch_vccnz .LBB146_14
; %bb.13:                               ;   in Loop: Header=BB146_4 Depth=1
	global_load_dword v5, v[6:7], off offset:4
	s_cbranch_execz .LBB146_15
	s_branch .LBB146_16
.LBB146_14:                             ;   in Loop: Header=BB146_4 Depth=1
                                        ; implicit-def: $vgpr5
.LBB146_15:                             ;   in Loop: Header=BB146_4 Depth=1
	global_load_dword v4, v[6:7], off offset:4
	s_waitcnt vmcnt(0)
	v_xor_b32_e32 v5, 0x80000000, v4
.LBB146_16:                             ;   in Loop: Header=BB146_4 Depth=1
	global_load_dword v4, v[6:7], off
	v_add_co_u32_e64 v6, s[10:11], s18, v2
	s_and_b64 vcc, exec, s[6:7]
	v_addc_co_u32_e64 v7, s[10:11], v3, v10, s[10:11]
	s_waitcnt vmcnt(0)
	ds_write_b64 v12, v[4:5] offset:192
	s_cbranch_vccnz .LBB146_18
; %bb.17:                               ;   in Loop: Header=BB146_4 Depth=1
	global_load_dword v5, v[6:7], off offset:4
	s_cbranch_execnz .LBB146_3
	s_branch .LBB146_19
.LBB146_18:                             ;   in Loop: Header=BB146_4 Depth=1
                                        ; implicit-def: $vgpr5
.LBB146_19:                             ;   in Loop: Header=BB146_4 Depth=1
	global_load_dword v4, v[6:7], off offset:4
	s_waitcnt vmcnt(0)
	v_xor_b32_e32 v5, 0x80000000, v4
	s_branch .LBB146_3
.LBB146_20:
	s_and_b32 s18, s33, 3
	s_cmp_eq_u32 s18, 0
	s_cbranch_scc1 .LBB146_27
; %bb.21:
	s_mul_i32 s10, s44, 0x60
	v_lshl_add_u32 v6, v0, 3, s10
	s_lshl_b64 s[10:11], s[12:13], 3
	s_mul_i32 s12, s31, s44
	s_mul_hi_u32 s13, s30, s44
	s_add_i32 s13, s13, s12
	s_mul_i32 s12, s30, s44
	s_lshl_b64 s[12:13], s[12:13], 3
	s_add_u32 s12, s10, s12
	s_addc_u32 s13, s11, s13
	s_lshl_b64 s[10:11], s[22:23], 3
	s_add_u32 s10, s12, s10
	s_addc_u32 s11, s13, s11
	s_add_u32 s10, s20, s10
	s_addc_u32 s11, s21, s11
	v_mov_b32_e32 v2, s11
	v_add_co_u32_e32 v1, vcc, s10, v1
	v_addc_co_u32_e32 v3, vcc, 0, v2, vcc
	v_add_co_u32_e32 v2, vcc, 4, v1
	s_lshl_b64 s[10:11], s[30:31], 3
	v_addc_co_u32_e32 v3, vcc, 0, v3, vcc
	v_mov_b32_e32 v1, s11
	s_branch .LBB146_23
.LBB146_22:                             ;   in Loop: Header=BB146_23 Depth=1
	global_load_dword v4, v[2:3], off offset:-4
	s_add_i32 s18, s18, -1
	v_add_co_u32_e32 v2, vcc, s10, v2
	s_cmp_lg_u32 s18, 0
	v_addc_co_u32_e32 v3, vcc, v3, v1, vcc
	s_waitcnt vmcnt(0)
	ds_write_b64 v6, v[4:5]
	v_add_u32_e32 v6, 0x60, v6
	s_cbranch_scc0 .LBB146_27
.LBB146_23:                             ; =>This Inner Loop Header: Depth=1
	s_and_b64 vcc, exec, s[6:7]
	s_cbranch_vccnz .LBB146_25
; %bb.24:                               ;   in Loop: Header=BB146_23 Depth=1
	global_load_dword v5, v[2:3], off
	s_cbranch_execnz .LBB146_22
	s_branch .LBB146_26
.LBB146_25:                             ;   in Loop: Header=BB146_23 Depth=1
                                        ; implicit-def: $vgpr5
.LBB146_26:                             ;   in Loop: Header=BB146_23 Depth=1
	global_load_dword v4, v[2:3], off
	s_waitcnt vmcnt(0)
	v_xor_b32_e32 v5, 0x80000000, v4
	s_branch .LBB146_22
.LBB146_27:
	v_mul_u32_u24_e32 v1, 13, v0
	s_cmpk_lg_i32 s17, 0x84
	v_lshlrev_b32_e32 v1, 3, v1
	s_mov_b64 s[6:7], -1
	s_cbranch_scc0 .LBB146_33
; %bb.28:
	ds_read_b64 v[2:3], v1
	s_mov_b32 s6, 0
	s_waitcnt lgkmcnt(0)
	v_cmp_gt_f32_e32 vcc, 0, v3
	v_cndmask_b32_e64 v4, v3, -v3, vcc
	v_cmp_gt_f32_e32 vcc, 0, v2
	v_cndmask_b32_e64 v5, v2, -v2, vcc
	v_cmp_ngt_f32_e32 vcc, v5, v4
                                        ; implicit-def: $vgpr4_vgpr5
	s_and_saveexec_b64 s[10:11], vcc
	s_xor_b64 s[10:11], exec, s[10:11]
	s_cbranch_execz .LBB146_30
; %bb.29:
	v_div_scale_f32 v4, s[12:13], v3, v3, v2
	v_rcp_f32_e32 v5, v4
	v_div_scale_f32 v6, vcc, v2, v3, v2
	s_mov_b32 s7, -1.0
	v_fma_f32 v7, -v4, v5, 1.0
	v_fmac_f32_e32 v5, v7, v5
	v_mul_f32_e32 v7, v6, v5
	v_fma_f32 v8, -v4, v7, v6
	v_fmac_f32_e32 v7, v8, v5
	v_fma_f32 v4, -v4, v7, v6
	v_div_fmas_f32 v4, v4, v5, v7
	v_div_fixup_f32 v4, v4, v3, v2
	v_fmac_f32_e32 v3, v2, v4
	v_div_scale_f32 v2, s[12:13], v3, v3, 1.0
	v_rcp_f32_e32 v5, v2
	v_fma_f32 v6, -v2, v5, 1.0
	v_fmac_f32_e32 v5, v6, v5
	v_div_scale_f32 v6, vcc, 1.0, v3, 1.0
	v_mul_f32_e32 v7, v6, v5
	v_fma_f32 v8, -v2, v7, v6
	v_fmac_f32_e32 v7, v8, v5
	v_fma_f32 v2, -v2, v7, v6
	v_div_fmas_f32 v2, v2, v5, v7
	v_mul_f32_e32 v5, 0, v4
	v_div_fixup_f32 v2, v2, v3, 1.0
	v_pk_add_f32 v[4:5], v[4:5], s[6:7]
	v_pk_mul_f32 v[4:5], v[4:5], v[2:3] op_sel_hi:[1,0]
                                        ; implicit-def: $vgpr2_vgpr3
.LBB146_30:
	s_andn2_saveexec_b64 s[6:7], s[10:11]
	s_cbranch_execz .LBB146_32
; %bb.31:
	v_div_scale_f32 v4, s[10:11], v2, v2, v3
	v_rcp_f32_e32 v5, v4
	v_div_scale_f32 v6, vcc, v3, v2, v3
	v_fma_f32 v7, -v4, v5, 1.0
	v_fmac_f32_e32 v5, v7, v5
	v_mul_f32_e32 v7, v6, v5
	v_fma_f32 v8, -v4, v7, v6
	v_fmac_f32_e32 v7, v8, v5
	v_fma_f32 v4, -v4, v7, v6
	v_div_fmas_f32 v4, v4, v5, v7
	v_div_fixup_f32 v5, v4, v2, v3
	v_fmac_f32_e32 v2, v3, v5
	v_div_scale_f32 v3, s[10:11], v2, v2, 1.0
	v_rcp_f32_e32 v4, v3
	s_mov_b32 s10, 1.0
	s_mov_b32 s11, 0
	v_fma_f32 v6, -v3, v4, 1.0
	v_fmac_f32_e32 v4, v6, v4
	v_div_scale_f32 v6, vcc, 1.0, v2, 1.0
	v_mul_f32_e32 v7, v6, v4
	v_fma_f32 v8, -v3, v7, v6
	v_fmac_f32_e32 v7, v8, v4
	v_fma_f32 v3, -v3, v7, v6
	v_div_fmas_f32 v3, v3, v4, v7
	v_mul_f32_e32 v4, 0, v5
	v_pk_add_f32 v[6:7], v[4:5], s[10:11]
	v_pk_add_f32 v[4:5], v[4:5], s[10:11] neg_lo:[1,0] neg_hi:[1,0]
	v_div_fixup_f32 v2, v3, v2, 1.0
	v_mov_b32_e32 v7, v5
	v_pk_mul_f32 v[4:5], v[6:7], v[2:3] op_sel_hi:[1,0]
.LBB146_32:
	s_or_b64 exec, exec, s[6:7]
	s_mov_b64 s[6:7], 0
	ds_write_b64 v1, v[4:5]
.LBB146_33:
	s_and_b64 vcc, exec, s[6:7]
	s_cbranch_vccz .LBB146_35
; %bb.34:
	v_mov_b32_e32 v2, 1.0
	v_mov_b32_e32 v3, 0
	ds_write_b64 v1, v[2:3]
.LBB146_35:
	s_or_b64 exec, exec, s[28:29]
	s_mul_i32 s6, s8, -12
	s_add_i32 s43, s43, -1
	s_add_i32 s6, s6, s19
	s_cmp_ge_u32 s8, s43
	s_cselect_b32 s6, s6, 12
	v_cmp_gt_i32_e32 vcc, s6, v0
	s_waitcnt lgkmcnt(0)
	; wave barrier
	s_waitcnt lgkmcnt(0)
	s_and_saveexec_b64 s[6:7], vcc
	s_cbranch_execz .LBB146_103
; %bb.36:
	s_load_dwordx2 s[6:7], s[4:5], 0x58
	s_load_dword s12, s[4:5], 0x50
	s_waitcnt lgkmcnt(0)
	s_mul_i32 s5, s9, s7
	s_mul_hi_u32 s7, s9, s6
	s_mul_i32 s4, s9, s6
	s_add_i32 s5, s7, s5
	s_lshl_b64 s[6:7], s[4:5], 3
	s_add_u32 s4, s14, s6
	s_addc_u32 s5, s15, s7
	s_lshl_b64 s[10:11], s[26:27], 3
	s_add_u32 s9, s4, s10
	s_addc_u32 s13, s5, s11
	v_mad_u64_u32 v[0:1], s[4:5], s8, 12, v[0:1]
	v_mad_i64_i32 v[0:1], s[4:5], s12, v0, 0
	v_lshlrev_b64 v[0:1], 3, v[0:1]
	v_mov_b32_e32 v2, s13
	v_add_co_u32_e32 v10, vcc, s9, v0
	v_addc_co_u32_e32 v11, vcc, v2, v1, vcc
	s_cmpk_eq_i32 s16, 0x6f
	s_mov_b64 s[4:5], -1
	s_cbranch_scc1 .LBB146_70
; %bb.37:
	s_add_u32 s4, s14, s10
	s_addc_u32 s5, s15, s11
	s_add_u32 s4, s4, s6
	s_addc_u32 s5, s5, s7
	v_mov_b32_e32 v2, s5
	v_add_co_u32_e32 v3, vcc, s4, v0
	v_addc_co_u32_e32 v2, vcc, v2, v1, vcc
	v_add_co_u32_e32 v12, vcc, 4, v3
	s_lshl_b32 s34, s33, 3
	s_mov_b32 s17, 0
	s_mov_b32 s8, s24
	;; [unrolled: 1-line block ×5, first 2 shown]
	v_addc_co_u32_e32 v13, vcc, 0, v2, vcc
	s_add_i32 s34, s34, -8
	v_mov_b32_e32 v14, 0
	s_mov_b32 s18, s17
	s_mov_b32 s20, s42
	s_branch .LBB146_39
.LBB146_38:                             ;   in Loop: Header=BB146_39 Depth=1
	s_cmp_lt_i32 s20, 0
	s_cselect_b64 s[4:5], -1, 0
	s_add_i32 s18, s18, 1
	s_cmp_eq_u32 s18, 3
	s_cselect_b64 s[22:23], -1, 0
	s_or_b64 s[4:5], s[4:5], s[22:23]
	s_andn2_b64 vcc, exec, s[4:5]
	s_cbranch_vccz .LBB146_69
.LBB146_39:                             ; =>This Loop Header: Depth=1
                                        ;     Child Loop BB146_42 Depth 2
                                        ;       Child Loop BB146_44 Depth 3
                                        ;       Child Loop BB146_48 Depth 3
	;; [unrolled: 1-line block ×3, first 2 shown]
                                        ;         Child Loop BB146_54 Depth 4
                                        ;         Child Loop BB146_60 Depth 4
                                        ;       Child Loop BB146_63 Depth 3
                                        ;         Child Loop BB146_65 Depth 4
	s_mov_b32 s19, s17
	s_lshl_b64 s[4:5], s[18:19], 2
	s_getpc_b64 s[22:23]
	s_add_u32 s22, s22, __const._ZL30rocblas_trsm_small_left_deviceILi12ELi12ELb1E19rocblas_complex_numIfES1_PKS1_PS1_Ev13rocblas_fill_18rocblas_operation_17rocblas_diagonal_iiT3_T4_lilT5_lili.step_sizes@rel32@lo+4
	s_addc_u32 s23, s23, __const._ZL30rocblas_trsm_small_left_deviceILi12ELi12ELb1E19rocblas_complex_numIfES1_PKS1_PS1_Ev13rocblas_fill_18rocblas_operation_17rocblas_diagonal_iiT3_T4_lilT5_lili.step_sizes@rel32@hi+12
	s_add_u32 s4, s4, s22
	s_addc_u32 s5, s5, s23
	s_load_dword s19, s[4:5], 0x0
	s_waitcnt lgkmcnt(0)
	s_add_i32 s35, s19, -1
	s_cmp_lt_i32 s20, s35
	s_cbranch_scc1 .LBB146_38
; %bb.40:                               ;   in Loop: Header=BB146_39 Depth=1
	s_max_i32 s36, s19, 1
	s_cmp_lg_u32 s18, 2
	s_cselect_b64 s[22:23], -1, 0
	s_and_b32 s37, s36, 0x7ffffffe
	s_cmp_lg_u32 s36, s37
	s_mul_i32 s4, s20, 0x60
	s_cselect_b64 s[26:27], -1, 0
	s_add_i32 s38, s34, s4
	s_mul_i32 s39, s19, 0xffffffa0
	s_mul_i32 s40, s20, 0x68
	;; [unrolled: 1-line block ×3, first 2 shown]
	s_branch .LBB146_42
.LBB146_41:                             ;   in Loop: Header=BB146_42 Depth=2
	s_sub_i32 s20, s20, s19
	s_add_i32 s38, s38, s39
	s_add_i32 s40, s40, s41
	s_cmp_lt_i32 s20, s35
	s_cbranch_scc1 .LBB146_38
.LBB146_42:                             ;   Parent Loop BB146_39 Depth=1
                                        ; =>  This Loop Header: Depth=2
                                        ;       Child Loop BB146_44 Depth 3
                                        ;       Child Loop BB146_48 Depth 3
	;; [unrolled: 1-line block ×3, first 2 shown]
                                        ;         Child Loop BB146_54 Depth 4
                                        ;         Child Loop BB146_60 Depth 4
                                        ;       Child Loop BB146_63 Depth 3
                                        ;         Child Loop BB146_65 Depth 4
	s_and_b64 vcc, exec, s[22:23]
	s_cbranch_vccz .LBB146_46
; %bb.43:                               ;   in Loop: Header=BB146_42 Depth=2
	v_mov_b32_e32 v2, 0
	s_mov_b32 s21, s20
	s_mov_b32 s28, 1
	;; [unrolled: 1-line block ×4, first 2 shown]
.LBB146_44:                             ;   Parent Loop BB146_39 Depth=1
                                        ;     Parent Loop BB146_42 Depth=2
                                        ; =>    This Inner Loop Header: Depth=3
	s_sub_i32 s4, s20, s29
	s_sub_i32 s44, s21, s28
	s_ashr_i32 s5, s4, 31
	s_ashr_i32 s45, s44, 31
	s_lshl_b64 s[4:5], s[4:5], 3
	s_lshl_b64 s[44:45], s[44:45], 3
	v_mov_b32_e32 v3, s5
	v_add_co_u32_e64 v6, s[4:5], s4, v10
	v_mov_b32_e32 v5, s45
	v_add_co_u32_e32 v4, vcc, s44, v10
	v_addc_co_u32_e64 v7, s[4:5], v11, v3, s[4:5]
	v_addc_co_u32_e32 v5, vcc, v11, v5, vcc
	global_load_dwordx2 v[8:9], v[6:7], off
	global_load_dwordx2 v[16:17], v[4:5], off
	s_add_i32 s29, s29, 2
	s_add_i32 s28, s28, 2
	s_add_i32 s30, s30, -2
	s_mov_b32 s16, s37
	s_mov_b64 s[4:5], s[26:27]
	s_cmp_lg_u32 s30, 0
	s_waitcnt vmcnt(1)
	v_mov_b32_e32 v4, v8
	s_waitcnt vmcnt(0)
	v_mov_b32_e32 v5, v16
	v_mov_b32_e32 v16, v9
	v_pk_mul_f32 v[6:7], v[16:17], s[12:13]
	v_pk_mul_f32 v[8:9], v[16:17], s[8:9]
	v_pk_fma_f32 v[6:7], v[4:5], s[8:9], v[6:7] neg_lo:[0,0,1] neg_hi:[0,0,1]
	v_pk_fma_f32 v[4:5], v[4:5], s[12:13], v[8:9]
	buffer_store_dword v4, v2, s[0:3], 0 offen offset:4
	buffer_store_dword v6, v2, s[0:3], 0 offen
	buffer_store_dword v5, v2, s[0:3], 0 offen offset:12
	buffer_store_dword v7, v2, s[0:3], 0 offen offset:8
	v_add_u32_e32 v2, 16, v2
	s_cbranch_scc1 .LBB146_44
; %bb.45:                               ;   in Loop: Header=BB146_42 Depth=2
	s_ashr_i32 s21, s20, 31
	s_and_b64 vcc, exec, s[4:5]
	s_cbranch_vccnz .LBB146_47
	s_branch .LBB146_49
.LBB146_46:                             ;   in Loop: Header=BB146_42 Depth=2
	s_mov_b32 s16, 0
	s_ashr_i32 s21, s20, 31
	s_cbranch_execz .LBB146_49
.LBB146_47:                             ;   in Loop: Header=BB146_42 Depth=2
	s_lshl_b64 s[28:29], s[20:21], 3
	s_sub_i32 s4, s36, s16
	s_lshl_b64 s[30:31], s[16:17], 3
	s_sub_u32 s5, s28, s30
	s_subb_u32 s28, s29, s31
	v_mov_b32_e32 v3, s28
	v_add_co_u32_e32 v2, vcc, s5, v12
	s_lshl_b32 s5, s16, 3
	v_addc_co_u32_e32 v3, vcc, v13, v3, vcc
	v_add_u32_e32 v4, s5, v14
.LBB146_48:                             ;   Parent Loop BB146_39 Depth=1
                                        ;     Parent Loop BB146_42 Depth=2
                                        ; =>    This Inner Loop Header: Depth=3
	global_load_dwordx2 v[6:7], v[2:3], off offset:-4
	s_add_i32 s4, s4, -1
	v_add_co_u32_e32 v2, vcc, -8, v2
	v_addc_co_u32_e32 v3, vcc, -1, v3, vcc
	s_cmp_eq_u32 s4, 0
	s_waitcnt vmcnt(0)
	v_mul_f32_e32 v5, s25, v7
	v_mul_f32_e32 v7, s24, v7
	v_fma_f32 v5, v6, s24, -v5
	v_fmac_f32_e32 v7, s25, v6
	buffer_store_dword v5, v4, s[0:3], 0 offen
	buffer_store_dword v7, v4, s[0:3], 0 offen offset:4
	v_add_u32_e32 v4, 8, v4
	s_cbranch_scc0 .LBB146_48
.LBB146_49:                             ;   in Loop: Header=BB146_42 Depth=2
	s_cmp_le_i32 s42, s20
	s_cbranch_scc1 .LBB146_61
; %bb.50:                               ;   in Loop: Header=BB146_42 Depth=2
	s_mov_b32 s16, s20
	s_mov_b32 s43, s20
	;; [unrolled: 1-line block ×4, first 2 shown]
	s_branch .LBB146_52
.LBB146_51:                             ;   in Loop: Header=BB146_52 Depth=3
	s_add_i32 s4, s4, -1
	s_add_i32 s44, s44, -8
	s_cmp_le_i32 s4, s20
	s_cbranch_scc1 .LBB146_61
.LBB146_52:                             ;   Parent Loop BB146_39 Depth=1
                                        ;     Parent Loop BB146_42 Depth=2
                                        ; =>    This Loop Header: Depth=3
                                        ;         Child Loop BB146_54 Depth 4
                                        ;         Child Loop BB146_60 Depth 4
	s_ashr_i32 s5, s4, 31
	s_lshl_b64 s[28:29], s[4:5], 3
	s_waitcnt vmcnt(0)
	v_mov_b32_e32 v3, s29
	v_add_co_u32_e32 v2, vcc, s28, v10
	v_addc_co_u32_e32 v3, vcc, v11, v3, vcc
	global_load_dwordx2 v[2:3], v[2:3], off
	s_and_b64 vcc, exec, s[22:23]
	s_cbranch_vccz .LBB146_56
; %bb.53:                               ;   in Loop: Header=BB146_52 Depth=3
	s_mov_b32 s5, s4
	s_waitcnt vmcnt(0)
	v_mov_b32_e32 v6, v2
	v_mov_b32_e32 v7, v2
	;; [unrolled: 1-line block ×6, first 2 shown]
	s_mov_b32 s28, 1
	s_mov_b32 s29, 0
	;; [unrolled: 1-line block ×3, first 2 shown]
.LBB146_54:                             ;   Parent Loop BB146_39 Depth=1
                                        ;     Parent Loop BB146_42 Depth=2
                                        ;       Parent Loop BB146_52 Depth=3
                                        ; =>      This Inner Loop Header: Depth=4
	buffer_load_dword v16, v5, s[0:3], 0 offen
	buffer_load_dword v18, v5, s[0:3], 0 offen offset:4
	buffer_load_dword v17, v5, s[0:3], 0 offen offset:8
	;; [unrolled: 1-line block ×3, first 2 shown]
	s_sub_i32 s31, s43, s28
	s_sub_i32 s45, s16, s29
	s_mul_i32 s45, s45, 12
	s_mul_i32 s31, s31, 12
	s_add_i32 s31, s31, s5
	s_add_i32 s45, s45, s4
	s_lshl_b32 s45, s45, 3
	s_lshl_b32 s31, s31, 3
	v_mov_b32_e32 v15, s45
	v_mov_b32_e32 v22, s31
	ds_read_b64 v[20:21], v15
	ds_read_b64 v[22:23], v22
	s_add_i32 s29, s29, 2
	s_add_i32 s28, s28, 2
	s_add_i32 s30, s30, -2
	s_waitcnt lgkmcnt(1)
	v_mov_b32_e32 v24, v20
	s_waitcnt lgkmcnt(0)
	v_mov_b32_e32 v25, v22
	v_mov_b32_e32 v22, v21
	v_pk_mul_f32 v[20:21], v[22:23], v[8:9]
	v_pk_mul_f32 v[22:23], v[22:23], v[6:7]
	v_pk_fma_f32 v[20:21], v[24:25], v[6:7], v[20:21] neg_lo:[0,0,1] neg_hi:[0,0,1]
	v_pk_fma_f32 v[22:23], v[24:25], v[8:9], v[22:23]
	s_cmp_lg_u32 s30, 0
	s_waitcnt vmcnt(1)
	v_pk_add_f32 v[16:17], v[16:17], v[20:21] neg_lo:[0,1] neg_hi:[0,1]
	s_waitcnt vmcnt(0)
	v_pk_add_f32 v[18:19], v[18:19], v[22:23] neg_lo:[0,1] neg_hi:[0,1]
	buffer_store_dword v16, v5, s[0:3], 0 offen
	buffer_store_dword v18, v5, s[0:3], 0 offen offset:4
	buffer_store_dword v17, v5, s[0:3], 0 offen offset:8
	;; [unrolled: 1-line block ×3, first 2 shown]
	v_add_u32_e32 v5, 16, v5
	s_cbranch_scc1 .LBB146_54
; %bb.55:                               ;   in Loop: Header=BB146_52 Depth=3
	s_mov_b64 s[28:29], s[26:27]
	s_mov_b32 s30, s37
	s_branch .LBB146_58
.LBB146_56:                             ;   in Loop: Header=BB146_52 Depth=3
	s_mov_b64 s[28:29], 0
                                        ; implicit-def: $vgpr4_vgpr5
	s_mov_b32 s30, s37
	s_cbranch_execz .LBB146_58
; %bb.57:                               ;   in Loop: Header=BB146_52 Depth=3
	s_waitcnt vmcnt(0)
	v_mov_b32_e32 v4, v3
	s_mov_b64 s[28:29], -1
	s_mov_b32 s30, 0
.LBB146_58:                             ;   in Loop: Header=BB146_52 Depth=3
	s_andn2_b64 vcc, exec, s[28:29]
	s_cbranch_vccnz .LBB146_51
; %bb.59:                               ;   in Loop: Header=BB146_52 Depth=3
	s_mul_i32 s28, s30, 0xffffffa0
	s_lshl_b32 s29, s30, 3
	s_waitcnt vmcnt(0)
	v_mov_b32_e32 v5, v3
	v_mov_b32_e32 v3, v2
	s_sub_i32 s5, s36, s30
	s_add_i32 s28, s44, s28
	v_add_u32_e32 v6, s29, v14
.LBB146_60:                             ;   Parent Loop BB146_39 Depth=1
                                        ;     Parent Loop BB146_42 Depth=2
                                        ;       Parent Loop BB146_52 Depth=3
                                        ; =>      This Inner Loop Header: Depth=4
	buffer_load_dword v8, v6, s[0:3], 0 offen
	buffer_load_dword v9, v6, s[0:3], 0 offen offset:4
	v_mov_b32_e32 v7, s28
	ds_read_b64 v[16:17], v7
	s_add_i32 s5, s5, -1
	s_addk_i32 s28, 0xffa0
	s_cmp_eq_u32 s5, 0
	s_waitcnt lgkmcnt(0)
	v_pk_mul_f32 v[18:19], v[16:17], v[4:5]
	v_pk_fma_f32 v[20:21], v[16:17], v[2:3], v[18:19] op_sel:[0,0,1] op_sel_hi:[1,1,0] neg_lo:[0,0,1] neg_hi:[0,0,1]
	v_pk_fma_f32 v[16:17], v[16:17], v[2:3], v[18:19] op_sel:[0,0,1] op_sel_hi:[1,1,0]
	v_mov_b32_e32 v21, v17
	s_waitcnt vmcnt(0)
	v_pk_add_f32 v[8:9], v[8:9], v[20:21] neg_lo:[0,1] neg_hi:[0,1]
	buffer_store_dword v8, v6, s[0:3], 0 offen
	buffer_store_dword v9, v6, s[0:3], 0 offen offset:4
	v_add_u32_e32 v6, 8, v6
	s_cbranch_scc0 .LBB146_60
	s_branch .LBB146_51
.LBB146_61:                             ;   in Loop: Header=BB146_42 Depth=2
	s_mov_b32 s16, 0
	s_mov_b32 s43, s40
	s_branch .LBB146_63
.LBB146_62:                             ;   in Loop: Header=BB146_63 Depth=3
	s_mulk_i32 s28, 0x68
	v_mov_b32_e32 v4, s28
	ds_read_b64 v[4:5], v4
	s_lshl_b64 s[4:5], s[4:5], 3
	s_lshl_b32 s28, s16, 3
	s_add_i32 s16, s16, 1
	s_addk_i32 s43, 0xffa0
	s_waitcnt vmcnt(0) lgkmcnt(0)
	v_mul_f32_e32 v6, v5, v3
	v_mul_f32_e32 v7, v4, v3
	v_fma_f32 v6, v4, v2, -v6
	v_fmac_f32_e32 v7, v5, v2
	v_mov_b32_e32 v3, s5
	v_add_co_u32_e32 v2, vcc, s4, v10
	v_add_u32_e32 v8, s28, v14
	v_addc_co_u32_e32 v3, vcc, v11, v3, vcc
	s_cmp_eq_u32 s16, s36
	buffer_store_dword v6, v8, s[0:3], 0 offen
	buffer_store_dword v7, v8, s[0:3], 0 offen offset:4
	global_store_dwordx2 v[2:3], v[6:7], off
	s_cbranch_scc1 .LBB146_41
.LBB146_63:                             ;   Parent Loop BB146_39 Depth=1
                                        ;     Parent Loop BB146_42 Depth=2
                                        ; =>    This Loop Header: Depth=3
                                        ;         Child Loop BB146_65 Depth 4
	s_cmp_lg_u32 s16, 0
	s_cbranch_scc0 .LBB146_67
; %bb.64:                               ;   in Loop: Header=BB146_63 Depth=3
	s_lshl_b32 s4, s16, 3
	v_add_u32_e32 v4, s4, v14
	buffer_load_dword v2, v4, s[0:3], 0 offen
	buffer_load_dword v3, v4, s[0:3], 0 offen offset:4
	v_mov_b32_e32 v5, 0
	s_mov_b32 s4, 0
	s_mov_b32 s5, s43
.LBB146_65:                             ;   Parent Loop BB146_39 Depth=1
                                        ;     Parent Loop BB146_42 Depth=2
                                        ;       Parent Loop BB146_63 Depth=3
                                        ; =>      This Inner Loop Header: Depth=4
	buffer_load_dword v7, v5, s[0:3], 0 offen offset:4
	buffer_load_dword v6, v5, s[0:3], 0 offen
	v_mov_b32_e32 v8, s5
	ds_read_b64 v[8:9], v8
	s_add_i32 s4, s4, 1
	s_add_i32 s5, s5, -8
	v_add_u32_e32 v5, 8, v5
	s_cmp_ge_u32 s4, s16
	s_waitcnt vmcnt(1)
	v_mov_b32_e32 v16, v7
	s_waitcnt lgkmcnt(0)
	v_pk_mul_f32 v[16:17], v[8:9], v[16:17] op_sel_hi:[1,0]
	s_waitcnt vmcnt(0)
	v_pk_fma_f32 v[18:19], v[8:9], v[6:7], v[16:17] op_sel:[0,0,1] op_sel_hi:[1,1,0] neg_lo:[0,0,1] neg_hi:[0,0,1]
	v_pk_fma_f32 v[6:7], v[8:9], v[6:7], v[16:17] op_sel:[0,0,1] op_sel_hi:[1,0,0]
	v_mov_b32_e32 v19, v7
	v_pk_add_f32 v[2:3], v[2:3], v[18:19] neg_lo:[0,1] neg_hi:[0,1]
	buffer_store_dword v2, v4, s[0:3], 0 offen
	buffer_store_dword v3, v4, s[0:3], 0 offen offset:4
	s_cbranch_scc0 .LBB146_65
; %bb.66:                               ;   in Loop: Header=BB146_63 Depth=3
	s_sub_i32 s28, s20, s16
	s_ashr_i32 s29, s28, 31
	s_mov_b64 s[4:5], s[28:29]
	s_branch .LBB146_62
.LBB146_67:                             ;   in Loop: Header=BB146_63 Depth=3
                                        ; implicit-def: $vgpr2
                                        ; implicit-def: $sgpr28
                                        ; implicit-def: $sgpr4_sgpr5
	s_cbranch_execz .LBB146_62
; %bb.68:                               ;   in Loop: Header=BB146_63 Depth=3
	buffer_load_dword v2, off, s[0:3], 0
	buffer_load_dword v3, off, s[0:3], 0 offset:4
	s_mov_b64 s[4:5], s[20:21]
	s_mov_b32 s28, s20
	s_branch .LBB146_62
.LBB146_69:
	s_mov_b64 s[4:5], 0
.LBB146_70:
	s_and_b64 vcc, exec, s[4:5]
	s_cbranch_vccz .LBB146_103
; %bb.71:
	s_add_u32 s4, s14, s10
	s_addc_u32 s5, s15, s11
	s_add_u32 s4, s4, s6
	s_addc_u32 s5, s5, s7
	v_mov_b32_e32 v2, s5
	v_add_co_u32_e32 v0, vcc, s4, v0
	v_addc_co_u32_e32 v1, vcc, v2, v1, vcc
	v_add_co_u32_e32 v8, vcc, 4, v0
	s_mov_b32 s7, 0
	s_mov_b32 s8, s24
	;; [unrolled: 1-line block ×5, first 2 shown]
	v_addc_co_u32_e32 v9, vcc, 0, v1, vcc
	v_mov_b32_e32 v12, 0
	s_mov_b32 s20, s7
	s_mov_b32 s10, s7
	s_branch .LBB146_73
.LBB146_72:                             ;   in Loop: Header=BB146_73 Depth=1
	s_cmp_ge_i32 s20, s33
	s_cselect_b64 s[4:5], -1, 0
	s_add_i32 s10, s10, 1
	s_cmp_eq_u32 s10, 3
	s_cselect_b64 s[14:15], -1, 0
	s_or_b64 s[4:5], s[4:5], s[14:15]
	s_and_b64 vcc, exec, s[4:5]
	s_cbranch_vccnz .LBB146_103
.LBB146_73:                             ; =>This Loop Header: Depth=1
                                        ;     Child Loop BB146_76 Depth 2
                                        ;       Child Loop BB146_78 Depth 3
                                        ;       Child Loop BB146_82 Depth 3
                                        ;       Child Loop BB146_86 Depth 3
                                        ;         Child Loop BB146_88 Depth 4
                                        ;         Child Loop BB146_94 Depth 4
                                        ;       Child Loop BB146_97 Depth 3
                                        ;         Child Loop BB146_99 Depth 4
	s_mov_b32 s11, s7
	s_lshl_b64 s[4:5], s[10:11], 2
	s_getpc_b64 s[14:15]
	s_add_u32 s14, s14, __const._ZL30rocblas_trsm_small_left_deviceILi12ELi12ELb1E19rocblas_complex_numIfES1_PKS1_PS1_Ev13rocblas_fill_18rocblas_operation_17rocblas_diagonal_iiT3_T4_lilT5_lili.step_sizes@rel32@lo+4
	s_addc_u32 s15, s15, __const._ZL30rocblas_trsm_small_left_deviceILi12ELi12ELb1E19rocblas_complex_numIfES1_PKS1_PS1_Ev13rocblas_fill_18rocblas_operation_17rocblas_diagonal_iiT3_T4_lilT5_lili.step_sizes@rel32@hi+12
	s_add_u32 s4, s4, s14
	s_addc_u32 s5, s5, s15
	s_load_dword s11, s[4:5], 0x0
	s_waitcnt lgkmcnt(0)
	s_add_i32 s21, s11, -1
	s_add_i32 s4, s21, s20
	s_cmp_ge_i32 s4, s33
	s_cbranch_scc1 .LBB146_72
; %bb.74:                               ;   in Loop: Header=BB146_73 Depth=1
	s_max_i32 s22, s11, 1
	s_cmp_lg_u32 s10, 2
	s_cselect_b64 s[14:15], -1, 0
	s_and_b32 s23, s22, 0x7ffffffe
	s_cmp_lg_u32 s22, s23
	s_cselect_b64 s[16:17], -1, 0
	s_ashr_i32 s26, s20, 31
	s_ashr_i32 s27, s11, 31
	s_mul_i32 s28, s20, 0x68
	s_mul_i32 s29, s11, 0x68
	s_branch .LBB146_76
.LBB146_75:                             ;   in Loop: Header=BB146_76 Depth=2
	s_add_u32 s20, s20, s11
	s_addc_u32 s26, s26, s27
	s_add_i32 s4, s21, s20
	s_add_i32 s28, s28, s29
	s_cmp_ge_i32 s4, s33
	s_cbranch_scc1 .LBB146_72
.LBB146_76:                             ;   Parent Loop BB146_73 Depth=1
                                        ; =>  This Loop Header: Depth=2
                                        ;       Child Loop BB146_78 Depth 3
                                        ;       Child Loop BB146_82 Depth 3
	;; [unrolled: 1-line block ×3, first 2 shown]
                                        ;         Child Loop BB146_88 Depth 4
                                        ;         Child Loop BB146_94 Depth 4
                                        ;       Child Loop BB146_97 Depth 3
                                        ;         Child Loop BB146_99 Depth 4
	s_and_b64 vcc, exec, s[14:15]
	s_cbranch_vccz .LBB146_80
; %bb.77:                               ;   in Loop: Header=BB146_76 Depth=2
	v_mov_b32_e32 v0, 0
	s_mov_b32 s6, s20
	s_mov_b32 s18, s20
	;; [unrolled: 1-line block ×5, first 2 shown]
.LBB146_78:                             ;   Parent Loop BB146_73 Depth=1
                                        ;     Parent Loop BB146_76 Depth=2
                                        ; =>    This Inner Loop Header: Depth=3
	s_add_i32 s4, s30, s6
	s_add_i32 s34, s19, s18
	s_ashr_i32 s5, s4, 31
	s_ashr_i32 s35, s34, 31
	s_lshl_b64 s[4:5], s[4:5], 3
	s_lshl_b64 s[34:35], s[34:35], 3
	v_mov_b32_e32 v1, s5
	v_add_co_u32_e64 v4, s[4:5], s4, v10
	v_mov_b32_e32 v3, s35
	v_add_co_u32_e32 v2, vcc, s34, v10
	v_addc_co_u32_e64 v5, s[4:5], v11, v1, s[4:5]
	v_addc_co_u32_e32 v3, vcc, v11, v3, vcc
	global_load_dwordx2 v[6:7], v[4:5], off
	global_load_dwordx2 v[14:15], v[2:3], off
	s_add_i32 s30, s30, 2
	s_add_i32 s19, s19, 2
	s_add_i32 s31, s31, -2
	s_mov_b32 s34, s23
	s_mov_b64 s[4:5], s[16:17]
	s_cmp_lg_u32 s31, 0
	s_waitcnt vmcnt(1)
	v_mov_b32_e32 v2, v6
	s_waitcnt vmcnt(0)
	v_mov_b32_e32 v3, v14
	v_mov_b32_e32 v14, v7
	v_pk_mul_f32 v[4:5], v[14:15], s[12:13]
	v_pk_mul_f32 v[6:7], v[14:15], s[8:9]
	v_pk_fma_f32 v[4:5], v[2:3], s[8:9], v[4:5] neg_lo:[0,0,1] neg_hi:[0,0,1]
	v_pk_fma_f32 v[2:3], v[2:3], s[12:13], v[6:7]
	buffer_store_dword v2, v0, s[0:3], 0 offen offset:4
	buffer_store_dword v4, v0, s[0:3], 0 offen
	buffer_store_dword v3, v0, s[0:3], 0 offen offset:12
	buffer_store_dword v5, v0, s[0:3], 0 offen offset:8
	v_add_u32_e32 v0, 16, v0
	s_cbranch_scc1 .LBB146_78
; %bb.79:                               ;   in Loop: Header=BB146_76 Depth=2
	s_and_b64 vcc, exec, s[4:5]
	s_cbranch_vccnz .LBB146_81
	s_branch .LBB146_83
.LBB146_80:                             ;   in Loop: Header=BB146_76 Depth=2
	s_mov_b32 s34, 0
	s_cbranch_execz .LBB146_83
.LBB146_81:                             ;   in Loop: Header=BB146_76 Depth=2
	s_sub_i32 s4, s22, s34
	s_add_u32 s18, s20, s34
	s_addc_u32 s19, s26, 0
	s_lshl_b64 s[18:19], s[18:19], 3
	v_mov_b32_e32 v1, s19
	v_add_co_u32_e32 v0, vcc, s18, v8
	s_lshl_b32 s5, s34, 3
	v_addc_co_u32_e32 v1, vcc, v9, v1, vcc
	v_add_u32_e32 v2, s5, v12
.LBB146_82:                             ;   Parent Loop BB146_73 Depth=1
                                        ;     Parent Loop BB146_76 Depth=2
                                        ; =>    This Inner Loop Header: Depth=3
	global_load_dwordx2 v[4:5], v[0:1], off offset:-4
	s_add_i32 s4, s4, -1
	v_add_co_u32_e32 v0, vcc, 8, v0
	v_addc_co_u32_e32 v1, vcc, 0, v1, vcc
	s_cmp_eq_u32 s4, 0
	s_waitcnt vmcnt(0)
	v_mul_f32_e32 v3, s25, v5
	v_mul_f32_e32 v5, s24, v5
	v_fma_f32 v3, v4, s24, -v3
	v_fmac_f32_e32 v5, s25, v4
	buffer_store_dword v3, v2, s[0:3], 0 offen
	buffer_store_dword v5, v2, s[0:3], 0 offen offset:4
	v_add_u32_e32 v2, 8, v2
	s_cbranch_scc0 .LBB146_82
.LBB146_83:                             ;   in Loop: Header=BB146_76 Depth=2
	s_cmp_lt_i32 s20, 1
	s_cbranch_scc1 .LBB146_95
; %bb.84:                               ;   in Loop: Header=BB146_76 Depth=2
	s_mov_b32 s6, 0
	s_mov_b32 s30, s20
	s_branch .LBB146_86
.LBB146_85:                             ;   in Loop: Header=BB146_86 Depth=3
	s_add_i32 s6, s6, 1
	s_add_i32 s30, s30, 12
	s_cmp_ge_i32 s6, s20
	s_cbranch_scc1 .LBB146_95
.LBB146_86:                             ;   Parent Loop BB146_73 Depth=1
                                        ;     Parent Loop BB146_76 Depth=2
                                        ; =>    This Loop Header: Depth=3
                                        ;         Child Loop BB146_88 Depth 4
                                        ;         Child Loop BB146_94 Depth 4
	s_lshl_b64 s[4:5], s[6:7], 3
	s_waitcnt vmcnt(0)
	v_mov_b32_e32 v1, s5
	v_add_co_u32_e32 v0, vcc, s4, v10
	v_addc_co_u32_e32 v1, vcc, v11, v1, vcc
	global_load_dwordx2 v[0:1], v[0:1], off
	s_and_b64 vcc, exec, s[14:15]
	s_cbranch_vccz .LBB146_90
; %bb.87:                               ;   in Loop: Header=BB146_86 Depth=3
	s_mul_i32 s4, s6, 12
	s_add_i32 s4, s4, s20
	s_mov_b32 s5, s4
	s_waitcnt vmcnt(0)
	v_mov_b32_e32 v4, v0
	v_mov_b32_e32 v5, v0
	;; [unrolled: 1-line block ×6, first 2 shown]
	s_mov_b32 s18, 1
	s_mov_b32 s19, 0
	;; [unrolled: 1-line block ×3, first 2 shown]
.LBB146_88:                             ;   Parent Loop BB146_73 Depth=1
                                        ;     Parent Loop BB146_76 Depth=2
                                        ;       Parent Loop BB146_86 Depth=3
                                        ; =>      This Inner Loop Header: Depth=4
	buffer_load_dword v14, v3, s[0:3], 0 offen
	buffer_load_dword v16, v3, s[0:3], 0 offen offset:4
	buffer_load_dword v15, v3, s[0:3], 0 offen offset:8
	;; [unrolled: 1-line block ×3, first 2 shown]
	s_add_i32 s34, s5, s18
	s_add_i32 s35, s4, s19
	s_lshl_b32 s35, s35, 3
	s_lshl_b32 s34, s34, 3
	v_mov_b32_e32 v13, s35
	v_mov_b32_e32 v20, s34
	ds_read_b64 v[18:19], v13
	ds_read_b64 v[20:21], v20
	s_add_i32 s19, s19, 2
	s_add_i32 s18, s18, 2
	s_add_i32 s31, s31, -2
	s_waitcnt lgkmcnt(1)
	v_mov_b32_e32 v22, v18
	s_waitcnt lgkmcnt(0)
	v_mov_b32_e32 v23, v20
	v_mov_b32_e32 v20, v19
	v_pk_mul_f32 v[18:19], v[20:21], v[6:7]
	v_pk_mul_f32 v[20:21], v[20:21], v[4:5]
	v_pk_fma_f32 v[18:19], v[22:23], v[4:5], v[18:19] neg_lo:[0,0,1] neg_hi:[0,0,1]
	v_pk_fma_f32 v[20:21], v[22:23], v[6:7], v[20:21]
	s_cmp_lg_u32 s31, 0
	s_waitcnt vmcnt(1)
	v_pk_add_f32 v[14:15], v[14:15], v[18:19] neg_lo:[0,1] neg_hi:[0,1]
	s_waitcnt vmcnt(0)
	v_pk_add_f32 v[16:17], v[16:17], v[20:21] neg_lo:[0,1] neg_hi:[0,1]
	buffer_store_dword v14, v3, s[0:3], 0 offen
	buffer_store_dword v16, v3, s[0:3], 0 offen offset:4
	buffer_store_dword v15, v3, s[0:3], 0 offen offset:8
	;; [unrolled: 1-line block ×3, first 2 shown]
	v_add_u32_e32 v3, 16, v3
	s_cbranch_scc1 .LBB146_88
; %bb.89:                               ;   in Loop: Header=BB146_86 Depth=3
	s_mov_b64 s[4:5], s[16:17]
	s_mov_b32 s18, s23
	s_branch .LBB146_92
.LBB146_90:                             ;   in Loop: Header=BB146_86 Depth=3
	s_mov_b64 s[4:5], 0
                                        ; implicit-def: $vgpr2_vgpr3
	s_mov_b32 s18, s23
	s_cbranch_execz .LBB146_92
; %bb.91:                               ;   in Loop: Header=BB146_86 Depth=3
	s_waitcnt vmcnt(0)
	v_mov_b32_e32 v2, v1
	s_mov_b64 s[4:5], -1
	s_mov_b32 s18, 0
.LBB146_92:                             ;   in Loop: Header=BB146_86 Depth=3
	s_andn2_b64 vcc, exec, s[4:5]
	s_cbranch_vccnz .LBB146_85
; %bb.93:                               ;   in Loop: Header=BB146_86 Depth=3
	s_sub_i32 s4, s22, s18
	s_add_i32 s5, s18, s30
	s_lshl_b32 s18, s18, 3
	s_waitcnt vmcnt(0)
	v_mov_b32_e32 v3, v1
	v_mov_b32_e32 v1, v0
	s_lshl_b32 s5, s5, 3
	v_add_u32_e32 v4, s18, v12
.LBB146_94:                             ;   Parent Loop BB146_73 Depth=1
                                        ;     Parent Loop BB146_76 Depth=2
                                        ;       Parent Loop BB146_86 Depth=3
                                        ; =>      This Inner Loop Header: Depth=4
	buffer_load_dword v6, v4, s[0:3], 0 offen
	buffer_load_dword v7, v4, s[0:3], 0 offen offset:4
	v_mov_b32_e32 v5, s5
	ds_read_b64 v[14:15], v5
	s_add_i32 s4, s4, -1
	s_add_i32 s5, s5, 8
	s_cmp_eq_u32 s4, 0
	s_waitcnt lgkmcnt(0)
	v_pk_mul_f32 v[16:17], v[14:15], v[2:3]
	v_pk_fma_f32 v[18:19], v[14:15], v[0:1], v[16:17] op_sel:[0,0,1] op_sel_hi:[1,1,0] neg_lo:[0,0,1] neg_hi:[0,0,1]
	v_pk_fma_f32 v[14:15], v[14:15], v[0:1], v[16:17] op_sel:[0,0,1] op_sel_hi:[1,1,0]
	v_mov_b32_e32 v19, v15
	s_waitcnt vmcnt(0)
	v_pk_add_f32 v[6:7], v[6:7], v[18:19] neg_lo:[0,1] neg_hi:[0,1]
	buffer_store_dword v6, v4, s[0:3], 0 offen
	buffer_store_dword v7, v4, s[0:3], 0 offen offset:4
	v_add_u32_e32 v4, 8, v4
	s_cbranch_scc0 .LBB146_94
	s_branch .LBB146_85
.LBB146_95:                             ;   in Loop: Header=BB146_76 Depth=2
	s_mov_b32 s6, 0
	s_mov_b32 s30, s28
	s_branch .LBB146_97
.LBB146_96:                             ;   in Loop: Header=BB146_97 Depth=3
	s_mul_i32 s5, s4, 0x68
	v_mov_b32_e32 v2, s5
	ds_read_b64 v[2:3], v2
	s_lshl_b32 s5, s6, 3
	v_add_u32_e32 v6, s5, v12
	s_ashr_i32 s5, s4, 31
	s_lshl_b64 s[4:5], s[4:5], 3
	s_waitcnt vmcnt(0) lgkmcnt(0)
	v_mul_f32_e32 v4, v3, v1
	v_mul_f32_e32 v5, v2, v1
	v_fma_f32 v4, v2, v0, -v4
	v_fmac_f32_e32 v5, v3, v0
	v_mov_b32_e32 v1, s5
	v_add_co_u32_e32 v0, vcc, s4, v10
	s_add_i32 s6, s6, 1
	s_add_i32 s30, s30, 8
	v_addc_co_u32_e32 v1, vcc, v11, v1, vcc
	s_cmp_eq_u32 s6, s22
	buffer_store_dword v4, v6, s[0:3], 0 offen
	buffer_store_dword v5, v6, s[0:3], 0 offen offset:4
	global_store_dwordx2 v[0:1], v[4:5], off
	s_cbranch_scc1 .LBB146_75
.LBB146_97:                             ;   Parent Loop BB146_73 Depth=1
                                        ;     Parent Loop BB146_76 Depth=2
                                        ; =>    This Loop Header: Depth=3
                                        ;         Child Loop BB146_99 Depth 4
	s_cmp_lg_u32 s6, 0
	s_cbranch_scc0 .LBB146_101
; %bb.98:                               ;   in Loop: Header=BB146_97 Depth=3
	s_lshl_b32 s4, s6, 3
	v_add_u32_e32 v2, s4, v12
	buffer_load_dword v0, v2, s[0:3], 0 offen
	buffer_load_dword v1, v2, s[0:3], 0 offen offset:4
	v_mov_b32_e32 v3, 0
	s_mov_b32 s4, 0
	s_mov_b32 s5, s30
.LBB146_99:                             ;   Parent Loop BB146_73 Depth=1
                                        ;     Parent Loop BB146_76 Depth=2
                                        ;       Parent Loop BB146_97 Depth=3
                                        ; =>      This Inner Loop Header: Depth=4
	buffer_load_dword v5, v3, s[0:3], 0 offen offset:4
	buffer_load_dword v4, v3, s[0:3], 0 offen
	v_mov_b32_e32 v6, s5
	ds_read_b64 v[6:7], v6
	s_add_i32 s4, s4, 1
	s_addk_i32 s5, 0x60
	v_add_u32_e32 v3, 8, v3
	s_cmp_ge_u32 s4, s6
	s_waitcnt vmcnt(1)
	v_mov_b32_e32 v14, v5
	s_waitcnt lgkmcnt(0)
	v_pk_mul_f32 v[14:15], v[6:7], v[14:15] op_sel_hi:[1,0]
	s_waitcnt vmcnt(0)
	v_pk_fma_f32 v[16:17], v[6:7], v[4:5], v[14:15] op_sel:[0,0,1] op_sel_hi:[1,1,0] neg_lo:[0,0,1] neg_hi:[0,0,1]
	v_pk_fma_f32 v[4:5], v[6:7], v[4:5], v[14:15] op_sel:[0,0,1] op_sel_hi:[1,0,0]
	v_mov_b32_e32 v17, v5
	v_pk_add_f32 v[0:1], v[0:1], v[16:17] neg_lo:[0,1] neg_hi:[0,1]
	buffer_store_dword v0, v2, s[0:3], 0 offen
	buffer_store_dword v1, v2, s[0:3], 0 offen offset:4
	s_cbranch_scc0 .LBB146_99
; %bb.100:                              ;   in Loop: Header=BB146_97 Depth=3
	s_add_i32 s4, s6, s20
	s_branch .LBB146_96
.LBB146_101:                            ;   in Loop: Header=BB146_97 Depth=3
                                        ; implicit-def: $vgpr0
                                        ; implicit-def: $sgpr4
	s_cbranch_execz .LBB146_96
; %bb.102:                              ;   in Loop: Header=BB146_97 Depth=3
	buffer_load_dword v0, off, s[0:3], 0
	buffer_load_dword v1, off, s[0:3], 0 offset:4
	s_mov_b32 s4, s20
	s_branch .LBB146_96
.LBB146_103:
	s_endpgm
	.section	.rodata,"a",@progbits
	.p2align	6, 0x0
	.amdhsa_kernel _ZL30rocblas_trsm_small_left_deviceILi12ELi12ELb1E19rocblas_complex_numIfES1_PKS1_PS1_Ev13rocblas_fill_18rocblas_operation_17rocblas_diagonal_iiT3_T4_lilT5_lili
		.amdhsa_group_segment_fixed_size 1152
		.amdhsa_private_segment_fixed_size 112
		.amdhsa_kernarg_size 360
		.amdhsa_user_sgpr_count 8
		.amdhsa_user_sgpr_private_segment_buffer 1
		.amdhsa_user_sgpr_dispatch_ptr 0
		.amdhsa_user_sgpr_queue_ptr 0
		.amdhsa_user_sgpr_kernarg_segment_ptr 1
		.amdhsa_user_sgpr_dispatch_id 0
		.amdhsa_user_sgpr_flat_scratch_init 1
		.amdhsa_user_sgpr_kernarg_preload_length 0
		.amdhsa_user_sgpr_kernarg_preload_offset 0
		.amdhsa_user_sgpr_private_segment_size 0
		.amdhsa_uses_dynamic_stack 0
		.amdhsa_system_sgpr_private_segment_wavefront_offset 1
		.amdhsa_system_sgpr_workgroup_id_x 1
		.amdhsa_system_sgpr_workgroup_id_y 0
		.amdhsa_system_sgpr_workgroup_id_z 1
		.amdhsa_system_sgpr_workgroup_info 0
		.amdhsa_system_vgpr_workitem_id 0
		.amdhsa_next_free_vgpr 26
		.amdhsa_next_free_sgpr 46
		.amdhsa_accum_offset 28
		.amdhsa_reserve_vcc 1
		.amdhsa_reserve_flat_scratch 0
		.amdhsa_float_round_mode_32 0
		.amdhsa_float_round_mode_16_64 0
		.amdhsa_float_denorm_mode_32 3
		.amdhsa_float_denorm_mode_16_64 3
		.amdhsa_dx10_clamp 1
		.amdhsa_ieee_mode 1
		.amdhsa_fp16_overflow 0
		.amdhsa_tg_split 0
		.amdhsa_exception_fp_ieee_invalid_op 0
		.amdhsa_exception_fp_denorm_src 0
		.amdhsa_exception_fp_ieee_div_zero 0
		.amdhsa_exception_fp_ieee_overflow 0
		.amdhsa_exception_fp_ieee_underflow 0
		.amdhsa_exception_fp_ieee_inexact 0
		.amdhsa_exception_int_div_zero 0
	.end_amdhsa_kernel
	.section	.text._ZL30rocblas_trsm_small_left_deviceILi12ELi12ELb1E19rocblas_complex_numIfES1_PKS1_PS1_Ev13rocblas_fill_18rocblas_operation_17rocblas_diagonal_iiT3_T4_lilT5_lili,"axG",@progbits,_ZL30rocblas_trsm_small_left_deviceILi12ELi12ELb1E19rocblas_complex_numIfES1_PKS1_PS1_Ev13rocblas_fill_18rocblas_operation_17rocblas_diagonal_iiT3_T4_lilT5_lili,comdat
.Lfunc_end146:
	.size	_ZL30rocblas_trsm_small_left_deviceILi12ELi12ELb1E19rocblas_complex_numIfES1_PKS1_PS1_Ev13rocblas_fill_18rocblas_operation_17rocblas_diagonal_iiT3_T4_lilT5_lili, .Lfunc_end146-_ZL30rocblas_trsm_small_left_deviceILi12ELi12ELb1E19rocblas_complex_numIfES1_PKS1_PS1_Ev13rocblas_fill_18rocblas_operation_17rocblas_diagonal_iiT3_T4_lilT5_lili
                                        ; -- End function
	.section	.AMDGPU.csdata,"",@progbits
; Kernel info:
; codeLenInByte = 4356
; NumSgprs: 50
; NumVgprs: 26
; NumAgprs: 0
; TotalNumVgprs: 26
; ScratchSize: 112
; MemoryBound: 0
; FloatMode: 240
; IeeeMode: 1
; LDSByteSize: 1152 bytes/workgroup (compile time only)
; SGPRBlocks: 6
; VGPRBlocks: 3
; NumSGPRsForWavesPerEU: 50
; NumVGPRsForWavesPerEU: 26
; AccumOffset: 28
; Occupancy: 8
; WaveLimiterHint : 0
; COMPUTE_PGM_RSRC2:SCRATCH_EN: 1
; COMPUTE_PGM_RSRC2:USER_SGPR: 8
; COMPUTE_PGM_RSRC2:TRAP_HANDLER: 0
; COMPUTE_PGM_RSRC2:TGID_X_EN: 1
; COMPUTE_PGM_RSRC2:TGID_Y_EN: 0
; COMPUTE_PGM_RSRC2:TGID_Z_EN: 1
; COMPUTE_PGM_RSRC2:TIDIG_COMP_CNT: 0
; COMPUTE_PGM_RSRC3_GFX90A:ACCUM_OFFSET: 6
; COMPUTE_PGM_RSRC3_GFX90A:TG_SPLIT: 0
	.section	.text._ZL31rocblas_trsm_small_right_deviceI19rocblas_complex_numIfES1_PKS1_PS1_Li12EEv13rocblas_fill_18rocblas_operation_17rocblas_diagonal_iiT0_T1_lilT2_lili,"axG",@progbits,_ZL31rocblas_trsm_small_right_deviceI19rocblas_complex_numIfES1_PKS1_PS1_Li12EEv13rocblas_fill_18rocblas_operation_17rocblas_diagonal_iiT0_T1_lilT2_lili,comdat
	.globl	_ZL31rocblas_trsm_small_right_deviceI19rocblas_complex_numIfES1_PKS1_PS1_Li12EEv13rocblas_fill_18rocblas_operation_17rocblas_diagonal_iiT0_T1_lilT2_lili ; -- Begin function _ZL31rocblas_trsm_small_right_deviceI19rocblas_complex_numIfES1_PKS1_PS1_Li12EEv13rocblas_fill_18rocblas_operation_17rocblas_diagonal_iiT0_T1_lilT2_lili
	.p2align	8
	.type	_ZL31rocblas_trsm_small_right_deviceI19rocblas_complex_numIfES1_PKS1_PS1_Li12EEv13rocblas_fill_18rocblas_operation_17rocblas_diagonal_iiT0_T1_lilT2_lili,@function
_ZL31rocblas_trsm_small_right_deviceI19rocblas_complex_numIfES1_PKS1_PS1_Li12EEv13rocblas_fill_18rocblas_operation_17rocblas_diagonal_iiT0_T1_lilT2_lili: ; @_ZL31rocblas_trsm_small_right_deviceI19rocblas_complex_numIfES1_PKS1_PS1_Li12EEv13rocblas_fill_18rocblas_operation_17rocblas_diagonal_iiT0_T1_lilT2_lili
; %bb.0:
	s_load_dwordx8 s[12:19], s[4:5], 0x0
	s_load_dwordx4 s[20:23], s[4:5], 0x38
	s_load_dwordx2 s[26:27], s[4:5], 0x48
	s_waitcnt lgkmcnt(0)
	s_load_dword s19, s[4:5], 0x68
	s_mov_b32 s40, 0
	s_min_i32 s33, s16, 12
	s_add_i32 s42, s33, -1
	v_cmp_gt_i32_e32 vcc, s33, v0
	s_and_saveexec_b64 s[24:25], vcc
	s_cbranch_execz .LBB147_29
; %bb.1:
	s_load_dword s28, s[4:5], 0x30
	s_load_dwordx4 s[8:11], s[4:5], 0x20
	s_mul_i32 s0, s7, s21
	s_mul_hi_u32 s1, s7, s20
	s_mul_i32 s20, s7, s20
	s_waitcnt lgkmcnt(0)
	s_ashr_i32 s29, s28, 31
	s_cmpk_lg_i32 s13, 0x71
	s_cselect_b64 s[30:31], -1, 0
	s_add_i32 s21, s1, s0
	v_cndmask_b32_e64 v1, 0, 1, s[30:31]
	s_cmp_lt_u32 s42, 3
	v_cmp_ne_u32_e64 s[0:1], 1, v1
	s_cbranch_scc1 .LBB147_20
; %bb.2:
	s_lshl_b64 s[2:3], s[20:21], 3
	s_add_u32 s34, s8, s2
	s_addc_u32 s35, s9, s3
	s_lshl_b64 s[2:3], s[10:11], 3
	s_add_u32 s2, s34, s2
	s_addc_u32 s3, s35, s3
	v_lshlrev_b32_e32 v1, 3, v0
	v_mov_b32_e32 v3, s3
	v_add_co_u32_e32 v2, vcc, s2, v1
	s_mul_hi_i32 s2, s28, 24
	s_lshl_b64 s[34:35], s[28:29], 5
	s_lshl_b64 s[36:37], s[28:29], 4
	;; [unrolled: 1-line block ×3, first 2 shown]
	v_addc_co_u32_e32 v3, vcc, 0, v3, vcc
	s_and_b32 s40, s33, -4
	s_mul_i32 s41, s28, 24
	s_mov_b32 s43, 0
	v_mov_b32_e32 v8, s39
	v_mov_b32_e32 v9, s37
	;; [unrolled: 1-line block ×4, first 2 shown]
	s_branch .LBB147_4
.LBB147_3:                              ;   in Loop: Header=BB147_4 Depth=1
	global_load_dword v4, v[6:7], off
	s_add_i32 s43, s43, 4
	v_add_co_u32_e32 v2, vcc, s34, v2
	v_addc_co_u32_e32 v3, vcc, v3, v11, vcc
	s_cmp_eq_u32 s40, s43
	s_waitcnt vmcnt(0)
	ds_write_b64 v1, v[4:5] offset:288
	v_add_u32_e32 v1, 0x180, v1
	s_cbranch_scc1 .LBB147_20
.LBB147_4:                              ; =>This Inner Loop Header: Depth=1
	s_and_b64 vcc, exec, s[30:31]
	s_cbranch_vccz .LBB147_6
; %bb.5:                                ;   in Loop: Header=BB147_4 Depth=1
	global_load_dword v5, v[2:3], off offset:4
	s_cbranch_execz .LBB147_7
	s_branch .LBB147_8
.LBB147_6:                              ;   in Loop: Header=BB147_4 Depth=1
                                        ; implicit-def: $vgpr5
.LBB147_7:                              ;   in Loop: Header=BB147_4 Depth=1
	global_load_dword v4, v[2:3], off offset:4
	s_waitcnt vmcnt(0)
	v_xor_b32_e32 v5, 0x80000000, v4
.LBB147_8:                              ;   in Loop: Header=BB147_4 Depth=1
	global_load_dword v4, v[2:3], off
	v_add_co_u32_e64 v6, s[2:3], s38, v2
	s_and_b64 vcc, exec, s[0:1]
	v_addc_co_u32_e64 v7, s[2:3], v3, v8, s[2:3]
	s_waitcnt vmcnt(0)
	ds_write_b64 v1, v[4:5]
	s_cbranch_vccnz .LBB147_10
; %bb.9:                                ;   in Loop: Header=BB147_4 Depth=1
	global_load_dword v5, v[6:7], off offset:4
	s_cbranch_execz .LBB147_11
	s_branch .LBB147_12
.LBB147_10:                             ;   in Loop: Header=BB147_4 Depth=1
                                        ; implicit-def: $vgpr5
.LBB147_11:                             ;   in Loop: Header=BB147_4 Depth=1
	global_load_dword v4, v[6:7], off offset:4
	s_waitcnt vmcnt(0)
	v_xor_b32_e32 v5, 0x80000000, v4
.LBB147_12:                             ;   in Loop: Header=BB147_4 Depth=1
	global_load_dword v4, v[6:7], off
	v_add_co_u32_e64 v6, s[2:3], s36, v2
	s_and_b64 vcc, exec, s[0:1]
	v_addc_co_u32_e64 v7, s[2:3], v3, v9, s[2:3]
	s_waitcnt vmcnt(0)
	ds_write_b64 v1, v[4:5] offset:96
	s_cbranch_vccnz .LBB147_14
; %bb.13:                               ;   in Loop: Header=BB147_4 Depth=1
	global_load_dword v5, v[6:7], off offset:4
	s_cbranch_execz .LBB147_15
	s_branch .LBB147_16
.LBB147_14:                             ;   in Loop: Header=BB147_4 Depth=1
                                        ; implicit-def: $vgpr5
.LBB147_15:                             ;   in Loop: Header=BB147_4 Depth=1
	global_load_dword v4, v[6:7], off offset:4
	s_waitcnt vmcnt(0)
	v_xor_b32_e32 v5, 0x80000000, v4
.LBB147_16:                             ;   in Loop: Header=BB147_4 Depth=1
	global_load_dword v4, v[6:7], off
	v_add_co_u32_e64 v6, s[2:3], s41, v2
	s_and_b64 vcc, exec, s[0:1]
	v_addc_co_u32_e64 v7, s[2:3], v3, v10, s[2:3]
	s_waitcnt vmcnt(0)
	ds_write_b64 v1, v[4:5] offset:192
	s_cbranch_vccnz .LBB147_18
; %bb.17:                               ;   in Loop: Header=BB147_4 Depth=1
	global_load_dword v5, v[6:7], off offset:4
	s_cbranch_execnz .LBB147_3
	s_branch .LBB147_19
.LBB147_18:                             ;   in Loop: Header=BB147_4 Depth=1
                                        ; implicit-def: $vgpr5
.LBB147_19:                             ;   in Loop: Header=BB147_4 Depth=1
	global_load_dword v4, v[6:7], off offset:4
	s_waitcnt vmcnt(0)
	v_xor_b32_e32 v5, 0x80000000, v4
	s_branch .LBB147_3
.LBB147_20:
	s_and_b32 s30, s33, 3
	s_cmp_eq_u32 s30, 0
	s_cbranch_scc1 .LBB147_27
; %bb.21:
	s_mul_i32 s2, s40, 0x60
	v_lshl_add_u32 v1, v0, 3, s2
	s_lshl_b64 s[2:3], s[20:21], 3
	s_mul_i32 s20, s29, s40
	s_mul_hi_u32 s21, s28, s40
	s_add_i32 s21, s21, s20
	s_mul_i32 s20, s28, s40
	s_lshl_b64 s[20:21], s[20:21], 3
	s_add_u32 s20, s2, s20
	s_addc_u32 s21, s3, s21
	s_lshl_b64 s[2:3], s[10:11], 3
	s_add_u32 s2, s20, s2
	s_addc_u32 s3, s21, s3
	s_add_u32 s2, s8, s2
	v_lshlrev_b32_e32 v2, 3, v0
	s_addc_u32 s3, s9, s3
	v_mov_b32_e32 v3, s3
	v_add_co_u32_e32 v2, vcc, s2, v2
	v_addc_co_u32_e32 v3, vcc, 0, v3, vcc
	v_add_co_u32_e32 v2, vcc, 4, v2
	s_lshl_b64 s[2:3], s[28:29], 3
	v_addc_co_u32_e32 v3, vcc, 0, v3, vcc
	v_mov_b32_e32 v6, s3
	s_branch .LBB147_23
.LBB147_22:                             ;   in Loop: Header=BB147_23 Depth=1
	global_load_dword v4, v[2:3], off offset:-4
	s_add_i32 s30, s30, -1
	v_add_co_u32_e32 v2, vcc, s2, v2
	s_cmp_lg_u32 s30, 0
	v_addc_co_u32_e32 v3, vcc, v3, v6, vcc
	s_waitcnt vmcnt(0)
	ds_write_b64 v1, v[4:5]
	v_add_u32_e32 v1, 0x60, v1
	s_cbranch_scc0 .LBB147_27
.LBB147_23:                             ; =>This Inner Loop Header: Depth=1
	s_and_b64 vcc, exec, s[0:1]
	s_cbranch_vccnz .LBB147_25
; %bb.24:                               ;   in Loop: Header=BB147_23 Depth=1
	global_load_dword v5, v[2:3], off
	s_cbranch_execnz .LBB147_22
	s_branch .LBB147_26
.LBB147_25:                             ;   in Loop: Header=BB147_23 Depth=1
                                        ; implicit-def: $vgpr5
.LBB147_26:                             ;   in Loop: Header=BB147_23 Depth=1
	global_load_dword v4, v[2:3], off
	s_waitcnt vmcnt(0)
	v_xor_b32_e32 v5, 0x80000000, v4
	s_branch .LBB147_22
.LBB147_27:
	s_cmpk_eq_i32 s14, 0x84
	s_cbranch_scc0 .LBB147_29
; %bb.28:
	v_mul_u32_u24_e32 v1, 13, v0
	v_lshlrev_b32_e32 v1, 3, v1
	v_mov_b32_e32 v2, 1.0
	v_mov_b32_e32 v3, 0
	ds_write_b64 v1, v[2:3]
.LBB147_29:
	s_or_b64 exec, exec, s[24:25]
	s_load_dwordx2 s[0:1], s[4:5], 0x58
	s_load_dword s14, s[4:5], 0x50
	s_mul_i32 s39, s6, 0x60
	s_mul_hi_i32 s38, s6, 0x60
	s_waitcnt lgkmcnt(0)
	s_mul_i32 s1, s7, s1
	s_mul_hi_u32 s2, s7, s0
	s_mul_i32 s0, s7, s0
	s_add_i32 s1, s2, s1
	s_lshl_b64 s[24:25], s[0:1], 3
	s_add_u32 s0, s22, s24
	s_addc_u32 s1, s23, s25
	s_lshl_b64 s[20:21], s[26:27], 3
	s_add_u32 s0, s0, s20
	s_mul_i32 s2, s6, -12
	s_addc_u32 s1, s1, s21
	s_add_i32 s19, s19, -1
	s_add_i32 s2, s2, s15
	s_cmp_ge_u32 s6, s19
	s_cselect_b32 s2, s2, 12
	s_add_u32 s40, s0, s39
	s_addc_u32 s41, s1, s38
	s_cmp_gt_i32 s16, 0
	v_cmp_gt_i32_e32 vcc, s2, v0
	s_cselect_b64 s[2:3], -1, 0
	s_mov_b32 s0, 0
	s_and_b64 s[26:27], vcc, s[2:3]
	s_and_saveexec_b64 s[28:29], s[26:27]
	s_cbranch_execz .LBB147_41
; %bb.30:
	s_cmp_lt_u32 s16, 2
	s_cselect_b64 s[4:5], -1, 0
	s_cmp_lg_u32 s14, 1
	s_cselect_b64 s[6:7], -1, 0
	s_or_b64 s[4:5], s[4:5], s[6:7]
	s_mov_b32 s1, 1
	s_mov_b64 s[2:3], -1
	s_and_b64 vcc, exec, s[4:5]
	s_cbranch_vccnz .LBB147_38
; %bb.31:
	s_add_i32 s0, s16, -2
	v_lshlrev_b32_e32 v1, 3, v0
	s_lshr_b32 s15, s0, 1
	v_mov_b32_e32 v2, s41
	v_add_co_u32_e32 v1, vcc, s40, v1
	s_add_i32 s15, s15, 1
	s_mov_b32 s35, 0
	v_addc_co_u32_e32 v2, vcc, 0, v2, vcc
	s_mov_b32 s30, s17
	s_mov_b32 s31, s17
	;; [unrolled: 1-line block ×3, first 2 shown]
	s_cmp_lt_u32 s0, 6
	s_mov_b32 s0, s35
	s_cbranch_scc1 .LBB147_35
; %bb.32:
	s_and_b32 s43, s15, -4
	s_mov_b32 s36, 1
	s_mov_b32 s34, s35
.LBB147_33:                             ; =>This Inner Loop Header: Depth=1
	s_lshl_b64 s[0:1], s[34:35], 3
	s_mov_b32 s37, s35
	s_add_i32 s2, s36, 2
	s_add_i32 s4, s34, 2
	s_mov_b32 s5, s35
	s_mov_b32 s3, s35
	s_add_i32 s6, s36, 4
	s_add_i32 s8, s34, 4
	s_mov_b32 s9, s35
	;; [unrolled: 4-line block ×3, first 2 shown]
	s_mov_b32 s11, s35
	v_mov_b32_e32 v3, s1
	v_add_co_u32_e32 v4, vcc, s0, v1
	s_lshl_b64 s[46:47], s[36:37], 3
	s_lshl_b64 s[4:5], s[4:5], 3
	s_lshl_b64 s[2:3], s[2:3], 3
	s_lshl_b64 s[8:9], s[8:9], 3
	s_lshl_b64 s[6:7], s[6:7], 3
	s_lshl_b64 s[44:45], s[44:45], 3
	s_lshl_b64 s[10:11], s[10:11], 3
	v_addc_co_u32_e32 v5, vcc, v2, v3, vcc
	v_mov_b32_e32 v3, s47
	v_mov_b32_e32 v7, s5
	v_add_co_u32_e32 v6, vcc, s4, v1
	v_mov_b32_e32 v9, s3
	v_add_co_u32_e64 v8, s[0:1], s2, v1
	v_mov_b32_e32 v11, s9
	v_add_co_u32_e64 v10, s[2:3], s8, v1
	;; [unrolled: 2-line block ×5, first 2 shown]
	v_add_co_u32_e64 v18, s[10:11], s46, v1
	v_addc_co_u32_e64 v19, s[10:11], v2, v3, s[10:11]
	v_addc_co_u32_e32 v7, vcc, v2, v7, vcc
	v_addc_co_u32_e64 v9, vcc, v2, v9, s[0:1]
	v_addc_co_u32_e64 v11, vcc, v2, v11, s[2:3]
	;; [unrolled: 1-line block ×5, first 2 shown]
	global_load_dwordx2 v[20:21], v[4:5], off
	global_load_dwordx2 v[22:23], v[18:19], off
	;; [unrolled: 1-line block ×8, first 2 shown]
	s_mul_i32 s0, s36, 12
	s_mul_i32 s1, s34, 12
	s_add_i32 s34, s34, 8
	s_add_i32 s43, s43, -4
	v_add_lshl_u32 v3, s1, v0, 3
	v_add_lshl_u32 v36, s0, v0, 3
	s_add_i32 s2, s0, 24
	s_add_i32 s3, s1, 24
	;; [unrolled: 1-line block ×4, first 2 shown]
	s_addk_i32 s0, 0x48
	s_addk_i32 s1, 0x48
	s_add_i32 s36, s36, 8
	s_cmp_lg_u32 s43, 0
	v_add_lshl_u32 v37, s3, v0, 3
	v_add_lshl_u32 v38, s2, v0, 3
	;; [unrolled: 1-line block ×6, first 2 shown]
	s_waitcnt vmcnt(7)
	v_mov_b32_e32 v4, v20
	s_waitcnt vmcnt(6)
	v_mov_b32_e32 v5, v22
	v_mov_b32_e32 v22, v21
	s_waitcnt vmcnt(4)
	v_mov_b32_e32 v7, v26
	v_mov_b32_e32 v26, v25
	s_waitcnt vmcnt(2)
	v_mov_b32_e32 v9, v30
	v_mov_b32_e32 v30, v29
	s_waitcnt vmcnt(0)
	v_mov_b32_e32 v11, v34
	v_mov_b32_e32 v34, v33
	v_pk_mul_f32 v[12:13], s[18:19], v[22:23]
	v_pk_mul_f32 v[14:15], s[30:31], v[22:23]
	v_mov_b32_e32 v6, v24
	v_mov_b32_e32 v8, v28
	;; [unrolled: 1-line block ×3, first 2 shown]
	v_pk_mul_f32 v[16:17], s[18:19], v[26:27]
	v_pk_mul_f32 v[18:19], s[30:31], v[26:27]
	;; [unrolled: 1-line block ×6, first 2 shown]
	v_pk_fma_f32 v[12:13], s[30:31], v[4:5], v[12:13] neg_lo:[0,0,1] neg_hi:[0,0,1]
	v_pk_fma_f32 v[4:5], s[18:19], v[4:5], v[14:15]
	v_pk_fma_f32 v[14:15], s[30:31], v[6:7], v[16:17] neg_lo:[0,0,1] neg_hi:[0,0,1]
	v_pk_fma_f32 v[6:7], s[18:19], v[6:7], v[18:19]
	;; [unrolled: 2-line block ×4, first 2 shown]
	v_mov_b32_e32 v20, v12
	v_mov_b32_e32 v21, v4
	;; [unrolled: 1-line block ×12, first 2 shown]
	ds_write_b64 v3, v[20:21] offset:1152
	ds_write_b64 v36, v[4:5] offset:1152
	;; [unrolled: 1-line block ×8, first 2 shown]
	s_cbranch_scc1 .LBB147_33
; %bb.34:
	s_mov_b32 s35, s36
	s_mov_b64 s[0:1], s[34:35]
.LBB147_35:
	s_and_b32 s4, s15, 3
	s_cmp_eq_u32 s4, 0
	s_mov_b32 s3, 0
	s_cbranch_scc1 .LBB147_37
.LBB147_36:                             ; =>This Inner Loop Header: Depth=1
	s_mov_b32 s2, s0
	s_lshl_b64 s[6:7], s[2:3], 3
	s_mov_b32 s2, s1
	v_mov_b32_e32 v3, s7
	v_add_co_u32_e32 v4, vcc, s6, v1
	s_lshl_b64 s[8:9], s[2:3], 3
	v_addc_co_u32_e32 v5, vcc, v2, v3, vcc
	v_mov_b32_e32 v3, s9
	v_add_co_u32_e32 v6, vcc, s8, v1
	v_addc_co_u32_e32 v7, vcc, v2, v3, vcc
	global_load_dwordx2 v[8:9], v[4:5], off
	global_load_dwordx2 v[10:11], v[6:7], off
	s_mul_i32 s2, s1, 12
	s_mul_i32 s5, s0, 12
	s_add_i32 s0, s0, 2
	s_add_i32 s4, s4, -1
	s_add_i32 s1, s1, 2
	v_add_lshl_u32 v3, s5, v0, 3
	s_cmp_lg_u32 s4, 0
	v_add_lshl_u32 v12, s2, v0, 3
	s_waitcnt vmcnt(1)
	v_mov_b32_e32 v4, v8
	s_waitcnt vmcnt(0)
	v_mov_b32_e32 v5, v10
	v_mov_b32_e32 v10, v9
	v_pk_mul_f32 v[6:7], s[18:19], v[10:11]
	v_pk_mul_f32 v[8:9], s[30:31], v[10:11]
	v_pk_fma_f32 v[6:7], s[30:31], v[4:5], v[6:7] neg_lo:[0,0,1] neg_hi:[0,0,1]
	v_pk_fma_f32 v[4:5], s[18:19], v[4:5], v[8:9]
	v_mov_b32_e32 v8, v6
	v_mov_b32_e32 v9, v4
	;; [unrolled: 1-line block ×3, first 2 shown]
	ds_write_b64 v3, v[8:9] offset:1152
	ds_write_b64 v12, v[4:5] offset:1152
	s_cbranch_scc1 .LBB147_36
.LBB147_37:
	s_and_b32 s0, s16, 0x7ffffffe
	s_cmp_lg_u32 s0, s16
	s_cselect_b64 s[2:3], -1, 0
.LBB147_38:
	s_and_b64 vcc, exec, s[2:3]
	s_cbranch_vccz .LBB147_41
; %bb.39:
	s_mul_i32 s1, s0, 0x60
	s_sub_i32 s2, s16, s0
	v_lshl_add_u32 v1, v0, 3, s1
	s_mul_hi_i32 s1, s14, s0
	s_mul_i32 s0, s14, s0
	s_ashr_i32 s15, s14, 31
	s_lshl_b64 s[0:1], s[0:1], 3
	s_add_u32 s0, s24, s0
	s_addc_u32 s1, s25, s1
	s_add_u32 s0, s0, s39
	s_addc_u32 s1, s1, s38
	;; [unrolled: 2-line block ×3, first 2 shown]
	s_add_u32 s0, s22, s0
	v_lshlrev_b32_e32 v2, 3, v0
	s_addc_u32 s1, s23, s1
	v_mov_b32_e32 v3, s1
	v_add_co_u32_e32 v2, vcc, s0, v2
	v_addc_co_u32_e32 v3, vcc, 0, v3, vcc
	v_add_co_u32_e32 v2, vcc, 4, v2
	s_lshl_b64 s[0:1], s[14:15], 3
	v_add_u32_e32 v1, 0x480, v1
	v_addc_co_u32_e32 v3, vcc, 0, v3, vcc
	v_mov_b32_e32 v4, s1
.LBB147_40:                             ; =>This Inner Loop Header: Depth=1
	global_load_dwordx2 v[6:7], v[2:3], off offset:-4
	s_add_i32 s2, s2, -1
	v_add_co_u32_e32 v2, vcc, s0, v2
	v_addc_co_u32_e32 v3, vcc, v3, v4, vcc
	s_cmp_lg_u32 s2, 0
	s_waitcnt vmcnt(0)
	v_mul_f32_e32 v5, s18, v7
	v_mul_f32_e32 v9, s17, v7
	v_fma_f32 v8, s17, v6, -v5
	v_fmac_f32_e32 v9, s18, v6
	ds_write_b64 v1, v[8:9]
	v_add_u32_e32 v1, 0x60, v1
	s_cbranch_scc1 .LBB147_40
.LBB147_41:
	s_or_b64 exec, exec, s[28:29]
	s_cmpk_eq_i32 s13, 0x6f
	s_cselect_b64 s[0:1], -1, 0
	s_cmpk_eq_i32 s12, 0x79
	s_cselect_b64 s[4:5], -1, 0
	s_cmpk_lg_i32 s12, 0x79
	s_cselect_b64 s[2:3], -1, 0
	s_and_b64 s[4:5], s[4:5], s[0:1]
	s_andn2_b64 vcc, exec, s[4:5]
	s_mov_b64 s[4:5], -1
	s_waitcnt lgkmcnt(0)
	; wave barrier
	s_waitcnt lgkmcnt(0)
	s_cbranch_vccz .LBB147_149
; %bb.42:
	s_cmpk_lg_i32 s12, 0x7a
	s_cselect_b64 s[6:7], -1, 0
	s_xor_b64 s[0:1], s[0:1], -1
	s_or_b64 s[6:7], s[6:7], s[0:1]
	s_cmp_gt_i32 s16, 3
	s_cselect_b64 s[0:1], -1, 0
	s_and_b64 vcc, exec, s[6:7]
	s_cbranch_vccz .LBB147_116
; %bb.43:
	s_andn2_b64 vcc, exec, s[2:3]
	s_mov_b64 s[2:3], -1
	s_cbranch_vccnz .LBB147_83
; %bb.44:
	s_andn2_b64 vcc, exec, s[0:1]
	s_mov_b32 s6, 0
	s_cbranch_vccnz .LBB147_67
; %bb.45:
	v_mov_b32_e32 v1, 0x480
	v_lshl_or_b32 v1, v0, 3, v1
	s_mov_b32 s4, 0
	s_mov_b32 s5, 0
.LBB147_46:                             ; =>This Loop Header: Depth=1
                                        ;     Child Loop BB147_48 Depth 2
	s_mul_i32 s6, s5, 12
	v_add_lshl_u32 v8, s6, v0, 3
	s_add_i32 s7, s6, 12
	s_add_i32 s6, s6, 24
	v_add_lshl_u32 v12, s6, v0, 3
	v_add_lshl_u32 v9, s7, v0, 3
	ds_read_b64 v[6:7], v8 offset:1152
	ds_read_b64 v[10:11], v9 offset:1152
	ds_read2_b64 v[2:5], v12 offset0:144 offset1:156
	s_cmp_eq_u32 s5, 0
	s_cbranch_scc1 .LBB147_49
; %bb.47:                               ;   in Loop: Header=BB147_46 Depth=1
	s_mov_b32 s2, 0
	v_mov_b32_e32 v13, v1
	s_mov_b32 s3, s4
.LBB147_48:                             ;   Parent Loop BB147_46 Depth=1
                                        ; =>  This Inner Loop Header: Depth=2
	ds_read2_b64 v[14:17], v13 offset1:12
	v_mov_b32_e32 v30, s3
	ds_read_b128 v[18:21], v30
	ds_read_b128 v[22:25], v30 offset:16
	ds_read_b128 v[26:29], v30 offset:96
	ds_read_b128 v[30:33], v30 offset:112
	s_add_i32 s2, s2, 2
	s_addk_i32 s3, 0xc0
	s_waitcnt lgkmcnt(3)
	v_mul_f32_e32 v34, v19, v15
	v_mul_f32_e32 v35, v18, v15
	v_mul_f32_e32 v36, v21, v15
	v_mul_f32_e32 v21, v21, v14
	s_waitcnt lgkmcnt(2)
	v_mul_f32_e32 v37, v23, v15
	v_mul_f32_e32 v23, v23, v14
	v_mul_f32_e32 v38, v25, v15
	v_mul_f32_e32 v25, v25, v14
	;; [unrolled: 5-line block ×4, first 2 shown]
	v_fma_f32 v18, v18, v14, -v34
	v_fmac_f32_e32 v35, v19, v14
	v_fma_f32 v19, v20, v14, -v36
	v_fmac_f32_e32 v21, v20, v15
	;; [unrolled: 2-line block ×8, first 2 shown]
	v_sub_f32_e32 v6, v6, v18
	v_sub_f32_e32 v7, v7, v35
	v_sub_f32_e32 v10, v10, v19
	v_sub_f32_e32 v11, v11, v21
	v_sub_f32_e32 v2, v2, v20
	v_sub_f32_e32 v3, v3, v23
	v_sub_f32_e32 v4, v4, v14
	v_sub_f32_e32 v5, v5, v25
	v_add_u32_e32 v13, 0xc0, v13
	s_cmp_ge_u32 s2, s5
	v_sub_f32_e32 v6, v6, v15
	v_sub_f32_e32 v7, v7, v40
	;; [unrolled: 1-line block ×8, first 2 shown]
	s_cbranch_scc0 .LBB147_48
.LBB147_49:                             ;   in Loop: Header=BB147_46 Depth=1
	s_mul_i32 s8, s5, 0x68
	v_add_u32_e32 v16, 0x480, v8
	v_mov_b32_e32 v8, s8
	v_add_u32_e32 v15, 0x480, v9
	ds_read_b64 v[8:9], v8
	v_add_u32_e32 v14, 0x480, v12
	s_waitcnt lgkmcnt(0)
	v_cmp_gt_f32_e32 vcc, 0, v9
	v_cndmask_b32_e64 v12, v9, -v9, vcc
	v_cmp_gt_f32_e32 vcc, 0, v8
	v_cndmask_b32_e64 v13, v8, -v8, vcc
	v_cmp_ngt_f32_e32 vcc, v13, v12
	s_cbranch_vccz .LBB147_51
; %bb.50:                               ;   in Loop: Header=BB147_46 Depth=1
	v_div_scale_f32 v12, s[2:3], v9, v9, v8
	v_rcp_f32_e32 v13, v12
	v_div_scale_f32 v17, vcc, v8, v9, v8
	v_fma_f32 v18, -v12, v13, 1.0
	v_fmac_f32_e32 v13, v18, v13
	v_mul_f32_e32 v18, v17, v13
	v_fma_f32 v19, -v12, v18, v17
	v_fmac_f32_e32 v18, v19, v13
	v_fma_f32 v12, -v12, v18, v17
	v_div_fmas_f32 v12, v12, v13, v18
	v_div_fixup_f32 v13, v12, v9, v8
	v_fma_f32 v12, v8, v13, v9
	v_div_scale_f32 v17, s[2:3], v12, v12, 1.0
	v_rcp_f32_e32 v18, v17
	v_fma_f32 v19, -v17, v18, 1.0
	v_fmac_f32_e32 v18, v19, v18
	v_div_scale_f32 v19, vcc, 1.0, v12, 1.0
	v_mul_f32_e32 v20, v19, v18
	v_fma_f32 v21, -v17, v20, v19
	v_fmac_f32_e32 v20, v21, v18
	v_fma_f32 v17, -v17, v20, v19
	v_div_fmas_f32 v17, v17, v18, v20
	v_div_fixup_f32 v17, v17, v12, 1.0
	v_fma_f32 v12, v6, v13, v7
	v_fma_f32 v13, v7, v13, -v6
	v_mul_f32_e32 v12, v12, v17
	v_mul_f32_e32 v13, v13, v17
	s_cbranch_execz .LBB147_52
	s_branch .LBB147_53
.LBB147_51:                             ;   in Loop: Header=BB147_46 Depth=1
                                        ; implicit-def: $vgpr13
.LBB147_52:                             ;   in Loop: Header=BB147_46 Depth=1
	v_div_scale_f32 v12, s[2:3], v8, v8, v9
	v_rcp_f32_e32 v13, v12
	v_div_scale_f32 v17, vcc, v9, v8, v9
	v_fma_f32 v18, -v12, v13, 1.0
	v_fmac_f32_e32 v13, v18, v13
	v_mul_f32_e32 v18, v17, v13
	v_fma_f32 v19, -v12, v18, v17
	v_fmac_f32_e32 v18, v19, v13
	v_fma_f32 v12, -v12, v18, v17
	v_div_fmas_f32 v12, v12, v13, v18
	v_div_fixup_f32 v13, v12, v8, v9
	v_fmac_f32_e32 v8, v9, v13
	v_div_scale_f32 v9, s[2:3], v8, v8, 1.0
	v_rcp_f32_e32 v12, v9
	v_fma_f32 v17, -v9, v12, 1.0
	v_fmac_f32_e32 v12, v17, v12
	v_div_scale_f32 v17, vcc, 1.0, v8, 1.0
	v_mul_f32_e32 v18, v17, v12
	v_fma_f32 v19, -v9, v18, v17
	v_fmac_f32_e32 v18, v19, v12
	v_fma_f32 v9, -v9, v18, v17
	v_div_fmas_f32 v9, v9, v12, v18
	v_div_fixup_f32 v8, v9, v8, 1.0
	v_fma_f32 v9, v7, v13, v6
	v_fma_f32 v6, -v6, v13, v7
	v_mul_f32_e32 v12, v9, v8
	v_mul_f32_e32 v13, v6, v8
.LBB147_53:                             ;   in Loop: Header=BB147_46 Depth=1
	v_mov_b32_e32 v6, s8
	ds_read2_b64 v[6:9], v6 offset0:1 offset1:13
	ds_write_b64 v16, v[12:13]
	s_waitcnt lgkmcnt(1)
	v_mul_f32_e32 v16, v13, v7
	v_mul_f32_e32 v7, v12, v7
	v_fma_f32 v16, v12, v6, -v16
	v_cmp_gt_f32_e32 vcc, 0, v9
	v_fmac_f32_e32 v7, v13, v6
	v_sub_f32_e32 v6, v10, v16
	v_cndmask_b32_e64 v10, v9, -v9, vcc
	v_cmp_gt_f32_e32 vcc, 0, v8
	v_sub_f32_e32 v7, v11, v7
	v_cndmask_b32_e64 v11, v8, -v8, vcc
	v_cmp_ngt_f32_e32 vcc, v11, v10
	s_cbranch_vccz .LBB147_55
; %bb.54:                               ;   in Loop: Header=BB147_46 Depth=1
	v_div_scale_f32 v10, s[2:3], v9, v9, v8
	v_rcp_f32_e32 v11, v10
	v_div_scale_f32 v16, vcc, v8, v9, v8
	v_fma_f32 v17, -v10, v11, 1.0
	v_fmac_f32_e32 v11, v17, v11
	v_mul_f32_e32 v17, v16, v11
	v_fma_f32 v18, -v10, v17, v16
	v_fmac_f32_e32 v17, v18, v11
	v_fma_f32 v10, -v10, v17, v16
	v_div_fmas_f32 v10, v10, v11, v17
	v_div_fixup_f32 v11, v10, v9, v8
	v_fma_f32 v10, v8, v11, v9
	v_div_scale_f32 v16, s[2:3], v10, v10, 1.0
	v_rcp_f32_e32 v17, v16
	v_fma_f32 v18, -v16, v17, 1.0
	v_fmac_f32_e32 v17, v18, v17
	v_div_scale_f32 v18, vcc, 1.0, v10, 1.0
	v_mul_f32_e32 v19, v18, v17
	v_fma_f32 v20, -v16, v19, v18
	v_fmac_f32_e32 v19, v20, v17
	v_fma_f32 v16, -v16, v19, v18
	v_div_fmas_f32 v16, v16, v17, v19
	v_div_fixup_f32 v16, v16, v10, 1.0
	v_fma_f32 v10, v11, v6, v7
	v_fma_f32 v11, v11, v7, -v6
	v_mul_f32_e32 v10, v10, v16
	v_mul_f32_e32 v11, v11, v16
	s_cbranch_execz .LBB147_56
	s_branch .LBB147_57
.LBB147_55:                             ;   in Loop: Header=BB147_46 Depth=1
                                        ; implicit-def: $vgpr11
.LBB147_56:                             ;   in Loop: Header=BB147_46 Depth=1
	v_div_scale_f32 v10, s[2:3], v8, v8, v9
	v_rcp_f32_e32 v11, v10
	v_div_scale_f32 v16, vcc, v9, v8, v9
	v_fma_f32 v17, -v10, v11, 1.0
	v_fmac_f32_e32 v11, v17, v11
	v_mul_f32_e32 v17, v16, v11
	v_fma_f32 v18, -v10, v17, v16
	v_fmac_f32_e32 v17, v18, v11
	v_fma_f32 v10, -v10, v17, v16
	v_div_fmas_f32 v10, v10, v11, v17
	v_div_fixup_f32 v11, v10, v8, v9
	v_fmac_f32_e32 v8, v9, v11
	v_div_scale_f32 v9, s[2:3], v8, v8, 1.0
	v_rcp_f32_e32 v10, v9
	v_fma_f32 v16, -v9, v10, 1.0
	v_fmac_f32_e32 v10, v16, v10
	v_div_scale_f32 v16, vcc, 1.0, v8, 1.0
	v_mul_f32_e32 v17, v16, v10
	v_fma_f32 v18, -v9, v17, v16
	v_fmac_f32_e32 v17, v18, v10
	v_fma_f32 v9, -v9, v17, v16
	v_div_fmas_f32 v9, v9, v10, v17
	v_div_fixup_f32 v8, v9, v8, 1.0
	v_fma_f32 v9, v11, v7, v6
	v_fma_f32 v6, -v11, v6, v7
	v_mul_f32_e32 v10, v9, v8
	v_mul_f32_e32 v11, v6, v8
.LBB147_57:                             ;   in Loop: Header=BB147_46 Depth=1
	v_mov_b32_e32 v6, s8
	ds_read2_b64 v[6:9], v6 offset0:2 offset1:26
	s_add_i32 s7, s7, s5
	s_lshl_b32 s7, s7, 3
	ds_write_b64 v15, v[10:11]
	v_mov_b32_e32 v15, s7
	s_waitcnt lgkmcnt(1)
	v_mul_f32_e32 v16, v13, v7
	v_fma_f32 v18, v12, v6, -v16
	ds_read_b64 v[16:17], v15 offset:16
	v_mul_f32_e32 v7, v12, v7
	v_fmac_f32_e32 v7, v13, v6
	v_sub_f32_e32 v2, v2, v18
	v_sub_f32_e32 v3, v3, v7
	s_waitcnt lgkmcnt(0)
	v_mul_f32_e32 v6, v11, v17
	v_fma_f32 v6, v10, v16, -v6
	v_mul_f32_e32 v7, v10, v17
	v_cmp_gt_f32_e32 vcc, 0, v9
	v_fmac_f32_e32 v7, v11, v16
	v_sub_f32_e32 v6, v2, v6
	v_cndmask_b32_e64 v2, v9, -v9, vcc
	v_cmp_gt_f32_e32 vcc, 0, v8
	v_sub_f32_e32 v7, v3, v7
	v_cndmask_b32_e64 v3, v8, -v8, vcc
	v_cmp_ngt_f32_e32 vcc, v3, v2
	s_cbranch_vccz .LBB147_59
; %bb.58:                               ;   in Loop: Header=BB147_46 Depth=1
	v_div_scale_f32 v2, s[2:3], v9, v9, v8
	v_rcp_f32_e32 v3, v2
	v_div_scale_f32 v15, vcc, v8, v9, v8
	v_fma_f32 v16, -v2, v3, 1.0
	v_fmac_f32_e32 v3, v16, v3
	v_mul_f32_e32 v16, v15, v3
	v_fma_f32 v17, -v2, v16, v15
	v_fmac_f32_e32 v16, v17, v3
	v_fma_f32 v2, -v2, v16, v15
	v_div_fmas_f32 v2, v2, v3, v16
	v_div_fixup_f32 v3, v2, v9, v8
	v_fma_f32 v2, v8, v3, v9
	v_div_scale_f32 v15, s[2:3], v2, v2, 1.0
	v_rcp_f32_e32 v16, v15
	v_fma_f32 v17, -v15, v16, 1.0
	v_fmac_f32_e32 v16, v17, v16
	v_div_scale_f32 v17, vcc, 1.0, v2, 1.0
	v_mul_f32_e32 v18, v17, v16
	v_fma_f32 v19, -v15, v18, v17
	v_fmac_f32_e32 v18, v19, v16
	v_fma_f32 v15, -v15, v18, v17
	v_div_fmas_f32 v15, v15, v16, v18
	v_div_fixup_f32 v15, v15, v2, 1.0
	v_fma_f32 v2, v3, v6, v7
	v_fma_f32 v3, v3, v7, -v6
	v_mul_f32_e32 v2, v2, v15
	v_mul_f32_e32 v3, v3, v15
	s_cbranch_execz .LBB147_60
	s_branch .LBB147_61
.LBB147_59:                             ;   in Loop: Header=BB147_46 Depth=1
                                        ; implicit-def: $vgpr3
.LBB147_60:                             ;   in Loop: Header=BB147_46 Depth=1
	v_div_scale_f32 v2, s[2:3], v8, v8, v9
	v_rcp_f32_e32 v3, v2
	v_div_scale_f32 v15, vcc, v9, v8, v9
	v_fma_f32 v16, -v2, v3, 1.0
	v_fmac_f32_e32 v3, v16, v3
	v_mul_f32_e32 v16, v15, v3
	v_fma_f32 v17, -v2, v16, v15
	v_fmac_f32_e32 v16, v17, v3
	v_fma_f32 v2, -v2, v16, v15
	v_div_fmas_f32 v2, v2, v3, v16
	v_div_fixup_f32 v3, v2, v8, v9
	v_fmac_f32_e32 v8, v9, v3
	v_div_scale_f32 v2, s[2:3], v8, v8, 1.0
	v_rcp_f32_e32 v9, v2
	v_fma_f32 v15, -v2, v9, 1.0
	v_fmac_f32_e32 v9, v15, v9
	v_div_scale_f32 v15, vcc, 1.0, v8, 1.0
	v_mul_f32_e32 v16, v15, v9
	v_fma_f32 v17, -v2, v16, v15
	v_fmac_f32_e32 v16, v17, v9
	v_fma_f32 v2, -v2, v16, v15
	v_div_fmas_f32 v2, v2, v9, v16
	v_div_fixup_f32 v8, v2, v8, 1.0
	v_fma_f32 v2, v3, v7, v6
	v_fma_f32 v3, -v3, v6, v7
	v_mul_f32_e32 v2, v2, v8
	v_mul_f32_e32 v3, v3, v8
.LBB147_61:                             ;   in Loop: Header=BB147_46 Depth=1
	v_mov_b32_e32 v6, s8
	ds_read2_b64 v[6:9], v6 offset0:3 offset1:39
	s_add_i32 s6, s6, s5
	s_lshl_b32 s2, s6, 3
	ds_write_b64 v14, v[2:3]
	s_waitcnt lgkmcnt(1)
	v_mul_f32_e32 v15, v13, v7
	v_mul_f32_e32 v7, v12, v7
	v_fma_f32 v12, v12, v6, -v15
	v_fmac_f32_e32 v7, v13, v6
	v_sub_f32_e32 v12, v4, v12
	v_mov_b32_e32 v4, s7
	v_sub_f32_e32 v13, v5, v7
	ds_read_b64 v[4:5], v4 offset:24
	v_mov_b32_e32 v6, s2
	ds_read_b64 v[6:7], v6 offset:24
	v_cmp_gt_f32_e32 vcc, 0, v9
	s_waitcnt lgkmcnt(1)
	v_mul_f32_e32 v15, v11, v5
	v_fma_f32 v15, v10, v4, -v15
	v_mul_f32_e32 v5, v10, v5
	s_waitcnt lgkmcnt(0)
	v_mul_f32_e32 v10, v3, v7
	v_fmac_f32_e32 v5, v11, v4
	v_fma_f32 v10, v2, v6, -v10
	v_mul_f32_e32 v2, v2, v7
	v_sub_f32_e32 v5, v13, v5
	v_fmac_f32_e32 v2, v3, v6
	v_sub_f32_e32 v5, v5, v2
	v_cndmask_b32_e64 v2, v9, -v9, vcc
	v_cmp_gt_f32_e32 vcc, 0, v8
	v_cndmask_b32_e64 v3, v8, -v8, vcc
	v_sub_f32_e32 v4, v12, v15
	v_cmp_ngt_f32_e32 vcc, v3, v2
	v_sub_f32_e32 v4, v4, v10
	s_cbranch_vccz .LBB147_63
; %bb.62:                               ;   in Loop: Header=BB147_46 Depth=1
	v_div_scale_f32 v2, s[2:3], v9, v9, v8
	v_rcp_f32_e32 v3, v2
	v_div_scale_f32 v6, vcc, v8, v9, v8
	v_fma_f32 v7, -v2, v3, 1.0
	v_fmac_f32_e32 v3, v7, v3
	v_mul_f32_e32 v7, v6, v3
	v_fma_f32 v10, -v2, v7, v6
	v_fmac_f32_e32 v7, v10, v3
	v_fma_f32 v2, -v2, v7, v6
	v_div_fmas_f32 v2, v2, v3, v7
	v_div_fixup_f32 v3, v2, v9, v8
	v_fma_f32 v2, v8, v3, v9
	v_div_scale_f32 v6, s[2:3], v2, v2, 1.0
	v_rcp_f32_e32 v7, v6
	v_fma_f32 v10, -v6, v7, 1.0
	v_fmac_f32_e32 v7, v10, v7
	v_div_scale_f32 v10, vcc, 1.0, v2, 1.0
	v_mul_f32_e32 v11, v10, v7
	v_fma_f32 v12, -v6, v11, v10
	v_fmac_f32_e32 v11, v12, v7
	v_fma_f32 v6, -v6, v11, v10
	v_div_fmas_f32 v6, v6, v7, v11
	v_div_fixup_f32 v6, v6, v2, 1.0
	v_fma_f32 v2, v3, v4, v5
	v_fma_f32 v3, v3, v5, -v4
	v_mul_f32_e32 v2, v2, v6
	v_mul_f32_e32 v3, v3, v6
	s_cbranch_execz .LBB147_64
	s_branch .LBB147_65
.LBB147_63:                             ;   in Loop: Header=BB147_46 Depth=1
                                        ; implicit-def: $vgpr3
.LBB147_64:                             ;   in Loop: Header=BB147_46 Depth=1
	v_div_scale_f32 v2, s[2:3], v8, v8, v9
	v_rcp_f32_e32 v3, v2
	v_div_scale_f32 v6, vcc, v9, v8, v9
	v_fma_f32 v7, -v2, v3, 1.0
	v_fmac_f32_e32 v3, v7, v3
	v_mul_f32_e32 v7, v6, v3
	v_fma_f32 v10, -v2, v7, v6
	v_fmac_f32_e32 v7, v10, v3
	v_fma_f32 v2, -v2, v7, v6
	v_div_fmas_f32 v2, v2, v3, v7
	v_div_fixup_f32 v3, v2, v8, v9
	v_fmac_f32_e32 v8, v9, v3
	v_div_scale_f32 v2, s[2:3], v8, v8, 1.0
	v_rcp_f32_e32 v6, v2
	v_fma_f32 v7, -v2, v6, 1.0
	v_fmac_f32_e32 v6, v7, v6
	v_div_scale_f32 v7, vcc, 1.0, v8, 1.0
	v_mul_f32_e32 v9, v7, v6
	v_fma_f32 v10, -v2, v9, v7
	v_fmac_f32_e32 v9, v10, v6
	v_fma_f32 v2, -v2, v9, v7
	v_div_fmas_f32 v2, v2, v6, v9
	v_div_fixup_f32 v6, v2, v8, 1.0
	v_fma_f32 v2, v3, v5, v4
	v_fma_f32 v3, -v3, v4, v5
	v_mul_f32_e32 v2, v2, v6
	v_mul_f32_e32 v3, v3, v6
.LBB147_65:                             ;   in Loop: Header=BB147_46 Depth=1
	s_add_i32 s6, s5, 4
	s_add_i32 s2, s5, 7
	;; [unrolled: 1-line block ×3, first 2 shown]
	s_cmp_ge_i32 s2, s33
	ds_write_b64 v14, v[2:3] offset:96
	s_cbranch_scc1 .LBB147_67
; %bb.66:                               ;   in Loop: Header=BB147_46 Depth=1
	s_mov_b32 s5, s6
	s_branch .LBB147_46
.LBB147_67:
	s_cmp_ge_i32 s6, s33
	s_cbranch_scc1 .LBB147_82
; %bb.68:
	v_mov_b32_e32 v1, 0x480
	s_add_i32 s4, s6, -1
	s_lshl_b32 s5, s6, 3
	v_lshl_or_b32 v1, v0, 3, v1
	s_mov_b32 s7, 0
	s_mov_b32 s8, s6
	s_branch .LBB147_70
.LBB147_69:                             ;   in Loop: Header=BB147_70 Depth=1
	s_add_i32 s6, s6, 1
	s_add_i32 s7, s7, 1
	s_add_i32 s5, s5, 8
	v_add_u16_e64 v2, s8, 1
	s_cmp_ge_i32 s6, s33
	v_readfirstlane_b32 s8, v2
	ds_write_b64 v8, v[6:7]
	s_cbranch_scc1 .LBB147_82
.LBB147_70:                             ; =>This Loop Header: Depth=1
                                        ;     Child Loop BB147_73 Depth 2
                                        ;     Child Loop BB147_77 Depth 2
	s_mul_i32 s2, s6, 12
	v_add_lshl_u32 v4, s2, v0, 3
	ds_read_b64 v[2:3], v4 offset:1152
	s_cmp_eq_u32 s6, 0
	s_cbranch_scc1 .LBB147_78
; %bb.71:                               ;   in Loop: Header=BB147_70 Depth=1
	s_add_i32 s2, s4, s7
	s_cmp_lt_u32 s2, 7
	s_cbranch_scc1 .LBB147_75
; %bb.72:                               ;   in Loop: Header=BB147_70 Depth=1
	s_and_b32 s2, s6, -8
	s_mov_b32 s3, 0
	v_mov_b32_e32 v5, v1
	s_mov_b32 s9, s5
.LBB147_73:                             ;   Parent Loop BB147_70 Depth=1
                                        ; =>  This Inner Loop Header: Depth=2
	ds_read2_b64 v[6:9], v5 offset1:12
	v_mov_b32_e32 v34, s9
	ds_read2_b64 v[10:13], v5 offset0:24 offset1:36
	ds_read2_b64 v[14:17], v5 offset0:48 offset1:60
	;; [unrolled: 1-line block ×3, first 2 shown]
	ds_read2_b64 v[22:25], v34 offset1:12
	ds_read2_b64 v[26:29], v34 offset0:24 offset1:36
	ds_read2_b64 v[30:33], v34 offset0:48 offset1:60
	;; [unrolled: 1-line block ×3, first 2 shown]
	s_add_i32 s3, s3, 8
	s_waitcnt lgkmcnt(3)
	v_pk_mul_f32 v[38:39], v[22:23], v[6:7] op_sel:[0,1]
	v_pk_mul_f32 v[40:41], v[24:25], v[8:9] op_sel:[0,1]
	v_pk_fma_f32 v[54:55], v[22:23], v[6:7], v[38:39] op_sel:[0,0,1] op_sel_hi:[1,0,0]
	v_pk_fma_f32 v[6:7], v[22:23], v[6:7], v[38:39] op_sel:[0,0,1] op_sel_hi:[1,0,0] neg_lo:[0,0,1] neg_hi:[0,0,1]
	s_waitcnt lgkmcnt(2)
	v_pk_mul_f32 v[42:43], v[26:27], v[10:11] op_sel:[0,1]
	v_pk_fma_f32 v[22:23], v[24:25], v[8:9], v[40:41] op_sel:[0,0,1] op_sel_hi:[1,0,0]
	v_pk_fma_f32 v[8:9], v[24:25], v[8:9], v[40:41] op_sel:[0,0,1] op_sel_hi:[1,0,0] neg_lo:[0,0,1] neg_hi:[0,0,1]
	v_mov_b32_e32 v7, v55
	v_pk_mul_f32 v[44:45], v[28:29], v[12:13] op_sel:[0,1]
	v_pk_fma_f32 v[24:25], v[26:27], v[10:11], v[42:43] op_sel:[0,0,1] op_sel_hi:[1,0,0]
	v_pk_fma_f32 v[10:11], v[26:27], v[10:11], v[42:43] op_sel:[0,0,1] op_sel_hi:[1,0,0] neg_lo:[0,0,1] neg_hi:[0,0,1]
	v_mov_b32_e32 v9, v23
	v_pk_add_f32 v[2:3], v[2:3], v[6:7] neg_lo:[0,1] neg_hi:[0,1]
	s_waitcnt lgkmcnt(1)
	v_pk_mul_f32 v[46:47], v[30:31], v[14:15] op_sel:[0,1]
	v_pk_fma_f32 v[26:27], v[28:29], v[12:13], v[44:45] op_sel:[0,0,1] op_sel_hi:[1,0,0]
	v_pk_fma_f32 v[12:13], v[28:29], v[12:13], v[44:45] op_sel:[0,0,1] op_sel_hi:[1,0,0] neg_lo:[0,0,1] neg_hi:[0,0,1]
	v_mov_b32_e32 v11, v25
	v_pk_add_f32 v[2:3], v[2:3], v[8:9] neg_lo:[0,1] neg_hi:[0,1]
	v_pk_mul_f32 v[48:49], v[32:33], v[16:17] op_sel:[0,1]
	v_pk_fma_f32 v[28:29], v[30:31], v[14:15], v[46:47] op_sel:[0,0,1] op_sel_hi:[1,0,0]
	v_pk_fma_f32 v[14:15], v[30:31], v[14:15], v[46:47] op_sel:[0,0,1] op_sel_hi:[1,0,0] neg_lo:[0,0,1] neg_hi:[0,0,1]
	v_mov_b32_e32 v13, v27
	v_pk_add_f32 v[2:3], v[2:3], v[10:11] neg_lo:[0,1] neg_hi:[0,1]
	s_waitcnt lgkmcnt(0)
	v_pk_mul_f32 v[50:51], v[34:35], v[18:19] op_sel:[0,1]
	v_pk_fma_f32 v[30:31], v[32:33], v[16:17], v[48:49] op_sel:[0,0,1] op_sel_hi:[1,0,0]
	v_pk_fma_f32 v[16:17], v[32:33], v[16:17], v[48:49] op_sel:[0,0,1] op_sel_hi:[1,0,0] neg_lo:[0,0,1] neg_hi:[0,0,1]
	v_mov_b32_e32 v15, v29
	v_pk_add_f32 v[2:3], v[2:3], v[12:13] neg_lo:[0,1] neg_hi:[0,1]
	v_pk_mul_f32 v[52:53], v[36:37], v[20:21] op_sel:[0,1]
	v_pk_fma_f32 v[32:33], v[34:35], v[18:19], v[50:51] op_sel:[0,0,1] op_sel_hi:[1,0,0]
	v_pk_fma_f32 v[18:19], v[34:35], v[18:19], v[50:51] op_sel:[0,0,1] op_sel_hi:[1,0,0] neg_lo:[0,0,1] neg_hi:[0,0,1]
	v_mov_b32_e32 v17, v31
	v_pk_add_f32 v[2:3], v[2:3], v[14:15] neg_lo:[0,1] neg_hi:[0,1]
	v_pk_fma_f32 v[34:35], v[36:37], v[20:21], v[52:53] op_sel:[0,0,1] op_sel_hi:[1,0,0]
	v_pk_fma_f32 v[20:21], v[36:37], v[20:21], v[52:53] op_sel:[0,0,1] op_sel_hi:[1,0,0] neg_lo:[0,0,1] neg_hi:[0,0,1]
	v_mov_b32_e32 v19, v33
	v_pk_add_f32 v[2:3], v[2:3], v[16:17] neg_lo:[0,1] neg_hi:[0,1]
	s_addk_i32 s9, 0x300
	v_mov_b32_e32 v21, v35
	v_pk_add_f32 v[2:3], v[2:3], v[18:19] neg_lo:[0,1] neg_hi:[0,1]
	v_add_u32_e32 v5, 0x300, v5
	s_cmp_eq_u32 s2, s3
	v_pk_add_f32 v[2:3], v[2:3], v[20:21] neg_lo:[0,1] neg_hi:[0,1]
	s_cbranch_scc0 .LBB147_73
; %bb.74:                               ;   in Loop: Header=BB147_70 Depth=1
	s_and_b32 s3, s6, 7
	s_cmp_eq_u32 s3, 0
	s_cbranch_scc0 .LBB147_76
	s_branch .LBB147_78
.LBB147_75:                             ;   in Loop: Header=BB147_70 Depth=1
	s_mov_b32 s2, 0
	s_and_b32 s3, s6, 7
	s_cmp_eq_u32 s3, 0
	s_cbranch_scc1 .LBB147_78
.LBB147_76:                             ;   in Loop: Header=BB147_70 Depth=1
	s_and_b32 s3, s8, 7
	s_mulk_i32 s2, 0x60
.LBB147_77:                             ;   Parent Loop BB147_70 Depth=1
                                        ; =>  This Inner Loop Header: Depth=2
	v_add_u32_e32 v5, s2, v1
	s_add_i32 s9, s5, s2
	ds_read_b64 v[6:7], v5
	v_mov_b32_e32 v5, s9
	ds_read_b64 v[8:9], v5
	s_addk_i32 s2, 0x60
	s_add_i32 s3, s3, -1
	s_cmp_lg_u32 s3, 0
	s_waitcnt lgkmcnt(0)
	v_pk_mul_f32 v[10:11], v[8:9], v[6:7] op_sel:[0,1]
	v_pk_fma_f32 v[12:13], v[8:9], v[6:7], v[10:11] op_sel:[0,0,1] op_sel_hi:[1,0,0]
	v_pk_fma_f32 v[6:7], v[8:9], v[6:7], v[10:11] op_sel:[0,0,1] op_sel_hi:[1,0,0] neg_lo:[0,0,1] neg_hi:[0,0,1]
	v_mov_b32_e32 v7, v13
	v_pk_add_f32 v[2:3], v[2:3], v[6:7] neg_lo:[0,1] neg_hi:[0,1]
	s_cbranch_scc1 .LBB147_77
.LBB147_78:                             ;   in Loop: Header=BB147_70 Depth=1
	s_mul_i32 s2, s6, 0x68
	v_add_u32_e32 v8, 0x480, v4
	v_mov_b32_e32 v4, s2
	ds_read_b64 v[4:5], v4
	s_waitcnt lgkmcnt(0)
	v_cmp_gt_f32_e32 vcc, 0, v5
	v_cndmask_b32_e64 v6, v5, -v5, vcc
	v_cmp_gt_f32_e32 vcc, 0, v4
	v_cndmask_b32_e64 v7, v4, -v4, vcc
	v_cmp_ngt_f32_e32 vcc, v7, v6
	s_cbranch_vccz .LBB147_80
; %bb.79:                               ;   in Loop: Header=BB147_70 Depth=1
	v_div_scale_f32 v6, s[2:3], v5, v5, v4
	v_rcp_f32_e32 v7, v6
	v_div_scale_f32 v9, vcc, v4, v5, v4
	v_fma_f32 v10, -v6, v7, 1.0
	v_fmac_f32_e32 v7, v10, v7
	v_mul_f32_e32 v10, v9, v7
	v_fma_f32 v11, -v6, v10, v9
	v_fmac_f32_e32 v10, v11, v7
	v_fma_f32 v6, -v6, v10, v9
	v_div_fmas_f32 v6, v6, v7, v10
	v_div_fixup_f32 v6, v6, v5, v4
	v_fma_f32 v7, v4, v6, v5
	v_div_scale_f32 v9, s[2:3], v7, v7, 1.0
	v_rcp_f32_e32 v10, v9
	v_fma_f32 v11, -v9, v10, 1.0
	v_fmac_f32_e32 v10, v11, v10
	v_div_scale_f32 v11, vcc, 1.0, v7, 1.0
	v_mul_f32_e32 v12, v11, v10
	v_fma_f32 v13, -v9, v12, v11
	v_fmac_f32_e32 v12, v13, v10
	v_fma_f32 v9, -v9, v12, v11
	v_div_fmas_f32 v9, v9, v10, v12
	v_div_fixup_f32 v10, v9, v7, 1.0
	v_pk_fma_f32 v[12:13], v[2:3], v[6:7], v[2:3] op_sel:[0,0,1] op_sel_hi:[1,0,0] neg_lo:[0,0,1] neg_hi:[0,0,1]
	v_pk_fma_f32 v[6:7], v[2:3], v[6:7], v[2:3] op_sel:[0,0,1] op_sel_hi:[1,0,0]
	v_mov_b32_e32 v7, v13
	v_pk_mul_f32 v[6:7], v[6:7], v[10:11] op_sel_hi:[1,0]
	s_cbranch_execnz .LBB147_69
	s_branch .LBB147_81
.LBB147_80:                             ;   in Loop: Header=BB147_70 Depth=1
                                        ; implicit-def: $vgpr6_vgpr7
.LBB147_81:                             ;   in Loop: Header=BB147_70 Depth=1
	v_div_scale_f32 v6, s[2:3], v4, v4, v5
	v_rcp_f32_e32 v7, v6
	v_div_scale_f32 v9, vcc, v5, v4, v5
	v_fma_f32 v10, -v6, v7, 1.0
	v_fmac_f32_e32 v7, v10, v7
	v_mul_f32_e32 v10, v9, v7
	v_fma_f32 v11, -v6, v10, v9
	v_fmac_f32_e32 v10, v11, v7
	v_fma_f32 v6, -v6, v10, v9
	v_div_fmas_f32 v6, v6, v7, v10
	v_div_fixup_f32 v6, v6, v4, v5
	v_fmac_f32_e32 v4, v5, v6
	v_div_scale_f32 v5, s[2:3], v4, v4, 1.0
	v_rcp_f32_e32 v7, v5
	v_fma_f32 v9, -v5, v7, 1.0
	v_fmac_f32_e32 v7, v9, v7
	v_div_scale_f32 v9, vcc, 1.0, v4, 1.0
	v_mul_f32_e32 v10, v9, v7
	v_fma_f32 v11, -v5, v10, v9
	v_fmac_f32_e32 v10, v11, v7
	v_fma_f32 v5, -v5, v10, v9
	v_div_fmas_f32 v5, v5, v7, v10
	v_pk_mul_f32 v[6:7], v[2:3], v[6:7] op_sel_hi:[1,0]
	v_pk_add_f32 v[10:11], v[2:3], v[6:7] op_sel:[0,1] op_sel_hi:[1,0] neg_lo:[0,1] neg_hi:[0,1]
	v_pk_add_f32 v[2:3], v[2:3], v[6:7] op_sel:[0,1] op_sel_hi:[1,0]
	v_div_fixup_f32 v4, v5, v4, 1.0
	v_mov_b32_e32 v3, v11
	v_pk_mul_f32 v[6:7], v[2:3], v[4:5] op_sel_hi:[1,0]
	s_branch .LBB147_69
.LBB147_82:
	s_mov_b64 s[2:3], 0
.LBB147_83:
	s_and_b64 vcc, exec, s[2:3]
	s_cbranch_vccz .LBB147_115
; %bb.84:
	s_andn2_b64 vcc, exec, s[0:1]
	s_mov_b32 s6, s42
	s_cbranch_vccnz .LBB147_106
; %bb.85:
	s_mul_i32 s2, s33, 0x60
	v_lshl_add_u32 v1, v0, 3, s2
	s_mul_i32 s2, s33, 0x68
	v_add_u32_e32 v1, 0x3c0, v1
	s_add_i32 s4, s2, 0xffffff20
	s_mov_b32 s5, s42
.LBB147_86:                             ; =>This Loop Header: Depth=1
                                        ;     Child Loop BB147_87 Depth 2
	s_mul_i32 s8, s5, 12
	s_sub_i32 s6, s8, 24
	v_add_lshl_u32 v6, s8, v0, 3
	s_add_i32 s7, s8, -12
	v_add_lshl_u32 v12, s6, v0, 3
	v_add_lshl_u32 v7, s7, v0, 3
	ds_read_b64 v[10:11], v6 offset:1152
	ds_read_b64 v[8:9], v7 offset:1152
	ds_read2_b64 v[2:5], v12 offset0:132 offset1:144
	s_cmp_le_i32 s42, s5
	s_mov_b32 s2, s4
	v_mov_b32_e32 v13, v1
	s_mov_b32 s3, s42
	s_cbranch_scc1 .LBB147_88
.LBB147_87:                             ;   Parent Loop BB147_86 Depth=1
                                        ; =>  This Inner Loop Header: Depth=2
	ds_read2_b64 v[14:17], v13 offset1:12
	v_mov_b32_e32 v30, s2
	ds_read2_b64 v[18:21], v30 offset0:14 offset1:15
	ds_read2_b64 v[22:25], v30 offset0:12 offset1:13
	ds_read2_b64 v[26:29], v30 offset0:2 offset1:3
	ds_read2_b64 v[30:33], v30 offset1:1
	s_add_i32 s3, s3, -2
	s_addk_i32 s2, 0xff40
	s_waitcnt lgkmcnt(3)
	v_mul_f32_e32 v34, v21, v17
	v_mul_f32_e32 v35, v20, v17
	v_mul_f32_e32 v36, v19, v17
	v_mul_f32_e32 v19, v19, v16
	s_waitcnt lgkmcnt(2)
	v_mul_f32_e32 v37, v25, v17
	v_mul_f32_e32 v25, v25, v16
	v_mul_f32_e32 v38, v23, v17
	v_mul_f32_e32 v23, v23, v16
	;; [unrolled: 5-line block ×4, first 2 shown]
	v_fma_f32 v20, v20, v16, -v34
	v_fmac_f32_e32 v35, v21, v16
	v_fma_f32 v21, v18, v16, -v36
	v_fmac_f32_e32 v19, v18, v17
	;; [unrolled: 2-line block ×8, first 2 shown]
	v_sub_f32_e32 v10, v10, v20
	v_sub_f32_e32 v11, v11, v35
	;; [unrolled: 1-line block ×8, first 2 shown]
	v_add_u32_e32 v13, 0xffffff40, v13
	s_cmp_le_i32 s3, s5
	v_sub_f32_e32 v10, v10, v17
	v_sub_f32_e32 v11, v11, v40
	;; [unrolled: 1-line block ×8, first 2 shown]
	s_cbranch_scc0 .LBB147_87
.LBB147_88:                             ;   in Loop: Header=BB147_86 Depth=1
	s_mul_i32 s9, s5, 0x68
	v_add_u32_e32 v17, 0x480, v6
	v_mov_b32_e32 v6, s9
	v_add_u32_e32 v15, 0x480, v12
	v_add_u32_e32 v14, 0x420, v12
	ds_read_b64 v[12:13], v6
	v_add_u32_e32 v16, 0x480, v7
	s_waitcnt lgkmcnt(0)
	v_cmp_gt_f32_e32 vcc, 0, v13
	v_cndmask_b32_e64 v6, v13, -v13, vcc
	v_cmp_gt_f32_e32 vcc, 0, v12
	v_cndmask_b32_e64 v7, v12, -v12, vcc
	v_cmp_ngt_f32_e32 vcc, v7, v6
	s_cbranch_vccz .LBB147_90
; %bb.89:                               ;   in Loop: Header=BB147_86 Depth=1
	v_div_scale_f32 v6, s[2:3], v13, v13, v12
	v_rcp_f32_e32 v7, v6
	v_div_scale_f32 v18, vcc, v12, v13, v12
	v_fma_f32 v19, -v6, v7, 1.0
	v_fmac_f32_e32 v7, v19, v7
	v_mul_f32_e32 v19, v18, v7
	v_fma_f32 v20, -v6, v19, v18
	v_fmac_f32_e32 v19, v20, v7
	v_fma_f32 v6, -v6, v19, v18
	v_div_fmas_f32 v6, v6, v7, v19
	v_div_fixup_f32 v7, v6, v13, v12
	v_fma_f32 v6, v12, v7, v13
	v_div_scale_f32 v18, s[2:3], v6, v6, 1.0
	v_rcp_f32_e32 v19, v18
	v_fma_f32 v20, -v18, v19, 1.0
	v_fmac_f32_e32 v19, v20, v19
	v_div_scale_f32 v20, vcc, 1.0, v6, 1.0
	v_mul_f32_e32 v21, v20, v19
	v_fma_f32 v22, -v18, v21, v20
	v_fmac_f32_e32 v21, v22, v19
	v_fma_f32 v18, -v18, v21, v20
	v_div_fmas_f32 v18, v18, v19, v21
	v_div_fixup_f32 v18, v18, v6, 1.0
	v_fma_f32 v6, v10, v7, v11
	v_fma_f32 v7, v11, v7, -v10
	v_mul_f32_e32 v6, v6, v18
	v_mul_f32_e32 v7, v7, v18
	s_cbranch_execz .LBB147_91
	s_branch .LBB147_92
.LBB147_90:                             ;   in Loop: Header=BB147_86 Depth=1
                                        ; implicit-def: $vgpr7
.LBB147_91:                             ;   in Loop: Header=BB147_86 Depth=1
	v_div_scale_f32 v6, s[2:3], v12, v12, v13
	v_rcp_f32_e32 v7, v6
	v_div_scale_f32 v18, vcc, v13, v12, v13
	v_fma_f32 v19, -v6, v7, 1.0
	v_fmac_f32_e32 v7, v19, v7
	v_mul_f32_e32 v19, v18, v7
	v_fma_f32 v20, -v6, v19, v18
	v_fmac_f32_e32 v19, v20, v7
	v_fma_f32 v6, -v6, v19, v18
	v_div_fmas_f32 v6, v6, v7, v19
	v_div_fixup_f32 v7, v6, v12, v13
	v_fmac_f32_e32 v12, v13, v7
	v_div_scale_f32 v6, s[2:3], v12, v12, 1.0
	v_rcp_f32_e32 v13, v6
	v_fma_f32 v18, -v6, v13, 1.0
	v_fmac_f32_e32 v13, v18, v13
	v_div_scale_f32 v18, vcc, 1.0, v12, 1.0
	v_mul_f32_e32 v19, v18, v13
	v_fma_f32 v20, -v6, v19, v18
	v_fmac_f32_e32 v19, v20, v13
	v_fma_f32 v6, -v6, v19, v18
	v_div_fmas_f32 v6, v6, v13, v19
	v_div_fixup_f32 v12, v6, v12, 1.0
	v_fma_f32 v6, v11, v7, v10
	v_fma_f32 v7, -v10, v7, v11
	v_mul_f32_e32 v6, v6, v12
	v_mul_f32_e32 v7, v7, v12
.LBB147_92:                             ;   in Loop: Header=BB147_86 Depth=1
	s_add_i32 s2, s5, s8
	s_lshl_b32 s2, s2, 3
	s_add_i32 s2, s2, -8
	v_mov_b32_e32 v10, s2
	s_addk_i32 s9, 0xff98
	ds_read_b64 v[12:13], v10
	v_mov_b32_e32 v10, s9
	ds_read_b64 v[10:11], v10
	ds_write_b64 v17, v[6:7]
	s_waitcnt lgkmcnt(2)
	v_mul_f32_e32 v17, v7, v13
	v_fma_f32 v17, v6, v12, -v17
	v_mul_f32_e32 v13, v6, v13
	s_waitcnt lgkmcnt(1)
	v_cmp_gt_f32_e32 vcc, 0, v11
	v_fmac_f32_e32 v13, v7, v12
	v_sub_f32_e32 v12, v8, v17
	v_cndmask_b32_e64 v8, v11, -v11, vcc
	v_cmp_gt_f32_e32 vcc, 0, v10
	v_sub_f32_e32 v13, v9, v13
	v_cndmask_b32_e64 v9, v10, -v10, vcc
	v_cmp_ngt_f32_e32 vcc, v9, v8
	s_cbranch_vccz .LBB147_94
; %bb.93:                               ;   in Loop: Header=BB147_86 Depth=1
	v_div_scale_f32 v8, s[2:3], v11, v11, v10
	v_rcp_f32_e32 v9, v8
	v_div_scale_f32 v17, vcc, v10, v11, v10
	v_fma_f32 v18, -v8, v9, 1.0
	v_fmac_f32_e32 v9, v18, v9
	v_mul_f32_e32 v18, v17, v9
	v_fma_f32 v19, -v8, v18, v17
	v_fmac_f32_e32 v18, v19, v9
	v_fma_f32 v8, -v8, v18, v17
	v_div_fmas_f32 v8, v8, v9, v18
	v_div_fixup_f32 v9, v8, v11, v10
	v_fma_f32 v8, v10, v9, v11
	v_div_scale_f32 v17, s[2:3], v8, v8, 1.0
	v_rcp_f32_e32 v18, v17
	v_fma_f32 v19, -v17, v18, 1.0
	v_fmac_f32_e32 v18, v19, v18
	v_div_scale_f32 v19, vcc, 1.0, v8, 1.0
	v_mul_f32_e32 v20, v19, v18
	v_fma_f32 v21, -v17, v20, v19
	v_fmac_f32_e32 v20, v21, v18
	v_fma_f32 v17, -v17, v20, v19
	v_div_fmas_f32 v17, v17, v18, v20
	v_div_fixup_f32 v17, v17, v8, 1.0
	v_fma_f32 v8, v9, v12, v13
	v_fma_f32 v9, v9, v13, -v12
	v_mul_f32_e32 v8, v8, v17
	v_mul_f32_e32 v9, v9, v17
	s_cbranch_execz .LBB147_95
	s_branch .LBB147_96
.LBB147_94:                             ;   in Loop: Header=BB147_86 Depth=1
                                        ; implicit-def: $vgpr9
.LBB147_95:                             ;   in Loop: Header=BB147_86 Depth=1
	v_div_scale_f32 v8, s[2:3], v10, v10, v11
	v_rcp_f32_e32 v9, v8
	v_div_scale_f32 v17, vcc, v11, v10, v11
	v_fma_f32 v18, -v8, v9, 1.0
	v_fmac_f32_e32 v9, v18, v9
	v_mul_f32_e32 v18, v17, v9
	v_fma_f32 v19, -v8, v18, v17
	v_fmac_f32_e32 v18, v19, v9
	v_fma_f32 v8, -v8, v18, v17
	v_div_fmas_f32 v8, v8, v9, v18
	v_div_fixup_f32 v9, v8, v10, v11
	v_fmac_f32_e32 v10, v11, v9
	v_div_scale_f32 v8, s[2:3], v10, v10, 1.0
	v_rcp_f32_e32 v11, v8
	v_fma_f32 v17, -v8, v11, 1.0
	v_fmac_f32_e32 v11, v17, v11
	v_div_scale_f32 v17, vcc, 1.0, v10, 1.0
	v_mul_f32_e32 v18, v17, v11
	v_fma_f32 v19, -v8, v18, v17
	v_fmac_f32_e32 v18, v19, v11
	v_fma_f32 v8, -v8, v18, v17
	v_div_fmas_f32 v8, v8, v11, v18
	v_div_fixup_f32 v10, v8, v10, 1.0
	v_fma_f32 v8, v9, v13, v12
	v_fma_f32 v9, -v9, v12, v13
	v_mul_f32_e32 v8, v8, v10
	v_mul_f32_e32 v9, v9, v10
.LBB147_96:                             ;   in Loop: Header=BB147_86 Depth=1
	s_add_i32 s2, s5, -2
	s_add_i32 s3, s8, s2
	s_lshl_b32 s3, s3, 3
	v_mov_b32_e32 v10, s3
	s_add_i32 s2, s7, s2
	s_lshl_b32 s2, s2, 3
	ds_read_b64 v[12:13], v10
	s_addk_i32 s9, 0xff98
	ds_write_b64 v16, v[8:9]
	v_mov_b32_e32 v11, s2
	v_mov_b32_e32 v10, s9
	ds_read_b64 v[16:17], v11
	ds_read_b64 v[10:11], v10
	s_waitcnt lgkmcnt(3)
	v_mul_f32_e32 v18, v7, v13
	v_mul_f32_e32 v13, v6, v13
	v_fma_f32 v18, v6, v12, -v18
	v_fmac_f32_e32 v13, v7, v12
	s_waitcnt lgkmcnt(1)
	v_mul_f32_e32 v12, v9, v17
	v_sub_f32_e32 v4, v4, v18
	v_sub_f32_e32 v5, v5, v13
	v_fma_f32 v12, v8, v16, -v12
	v_mul_f32_e32 v13, v8, v17
	s_waitcnt lgkmcnt(0)
	v_cmp_gt_f32_e32 vcc, 0, v11
	v_fmac_f32_e32 v13, v9, v16
	v_sub_f32_e32 v4, v4, v12
	v_cndmask_b32_e64 v12, v11, -v11, vcc
	v_cmp_gt_f32_e32 vcc, 0, v10
	v_sub_f32_e32 v5, v5, v13
	v_cndmask_b32_e64 v13, v10, -v10, vcc
	v_cmp_ngt_f32_e32 vcc, v13, v12
	s_cbranch_vccz .LBB147_98
; %bb.97:                               ;   in Loop: Header=BB147_86 Depth=1
	v_div_scale_f32 v12, s[2:3], v11, v11, v10
	v_rcp_f32_e32 v13, v12
	v_div_scale_f32 v16, vcc, v10, v11, v10
	v_fma_f32 v17, -v12, v13, 1.0
	v_fmac_f32_e32 v13, v17, v13
	v_mul_f32_e32 v17, v16, v13
	v_fma_f32 v18, -v12, v17, v16
	v_fmac_f32_e32 v17, v18, v13
	v_fma_f32 v12, -v12, v17, v16
	v_div_fmas_f32 v12, v12, v13, v17
	v_div_fixup_f32 v13, v12, v11, v10
	v_fma_f32 v12, v10, v13, v11
	v_div_scale_f32 v16, s[2:3], v12, v12, 1.0
	v_rcp_f32_e32 v17, v16
	v_fma_f32 v18, -v16, v17, 1.0
	v_fmac_f32_e32 v17, v18, v17
	v_div_scale_f32 v18, vcc, 1.0, v12, 1.0
	v_mul_f32_e32 v19, v18, v17
	v_fma_f32 v20, -v16, v19, v18
	v_fmac_f32_e32 v19, v20, v17
	v_fma_f32 v16, -v16, v19, v18
	v_div_fmas_f32 v16, v16, v17, v19
	v_div_fixup_f32 v16, v16, v12, 1.0
	v_fma_f32 v12, v13, v4, v5
	v_fma_f32 v13, v13, v5, -v4
	v_mul_f32_e32 v12, v12, v16
	v_mul_f32_e32 v13, v13, v16
	s_cbranch_execz .LBB147_99
	s_branch .LBB147_100
.LBB147_98:                             ;   in Loop: Header=BB147_86 Depth=1
                                        ; implicit-def: $vgpr13
.LBB147_99:                             ;   in Loop: Header=BB147_86 Depth=1
	v_div_scale_f32 v12, s[2:3], v10, v10, v11
	v_rcp_f32_e32 v13, v12
	v_div_scale_f32 v16, vcc, v11, v10, v11
	v_fma_f32 v17, -v12, v13, 1.0
	v_fmac_f32_e32 v13, v17, v13
	v_mul_f32_e32 v17, v16, v13
	v_fma_f32 v18, -v12, v17, v16
	v_fmac_f32_e32 v17, v18, v13
	v_fma_f32 v12, -v12, v17, v16
	v_div_fmas_f32 v12, v12, v13, v17
	v_div_fixup_f32 v13, v12, v10, v11
	v_fmac_f32_e32 v10, v11, v13
	v_div_scale_f32 v11, s[2:3], v10, v10, 1.0
	v_rcp_f32_e32 v12, v11
	v_fma_f32 v16, -v11, v12, 1.0
	v_fmac_f32_e32 v12, v16, v12
	v_div_scale_f32 v16, vcc, 1.0, v10, 1.0
	v_mul_f32_e32 v17, v16, v12
	v_fma_f32 v18, -v11, v17, v16
	v_fmac_f32_e32 v17, v18, v12
	v_fma_f32 v11, -v11, v17, v16
	v_div_fmas_f32 v11, v11, v12, v17
	v_div_fixup_f32 v10, v11, v10, 1.0
	v_fma_f32 v11, v13, v5, v4
	v_fma_f32 v4, -v13, v4, v5
	v_mul_f32_e32 v12, v11, v10
	v_mul_f32_e32 v13, v4, v10
.LBB147_100:                            ;   in Loop: Header=BB147_86 Depth=1
	s_add_i32 s2, s5, -3
	s_add_i32 s8, s8, s2
	s_lshl_b32 s3, s8, 3
	v_mov_b32_e32 v4, s3
	ds_read_b64 v[10:11], v4
	s_add_i32 s6, s6, s2
	s_add_i32 s7, s7, s2
	s_lshl_b32 s2, s6, 3
	ds_write_b64 v15, v[12:13]
	s_lshl_b32 s3, s7, 3
	v_mov_b32_e32 v15, s2
	s_add_i32 s2, s9, 0xffffff98
	v_mov_b32_e32 v5, s3
	v_mov_b32_e32 v4, s2
	ds_read_b64 v[16:17], v5
	ds_read_b64 v[18:19], v15
	;; [unrolled: 1-line block ×3, first 2 shown]
	s_waitcnt lgkmcnt(4)
	v_mul_f32_e32 v15, v7, v11
	v_fma_f32 v15, v6, v10, -v15
	v_mul_f32_e32 v6, v6, v11
	v_fmac_f32_e32 v6, v7, v10
	v_sub_f32_e32 v3, v3, v6
	s_waitcnt lgkmcnt(2)
	v_mul_f32_e32 v6, v9, v17
	v_sub_f32_e32 v2, v2, v15
	v_fma_f32 v6, v8, v16, -v6
	v_mul_f32_e32 v7, v8, v17
	v_fmac_f32_e32 v7, v9, v16
	v_sub_f32_e32 v2, v2, v6
	s_waitcnt lgkmcnt(1)
	v_mul_f32_e32 v6, v13, v19
	v_sub_f32_e32 v3, v3, v7
	v_fma_f32 v6, v12, v18, -v6
	v_mul_f32_e32 v7, v12, v19
	s_waitcnt lgkmcnt(0)
	v_cmp_gt_f32_e32 vcc, 0, v5
	v_fmac_f32_e32 v7, v13, v18
	v_sub_f32_e32 v6, v2, v6
	v_cndmask_b32_e64 v2, v5, -v5, vcc
	v_cmp_gt_f32_e32 vcc, 0, v4
	v_sub_f32_e32 v7, v3, v7
	v_cndmask_b32_e64 v3, v4, -v4, vcc
	v_cmp_ngt_f32_e32 vcc, v3, v2
	s_cbranch_vccz .LBB147_102
; %bb.101:                              ;   in Loop: Header=BB147_86 Depth=1
	v_div_scale_f32 v2, s[2:3], v5, v5, v4
	v_rcp_f32_e32 v3, v2
	v_div_scale_f32 v8, vcc, v4, v5, v4
	v_fma_f32 v9, -v2, v3, 1.0
	v_fmac_f32_e32 v3, v9, v3
	v_mul_f32_e32 v9, v8, v3
	v_fma_f32 v10, -v2, v9, v8
	v_fmac_f32_e32 v9, v10, v3
	v_fma_f32 v2, -v2, v9, v8
	v_div_fmas_f32 v2, v2, v3, v9
	v_div_fixup_f32 v3, v2, v5, v4
	v_fma_f32 v2, v4, v3, v5
	v_div_scale_f32 v8, s[2:3], v2, v2, 1.0
	v_rcp_f32_e32 v9, v8
	v_fma_f32 v10, -v8, v9, 1.0
	v_fmac_f32_e32 v9, v10, v9
	v_div_scale_f32 v10, vcc, 1.0, v2, 1.0
	v_mul_f32_e32 v11, v10, v9
	v_fma_f32 v12, -v8, v11, v10
	v_fmac_f32_e32 v11, v12, v9
	v_fma_f32 v8, -v8, v11, v10
	v_div_fmas_f32 v8, v8, v9, v11
	v_div_fixup_f32 v8, v8, v2, 1.0
	v_fma_f32 v2, v3, v6, v7
	v_fma_f32 v3, v3, v7, -v6
	v_mul_f32_e32 v2, v2, v8
	v_mul_f32_e32 v3, v3, v8
	s_cbranch_execz .LBB147_103
	s_branch .LBB147_104
.LBB147_102:                            ;   in Loop: Header=BB147_86 Depth=1
                                        ; implicit-def: $vgpr3
.LBB147_103:                            ;   in Loop: Header=BB147_86 Depth=1
	v_div_scale_f32 v2, s[2:3], v4, v4, v5
	v_rcp_f32_e32 v3, v2
	v_div_scale_f32 v8, vcc, v5, v4, v5
	v_fma_f32 v9, -v2, v3, 1.0
	v_fmac_f32_e32 v3, v9, v3
	v_mul_f32_e32 v9, v8, v3
	v_fma_f32 v10, -v2, v9, v8
	v_fmac_f32_e32 v9, v10, v3
	v_fma_f32 v2, -v2, v9, v8
	v_div_fmas_f32 v2, v2, v3, v9
	v_div_fixup_f32 v3, v2, v4, v5
	v_fmac_f32_e32 v4, v5, v3
	v_div_scale_f32 v2, s[2:3], v4, v4, 1.0
	v_rcp_f32_e32 v5, v2
	v_fma_f32 v8, -v2, v5, 1.0
	v_fmac_f32_e32 v5, v8, v5
	v_div_scale_f32 v8, vcc, 1.0, v4, 1.0
	v_mul_f32_e32 v9, v8, v5
	v_fma_f32 v10, -v2, v9, v8
	v_fmac_f32_e32 v9, v10, v5
	v_fma_f32 v2, -v2, v9, v8
	v_div_fmas_f32 v2, v2, v5, v9
	v_div_fixup_f32 v4, v2, v4, 1.0
	v_fma_f32 v2, v3, v7, v6
	v_fma_f32 v3, -v3, v6, v7
	v_mul_f32_e32 v2, v2, v4
	v_mul_f32_e32 v3, v3, v4
.LBB147_104:                            ;   in Loop: Header=BB147_86 Depth=1
	s_add_i32 s6, s5, -4
	s_sub_i32 s4, s4, 32
	s_cmp_lt_i32 s5, 7
	ds_write_b64 v14, v[2:3]
	s_cbranch_scc1 .LBB147_106
; %bb.105:                              ;   in Loop: Header=BB147_86 Depth=1
	s_mov_b32 s5, s6
	s_branch .LBB147_86
.LBB147_106:
	s_cmp_lt_i32 s6, 0
	s_cbranch_scc1 .LBB147_115
; %bb.107:
	s_mul_i32 s2, s33, 0x60
	s_lshl_b32 s3, s6, 3
	s_add_i32 s3, s2, s3
	v_lshl_add_u32 v1, v0, 3, s2
	s_add_i32 s4, s3, 0xffffffa0
	v_add_u32_e32 v1, 0x420, v1
	s_branch .LBB147_109
.LBB147_108:                            ;   in Loop: Header=BB147_109 Depth=1
	s_add_i32 s2, s6, -1
	s_add_i32 s4, s4, -8
	s_cmp_lt_i32 s6, 1
	s_mov_b32 s6, s2
	ds_write_b64 v8, v[6:7]
	s_cbranch_scc1 .LBB147_115
.LBB147_109:                            ; =>This Loop Header: Depth=1
                                        ;     Child Loop BB147_110 Depth 2
	s_mul_i32 s2, s6, 12
	v_add_lshl_u32 v4, s2, v0, 3
	ds_read_b64 v[2:3], v4 offset:1152
	s_cmp_le_i32 s42, s6
	v_mov_b32_e32 v5, v1
	s_mov_b32 s2, s4
	s_mov_b32 s3, s42
	s_cbranch_scc1 .LBB147_111
.LBB147_110:                            ;   Parent Loop BB147_109 Depth=1
                                        ; =>  This Inner Loop Header: Depth=2
	v_mov_b32_e32 v8, s2
	ds_read_b64 v[6:7], v5
	ds_read_b64 v[8:9], v8
	s_add_i32 s3, s3, -1
	s_addk_i32 s2, 0xffa0
	v_add_u32_e32 v5, 0xffffffa0, v5
	s_cmp_le_i32 s3, s6
	s_waitcnt lgkmcnt(0)
	v_pk_mul_f32 v[10:11], v[8:9], v[6:7] op_sel:[0,1]
	v_pk_fma_f32 v[12:13], v[8:9], v[6:7], v[10:11] op_sel:[0,0,1] op_sel_hi:[1,0,0]
	v_pk_fma_f32 v[6:7], v[8:9], v[6:7], v[10:11] op_sel:[0,0,1] op_sel_hi:[1,0,0] neg_lo:[0,0,1] neg_hi:[0,0,1]
	v_mov_b32_e32 v7, v13
	v_pk_add_f32 v[2:3], v[2:3], v[6:7] neg_lo:[0,1] neg_hi:[0,1]
	s_cbranch_scc0 .LBB147_110
.LBB147_111:                            ;   in Loop: Header=BB147_109 Depth=1
	s_mul_i32 s2, s6, 0x68
	v_add_u32_e32 v8, 0x480, v4
	v_mov_b32_e32 v4, s2
	ds_read_b64 v[4:5], v4
	s_waitcnt lgkmcnt(0)
	v_cmp_gt_f32_e32 vcc, 0, v5
	v_cndmask_b32_e64 v6, v5, -v5, vcc
	v_cmp_gt_f32_e32 vcc, 0, v4
	v_cndmask_b32_e64 v7, v4, -v4, vcc
	v_cmp_ngt_f32_e32 vcc, v7, v6
	s_cbranch_vccz .LBB147_113
; %bb.112:                              ;   in Loop: Header=BB147_109 Depth=1
	v_div_scale_f32 v6, s[2:3], v5, v5, v4
	v_rcp_f32_e32 v7, v6
	v_div_scale_f32 v9, vcc, v4, v5, v4
	v_fma_f32 v10, -v6, v7, 1.0
	v_fmac_f32_e32 v7, v10, v7
	v_mul_f32_e32 v10, v9, v7
	v_fma_f32 v11, -v6, v10, v9
	v_fmac_f32_e32 v10, v11, v7
	v_fma_f32 v6, -v6, v10, v9
	v_div_fmas_f32 v6, v6, v7, v10
	v_div_fixup_f32 v6, v6, v5, v4
	v_fma_f32 v7, v4, v6, v5
	v_div_scale_f32 v9, s[2:3], v7, v7, 1.0
	v_rcp_f32_e32 v10, v9
	v_fma_f32 v11, -v9, v10, 1.0
	v_fmac_f32_e32 v10, v11, v10
	v_div_scale_f32 v11, vcc, 1.0, v7, 1.0
	v_mul_f32_e32 v12, v11, v10
	v_fma_f32 v13, -v9, v12, v11
	v_fmac_f32_e32 v12, v13, v10
	v_fma_f32 v9, -v9, v12, v11
	v_div_fmas_f32 v9, v9, v10, v12
	v_div_fixup_f32 v10, v9, v7, 1.0
	v_pk_fma_f32 v[12:13], v[2:3], v[6:7], v[2:3] op_sel:[0,0,1] op_sel_hi:[1,0,0] neg_lo:[0,0,1] neg_hi:[0,0,1]
	v_pk_fma_f32 v[6:7], v[2:3], v[6:7], v[2:3] op_sel:[0,0,1] op_sel_hi:[1,0,0]
	v_mov_b32_e32 v7, v13
	v_pk_mul_f32 v[6:7], v[6:7], v[10:11] op_sel_hi:[1,0]
	s_cbranch_execnz .LBB147_108
	s_branch .LBB147_114
.LBB147_113:                            ;   in Loop: Header=BB147_109 Depth=1
                                        ; implicit-def: $vgpr6_vgpr7
.LBB147_114:                            ;   in Loop: Header=BB147_109 Depth=1
	v_div_scale_f32 v6, s[2:3], v4, v4, v5
	v_rcp_f32_e32 v7, v6
	v_div_scale_f32 v9, vcc, v5, v4, v5
	v_fma_f32 v10, -v6, v7, 1.0
	v_fmac_f32_e32 v7, v10, v7
	v_mul_f32_e32 v10, v9, v7
	v_fma_f32 v11, -v6, v10, v9
	v_fmac_f32_e32 v10, v11, v7
	v_fma_f32 v6, -v6, v10, v9
	v_div_fmas_f32 v6, v6, v7, v10
	v_div_fixup_f32 v6, v6, v4, v5
	v_fmac_f32_e32 v4, v5, v6
	v_div_scale_f32 v5, s[2:3], v4, v4, 1.0
	v_rcp_f32_e32 v7, v5
	v_fma_f32 v9, -v5, v7, 1.0
	v_fmac_f32_e32 v7, v9, v7
	v_div_scale_f32 v9, vcc, 1.0, v4, 1.0
	v_mul_f32_e32 v10, v9, v7
	v_fma_f32 v11, -v5, v10, v9
	v_fmac_f32_e32 v10, v11, v7
	v_fma_f32 v5, -v5, v10, v9
	v_div_fmas_f32 v5, v5, v7, v10
	v_pk_mul_f32 v[6:7], v[2:3], v[6:7] op_sel_hi:[1,0]
	v_pk_add_f32 v[10:11], v[2:3], v[6:7] op_sel:[0,1] op_sel_hi:[1,0] neg_lo:[0,1] neg_hi:[0,1]
	v_pk_add_f32 v[2:3], v[2:3], v[6:7] op_sel:[0,1] op_sel_hi:[1,0]
	v_div_fixup_f32 v4, v5, v4, 1.0
	v_mov_b32_e32 v3, v11
	v_pk_mul_f32 v[6:7], v[2:3], v[4:5] op_sel_hi:[1,0]
	s_branch .LBB147_108
.LBB147_115:
	s_mov_b64 s[4:5], 0
.LBB147_116:
	s_andn2_b64 vcc, exec, s[4:5]
	s_cbranch_vccnz .LBB147_148
; %bb.117:
	s_andn2_b64 vcc, exec, s[0:1]
	s_mul_i32 s2, s33, 0x60
	s_mov_b32 s5, s42
	s_cbranch_vccnz .LBB147_139
; %bb.118:
	v_lshl_add_u32 v1, v0, 3, s2
	s_mul_i32 s0, s33, 0x68
	v_add_u32_e32 v1, 0x3c0, v1
	s_add_i32 s3, s0, 0xfffffe70
	s_mov_b32 s4, s42
.LBB147_119:                            ; =>This Loop Header: Depth=1
                                        ;     Child Loop BB147_120 Depth 2
	s_mul_i32 s0, s4, 12
	v_add_lshl_u32 v4, s0, v0, 3
	s_add_i32 s1, s0, -12
	s_sub_i32 s6, s0, 24
	s_sub_i32 s5, s0, 36
	v_add_lshl_u32 v5, s1, v0, 3
	v_add_lshl_u32 v10, s6, v0, 3
	;; [unrolled: 1-line block ×3, first 2 shown]
	ds_read_b64 v[2:3], v4 offset:1152
	ds_read_b64 v[12:13], v5 offset:1152
	;; [unrolled: 1-line block ×4, first 2 shown]
	s_cmp_le_i32 s42, s4
	s_mov_b32 s0, s3
	v_mov_b32_e32 v14, v1
	s_mov_b32 s1, s42
	s_cbranch_scc1 .LBB147_121
.LBB147_120:                            ;   Parent Loop BB147_119 Depth=1
                                        ; =>  This Inner Loop Header: Depth=2
	v_mov_b32_e32 v15, s0
	ds_read2_b64 v[16:19], v14 offset1:12
	ds_read2_b64 v[20:23], v15 offset0:36 offset1:37
	ds_read2_b64 v[24:27], v15 offset0:24 offset1:25
	;; [unrolled: 1-line block ×3, first 2 shown]
	ds_read2_b64 v[32:35], v15 offset1:1
	s_add_i32 s1, s1, -2
	s_add_i32 s0, s0, -16
	v_add_u32_e32 v14, 0xffffff40, v14
	s_waitcnt lgkmcnt(3)
	v_mul_f32_e32 v15, v23, v19
	v_mul_f32_e32 v36, v22, v19
	s_waitcnt lgkmcnt(2)
	v_mul_f32_e32 v37, v27, v19
	v_mul_f32_e32 v27, v27, v18
	;; [unrolled: 3-line block ×4, first 2 shown]
	v_mul_f32_e32 v40, v21, v17
	v_mul_f32_e32 v41, v20, v17
	;; [unrolled: 1-line block ×8, first 2 shown]
	v_fma_f32 v15, v22, v18, -v15
	v_fmac_f32_e32 v36, v23, v18
	v_fma_f32 v22, v26, v18, -v37
	v_fmac_f32_e32 v27, v26, v19
	;; [unrolled: 2-line block ×8, first 2 shown]
	v_sub_f32_e32 v2, v2, v15
	v_sub_f32_e32 v3, v3, v36
	;; [unrolled: 1-line block ×8, first 2 shown]
	s_cmp_le_i32 s1, s4
	v_sub_f32_e32 v2, v2, v19
	v_sub_f32_e32 v3, v3, v41
	;; [unrolled: 1-line block ×8, first 2 shown]
	s_cbranch_scc0 .LBB147_120
.LBB147_121:                            ;   in Loop: Header=BB147_119 Depth=1
	s_mul_i32 s7, s4, 0x68
	v_add_u32_e32 v17, 0x480, v4
	v_mov_b32_e32 v4, s7
	v_add_u32_e32 v16, 0x480, v5
	ds_read_b64 v[4:5], v4
	v_add_u32_e32 v15, 0x480, v10
	v_add_u32_e32 v14, 0x480, v11
	s_waitcnt lgkmcnt(0)
	v_cmp_gt_f32_e32 vcc, 0, v5
	v_cndmask_b32_e64 v10, v5, -v5, vcc
	v_cmp_gt_f32_e32 vcc, 0, v4
	v_cndmask_b32_e64 v11, v4, -v4, vcc
	v_cmp_ngt_f32_e32 vcc, v11, v10
	s_cbranch_vccz .LBB147_123
; %bb.122:                              ;   in Loop: Header=BB147_119 Depth=1
	v_div_scale_f32 v10, s[0:1], v5, v5, v4
	v_rcp_f32_e32 v11, v10
	v_div_scale_f32 v18, vcc, v4, v5, v4
	v_fma_f32 v19, -v10, v11, 1.0
	v_fmac_f32_e32 v11, v19, v11
	v_mul_f32_e32 v19, v18, v11
	v_fma_f32 v20, -v10, v19, v18
	v_fmac_f32_e32 v19, v20, v11
	v_fma_f32 v10, -v10, v19, v18
	v_div_fmas_f32 v10, v10, v11, v19
	v_div_fixup_f32 v11, v10, v5, v4
	v_fma_f32 v10, v4, v11, v5
	v_div_scale_f32 v18, s[0:1], v10, v10, 1.0
	v_rcp_f32_e32 v19, v18
	v_fma_f32 v20, -v18, v19, 1.0
	v_fmac_f32_e32 v19, v20, v19
	v_div_scale_f32 v20, vcc, 1.0, v10, 1.0
	v_mul_f32_e32 v21, v20, v19
	v_fma_f32 v22, -v18, v21, v20
	v_fmac_f32_e32 v21, v22, v19
	v_fma_f32 v18, -v18, v21, v20
	v_div_fmas_f32 v18, v18, v19, v21
	v_div_fixup_f32 v18, v18, v10, 1.0
	v_fma_f32 v10, v2, v11, v3
	v_fma_f32 v11, v3, v11, -v2
	v_mul_f32_e32 v10, v10, v18
	v_mul_f32_e32 v11, v11, v18
	s_cbranch_execz .LBB147_124
	s_branch .LBB147_125
.LBB147_123:                            ;   in Loop: Header=BB147_119 Depth=1
                                        ; implicit-def: $vgpr11
.LBB147_124:                            ;   in Loop: Header=BB147_119 Depth=1
	v_div_scale_f32 v10, s[0:1], v4, v4, v5
	v_rcp_f32_e32 v11, v10
	v_div_scale_f32 v18, vcc, v5, v4, v5
	v_fma_f32 v19, -v10, v11, 1.0
	v_fmac_f32_e32 v11, v19, v11
	v_mul_f32_e32 v19, v18, v11
	v_fma_f32 v20, -v10, v19, v18
	v_fmac_f32_e32 v19, v20, v11
	v_fma_f32 v10, -v10, v19, v18
	v_div_fmas_f32 v10, v10, v11, v19
	v_div_fixup_f32 v11, v10, v4, v5
	v_fmac_f32_e32 v4, v5, v11
	v_div_scale_f32 v5, s[0:1], v4, v4, 1.0
	v_rcp_f32_e32 v10, v5
	v_fma_f32 v18, -v5, v10, 1.0
	v_fmac_f32_e32 v10, v18, v10
	v_div_scale_f32 v18, vcc, 1.0, v4, 1.0
	v_mul_f32_e32 v19, v18, v10
	v_fma_f32 v20, -v5, v19, v18
	v_fmac_f32_e32 v19, v20, v10
	v_fma_f32 v5, -v5, v19, v18
	v_div_fmas_f32 v5, v5, v10, v19
	v_div_fixup_f32 v4, v5, v4, 1.0
	v_fma_f32 v5, v3, v11, v2
	v_fma_f32 v2, -v2, v11, v3
	v_mul_f32_e32 v10, v5, v4
	v_mul_f32_e32 v11, v2, v4
.LBB147_125:                            ;   in Loop: Header=BB147_119 Depth=1
	s_addk_i32 s7, 0xff98
	v_mov_b32_e32 v2, s7
	ds_read2_b64 v[2:5], v2 offset1:1
	ds_write_b64 v17, v[10:11]
	s_waitcnt lgkmcnt(1)
	v_mul_f32_e32 v17, v11, v5
	v_mul_f32_e32 v5, v10, v5
	v_fma_f32 v17, v10, v4, -v17
	v_cmp_gt_f32_e32 vcc, 0, v3
	v_fmac_f32_e32 v5, v11, v4
	v_sub_f32_e32 v4, v12, v17
	v_cndmask_b32_e64 v12, v3, -v3, vcc
	v_cmp_gt_f32_e32 vcc, 0, v2
	v_sub_f32_e32 v5, v13, v5
	v_cndmask_b32_e64 v13, v2, -v2, vcc
	v_cmp_ngt_f32_e32 vcc, v13, v12
	s_cbranch_vccz .LBB147_127
; %bb.126:                              ;   in Loop: Header=BB147_119 Depth=1
	v_div_scale_f32 v12, s[0:1], v3, v3, v2
	v_rcp_f32_e32 v13, v12
	v_div_scale_f32 v17, vcc, v2, v3, v2
	v_fma_f32 v18, -v12, v13, 1.0
	v_fmac_f32_e32 v13, v18, v13
	v_mul_f32_e32 v18, v17, v13
	v_fma_f32 v19, -v12, v18, v17
	v_fmac_f32_e32 v18, v19, v13
	v_fma_f32 v12, -v12, v18, v17
	v_div_fmas_f32 v12, v12, v13, v18
	v_div_fixup_f32 v13, v12, v3, v2
	v_fma_f32 v12, v2, v13, v3
	v_div_scale_f32 v17, s[0:1], v12, v12, 1.0
	v_rcp_f32_e32 v18, v17
	v_fma_f32 v19, -v17, v18, 1.0
	v_fmac_f32_e32 v18, v19, v18
	v_div_scale_f32 v19, vcc, 1.0, v12, 1.0
	v_mul_f32_e32 v20, v19, v18
	v_fma_f32 v21, -v17, v20, v19
	v_fmac_f32_e32 v20, v21, v18
	v_fma_f32 v17, -v17, v20, v19
	v_div_fmas_f32 v17, v17, v18, v20
	v_div_fixup_f32 v17, v17, v12, 1.0
	v_fma_f32 v12, v13, v4, v5
	v_fma_f32 v13, v13, v5, -v4
	v_mul_f32_e32 v12, v12, v17
	v_mul_f32_e32 v13, v13, v17
	s_cbranch_execz .LBB147_128
	s_branch .LBB147_129
.LBB147_127:                            ;   in Loop: Header=BB147_119 Depth=1
                                        ; implicit-def: $vgpr13
.LBB147_128:                            ;   in Loop: Header=BB147_119 Depth=1
	v_div_scale_f32 v12, s[0:1], v2, v2, v3
	v_rcp_f32_e32 v13, v12
	v_div_scale_f32 v17, vcc, v3, v2, v3
	v_fma_f32 v18, -v12, v13, 1.0
	v_fmac_f32_e32 v13, v18, v13
	v_mul_f32_e32 v18, v17, v13
	v_fma_f32 v19, -v12, v18, v17
	v_fmac_f32_e32 v18, v19, v13
	v_fma_f32 v12, -v12, v18, v17
	v_div_fmas_f32 v12, v12, v13, v18
	v_div_fixup_f32 v13, v12, v2, v3
	v_fmac_f32_e32 v2, v3, v13
	v_div_scale_f32 v3, s[0:1], v2, v2, 1.0
	v_rcp_f32_e32 v12, v3
	v_fma_f32 v17, -v3, v12, 1.0
	v_fmac_f32_e32 v12, v17, v12
	v_div_scale_f32 v17, vcc, 1.0, v2, 1.0
	v_mul_f32_e32 v18, v17, v12
	v_fma_f32 v19, -v3, v18, v17
	v_fmac_f32_e32 v18, v19, v12
	v_fma_f32 v3, -v3, v18, v17
	v_div_fmas_f32 v3, v3, v12, v18
	v_div_fixup_f32 v2, v3, v2, 1.0
	v_fma_f32 v3, v13, v5, v4
	v_mul_f32_e32 v12, v3, v2
	v_fma_f32 v3, -v13, v4, v5
	v_mul_f32_e32 v13, v3, v2
.LBB147_129:                            ;   in Loop: Header=BB147_119 Depth=1
	s_add_i32 s6, s6, s4
	s_lshl_b32 s0, s6, 3
	v_mov_b32_e32 v2, s0
	ds_read_b64 v[18:19], v2
	s_add_i32 s6, s7, 0xffffff98
	v_mov_b32_e32 v2, s6
	ds_read2_b64 v[2:5], v2 offset1:1
	ds_write_b64 v16, v[12:13]
	s_waitcnt lgkmcnt(2)
	v_mul_f32_e32 v16, v11, v19
	v_fma_f32 v16, v10, v18, -v16
	v_mul_f32_e32 v17, v10, v19
	v_sub_f32_e32 v8, v8, v16
	s_waitcnt lgkmcnt(1)
	v_mul_f32_e32 v16, v13, v5
	v_fmac_f32_e32 v17, v11, v18
	v_fma_f32 v16, v12, v4, -v16
	v_mul_f32_e32 v5, v12, v5
	v_cmp_gt_f32_e32 vcc, 0, v3
	v_sub_f32_e32 v9, v9, v17
	v_fmac_f32_e32 v5, v13, v4
	v_sub_f32_e32 v4, v8, v16
	v_cndmask_b32_e64 v8, v3, -v3, vcc
	v_cmp_gt_f32_e32 vcc, 0, v2
	v_sub_f32_e32 v5, v9, v5
	v_cndmask_b32_e64 v9, v2, -v2, vcc
	v_cmp_ngt_f32_e32 vcc, v9, v8
	s_cbranch_vccz .LBB147_131
; %bb.130:                              ;   in Loop: Header=BB147_119 Depth=1
	v_div_scale_f32 v8, s[0:1], v3, v3, v2
	v_rcp_f32_e32 v9, v8
	v_div_scale_f32 v16, vcc, v2, v3, v2
	v_fma_f32 v17, -v8, v9, 1.0
	v_fmac_f32_e32 v9, v17, v9
	v_mul_f32_e32 v17, v16, v9
	v_fma_f32 v18, -v8, v17, v16
	v_fmac_f32_e32 v17, v18, v9
	v_fma_f32 v8, -v8, v17, v16
	v_div_fmas_f32 v8, v8, v9, v17
	v_div_fixup_f32 v9, v8, v3, v2
	v_fma_f32 v8, v2, v9, v3
	v_div_scale_f32 v16, s[0:1], v8, v8, 1.0
	v_rcp_f32_e32 v17, v16
	v_fma_f32 v18, -v16, v17, 1.0
	v_fmac_f32_e32 v17, v18, v17
	v_div_scale_f32 v18, vcc, 1.0, v8, 1.0
	v_mul_f32_e32 v19, v18, v17
	v_fma_f32 v20, -v16, v19, v18
	v_fmac_f32_e32 v19, v20, v17
	v_fma_f32 v16, -v16, v19, v18
	v_div_fmas_f32 v16, v16, v17, v19
	v_div_fixup_f32 v16, v16, v8, 1.0
	v_fma_f32 v8, v9, v4, v5
	v_fma_f32 v9, v9, v5, -v4
	v_mul_f32_e32 v8, v8, v16
	v_mul_f32_e32 v9, v9, v16
	s_cbranch_execz .LBB147_132
	s_branch .LBB147_133
.LBB147_131:                            ;   in Loop: Header=BB147_119 Depth=1
                                        ; implicit-def: $vgpr9
.LBB147_132:                            ;   in Loop: Header=BB147_119 Depth=1
	v_div_scale_f32 v8, s[0:1], v2, v2, v3
	v_rcp_f32_e32 v9, v8
	v_div_scale_f32 v16, vcc, v3, v2, v3
	v_fma_f32 v17, -v8, v9, 1.0
	v_fmac_f32_e32 v9, v17, v9
	v_mul_f32_e32 v17, v16, v9
	v_fma_f32 v18, -v8, v17, v16
	v_fmac_f32_e32 v17, v18, v9
	v_fma_f32 v8, -v8, v17, v16
	v_div_fmas_f32 v8, v8, v9, v17
	v_div_fixup_f32 v9, v8, v2, v3
	v_fmac_f32_e32 v2, v3, v9
	v_div_scale_f32 v3, s[0:1], v2, v2, 1.0
	v_rcp_f32_e32 v8, v3
	v_fma_f32 v16, -v3, v8, 1.0
	v_fmac_f32_e32 v8, v16, v8
	v_div_scale_f32 v16, vcc, 1.0, v2, 1.0
	v_mul_f32_e32 v17, v16, v8
	v_fma_f32 v18, -v3, v17, v16
	v_fmac_f32_e32 v17, v18, v8
	v_fma_f32 v3, -v3, v17, v16
	v_div_fmas_f32 v3, v3, v8, v17
	v_div_fixup_f32 v2, v3, v2, 1.0
	v_fma_f32 v3, v9, v5, v4
	v_mul_f32_e32 v8, v3, v2
	v_fma_f32 v3, -v9, v4, v5
	v_mul_f32_e32 v9, v3, v2
.LBB147_133:                            ;   in Loop: Header=BB147_119 Depth=1
	s_add_i32 s0, s4, s5
	s_lshl_b32 s0, s0, 3
	s_add_i32 s0, s0, -8
	v_mov_b32_e32 v2, s0
	ds_read2_b64 v[16:19], v2 offset1:1
	s_add_i32 s0, s6, 0xffffff98
	v_mov_b32_e32 v2, s0
	ds_write_b64 v15, v[8:9]
	ds_read2_b64 v[2:5], v2 offset1:1
	s_waitcnt lgkmcnt(2)
	v_mul_f32_e32 v15, v11, v19
	v_fma_f32 v15, v10, v18, -v15
	v_mul_f32_e32 v10, v10, v19
	v_fmac_f32_e32 v10, v11, v18
	v_sub_f32_e32 v7, v7, v10
	v_mul_f32_e32 v10, v13, v17
	v_sub_f32_e32 v6, v6, v15
	v_fma_f32 v10, v12, v16, -v10
	v_mul_f32_e32 v11, v12, v17
	v_fmac_f32_e32 v11, v13, v16
	v_sub_f32_e32 v6, v6, v10
	s_waitcnt lgkmcnt(0)
	v_mul_f32_e32 v10, v9, v5
	v_mul_f32_e32 v5, v8, v5
	v_cmp_gt_f32_e32 vcc, 0, v3
	v_sub_f32_e32 v7, v7, v11
	v_fma_f32 v10, v8, v4, -v10
	v_fmac_f32_e32 v5, v9, v4
	v_cndmask_b32_e64 v4, v3, -v3, vcc
	v_cmp_gt_f32_e32 vcc, 0, v2
	v_sub_f32_e32 v7, v7, v5
	v_cndmask_b32_e64 v5, v2, -v2, vcc
	v_cmp_ngt_f32_e32 vcc, v5, v4
	v_sub_f32_e32 v6, v6, v10
	s_cbranch_vccz .LBB147_135
; %bb.134:                              ;   in Loop: Header=BB147_119 Depth=1
	v_div_scale_f32 v4, s[0:1], v3, v3, v2
	v_rcp_f32_e32 v5, v4
	v_div_scale_f32 v8, vcc, v2, v3, v2
	v_fma_f32 v9, -v4, v5, 1.0
	v_fmac_f32_e32 v5, v9, v5
	v_mul_f32_e32 v9, v8, v5
	v_fma_f32 v10, -v4, v9, v8
	v_fmac_f32_e32 v9, v10, v5
	v_fma_f32 v4, -v4, v9, v8
	v_div_fmas_f32 v4, v4, v5, v9
	v_div_fixup_f32 v5, v4, v3, v2
	v_fma_f32 v4, v2, v5, v3
	v_div_scale_f32 v8, s[0:1], v4, v4, 1.0
	v_rcp_f32_e32 v9, v8
	v_fma_f32 v10, -v8, v9, 1.0
	v_fmac_f32_e32 v9, v10, v9
	v_div_scale_f32 v10, vcc, 1.0, v4, 1.0
	v_mul_f32_e32 v11, v10, v9
	v_fma_f32 v12, -v8, v11, v10
	v_fmac_f32_e32 v11, v12, v9
	v_fma_f32 v8, -v8, v11, v10
	v_div_fmas_f32 v8, v8, v9, v11
	v_div_fixup_f32 v8, v8, v4, 1.0
	v_fma_f32 v4, v5, v6, v7
	v_fma_f32 v5, v5, v7, -v6
	v_mul_f32_e32 v4, v4, v8
	v_mul_f32_e32 v5, v5, v8
	s_cbranch_execz .LBB147_136
	s_branch .LBB147_137
.LBB147_135:                            ;   in Loop: Header=BB147_119 Depth=1
                                        ; implicit-def: $vgpr5
.LBB147_136:                            ;   in Loop: Header=BB147_119 Depth=1
	v_div_scale_f32 v4, s[0:1], v2, v2, v3
	v_rcp_f32_e32 v5, v4
	v_div_scale_f32 v8, vcc, v3, v2, v3
	v_fma_f32 v9, -v4, v5, 1.0
	v_fmac_f32_e32 v5, v9, v5
	v_mul_f32_e32 v9, v8, v5
	v_fma_f32 v10, -v4, v9, v8
	v_fmac_f32_e32 v9, v10, v5
	v_fma_f32 v4, -v4, v9, v8
	v_div_fmas_f32 v4, v4, v5, v9
	v_div_fixup_f32 v5, v4, v2, v3
	v_fmac_f32_e32 v2, v3, v5
	v_div_scale_f32 v3, s[0:1], v2, v2, 1.0
	v_rcp_f32_e32 v4, v3
	v_fma_f32 v8, -v3, v4, 1.0
	v_fmac_f32_e32 v4, v8, v4
	v_div_scale_f32 v8, vcc, 1.0, v2, 1.0
	v_mul_f32_e32 v9, v8, v4
	v_fma_f32 v10, -v3, v9, v8
	v_fmac_f32_e32 v9, v10, v4
	v_fma_f32 v3, -v3, v9, v8
	v_div_fmas_f32 v3, v3, v4, v9
	v_div_fixup_f32 v2, v3, v2, 1.0
	v_fma_f32 v3, v5, v7, v6
	v_mul_f32_e32 v4, v3, v2
	v_fma_f32 v3, -v5, v6, v7
	v_mul_f32_e32 v5, v3, v2
.LBB147_137:                            ;   in Loop: Header=BB147_119 Depth=1
	s_add_i32 s5, s4, -4
	s_addk_i32 s3, 0xfe80
	s_cmp_lt_i32 s4, 7
	ds_write_b64 v14, v[4:5]
	s_cbranch_scc1 .LBB147_139
; %bb.138:                              ;   in Loop: Header=BB147_119 Depth=1
	s_mov_b32 s4, s5
	s_branch .LBB147_119
.LBB147_139:
	s_cmp_lt_i32 s5, 0
	s_cbranch_scc1 .LBB147_148
; %bb.140:
	s_mul_i32 s0, s5, 0x60
	s_lshl_b32 s1, s33, 3
	s_add_i32 s0, s0, s1
	v_lshl_add_u32 v1, v0, 3, s2
	s_add_i32 s3, s0, -8
	v_add_u32_e32 v1, 0x420, v1
	s_branch .LBB147_142
.LBB147_141:                            ;   in Loop: Header=BB147_142 Depth=1
	s_add_i32 s0, s5, -1
	s_addk_i32 s3, 0xffa0
	s_cmp_lt_i32 s5, 1
	s_mov_b32 s5, s0
	ds_write_b64 v8, v[6:7]
	s_cbranch_scc1 .LBB147_148
.LBB147_142:                            ; =>This Loop Header: Depth=1
                                        ;     Child Loop BB147_143 Depth 2
	s_mul_i32 s0, s5, 12
	v_add_lshl_u32 v4, s0, v0, 3
	ds_read_b64 v[2:3], v4 offset:1152
	s_cmp_le_i32 s42, s5
	v_mov_b32_e32 v5, v1
	s_mov_b32 s0, s3
	s_mov_b32 s1, s42
	s_cbranch_scc1 .LBB147_144
.LBB147_143:                            ;   Parent Loop BB147_142 Depth=1
                                        ; =>  This Inner Loop Header: Depth=2
	v_mov_b32_e32 v8, s0
	ds_read_b64 v[6:7], v5
	ds_read_b64 v[8:9], v8
	s_add_i32 s1, s1, -1
	s_add_i32 s0, s0, -8
	v_add_u32_e32 v5, 0xffffffa0, v5
	s_cmp_le_i32 s1, s5
	s_waitcnt lgkmcnt(0)
	v_pk_mul_f32 v[10:11], v[8:9], v[6:7] op_sel:[0,1]
	v_pk_fma_f32 v[12:13], v[8:9], v[6:7], v[10:11] op_sel:[0,0,1] op_sel_hi:[1,0,0]
	v_pk_fma_f32 v[6:7], v[8:9], v[6:7], v[10:11] op_sel:[0,0,1] op_sel_hi:[1,0,0] neg_lo:[0,0,1] neg_hi:[0,0,1]
	v_mov_b32_e32 v7, v13
	v_pk_add_f32 v[2:3], v[2:3], v[6:7] neg_lo:[0,1] neg_hi:[0,1]
	s_cbranch_scc0 .LBB147_143
.LBB147_144:                            ;   in Loop: Header=BB147_142 Depth=1
	s_mul_i32 s0, s5, 0x68
	v_add_u32_e32 v8, 0x480, v4
	v_mov_b32_e32 v4, s0
	ds_read_b64 v[4:5], v4
	s_waitcnt lgkmcnt(0)
	v_cmp_gt_f32_e32 vcc, 0, v5
	v_cndmask_b32_e64 v6, v5, -v5, vcc
	v_cmp_gt_f32_e32 vcc, 0, v4
	v_cndmask_b32_e64 v7, v4, -v4, vcc
	v_cmp_ngt_f32_e32 vcc, v7, v6
	s_cbranch_vccz .LBB147_146
; %bb.145:                              ;   in Loop: Header=BB147_142 Depth=1
	v_div_scale_f32 v6, s[0:1], v5, v5, v4
	v_rcp_f32_e32 v7, v6
	v_div_scale_f32 v9, vcc, v4, v5, v4
	v_fma_f32 v10, -v6, v7, 1.0
	v_fmac_f32_e32 v7, v10, v7
	v_mul_f32_e32 v10, v9, v7
	v_fma_f32 v11, -v6, v10, v9
	v_fmac_f32_e32 v10, v11, v7
	v_fma_f32 v6, -v6, v10, v9
	v_div_fmas_f32 v6, v6, v7, v10
	v_div_fixup_f32 v6, v6, v5, v4
	v_fma_f32 v7, v4, v6, v5
	v_div_scale_f32 v9, s[0:1], v7, v7, 1.0
	v_rcp_f32_e32 v10, v9
	v_fma_f32 v11, -v9, v10, 1.0
	v_fmac_f32_e32 v10, v11, v10
	v_div_scale_f32 v11, vcc, 1.0, v7, 1.0
	v_mul_f32_e32 v12, v11, v10
	v_fma_f32 v13, -v9, v12, v11
	v_fmac_f32_e32 v12, v13, v10
	v_fma_f32 v9, -v9, v12, v11
	v_div_fmas_f32 v9, v9, v10, v12
	v_div_fixup_f32 v10, v9, v7, 1.0
	v_pk_fma_f32 v[12:13], v[2:3], v[6:7], v[2:3] op_sel:[0,0,1] op_sel_hi:[1,0,0] neg_lo:[0,0,1] neg_hi:[0,0,1]
	v_pk_fma_f32 v[6:7], v[2:3], v[6:7], v[2:3] op_sel:[0,0,1] op_sel_hi:[1,0,0]
	v_mov_b32_e32 v7, v13
	v_pk_mul_f32 v[6:7], v[6:7], v[10:11] op_sel_hi:[1,0]
	s_cbranch_execnz .LBB147_141
	s_branch .LBB147_147
.LBB147_146:                            ;   in Loop: Header=BB147_142 Depth=1
                                        ; implicit-def: $vgpr6_vgpr7
.LBB147_147:                            ;   in Loop: Header=BB147_142 Depth=1
	v_div_scale_f32 v6, s[0:1], v4, v4, v5
	v_rcp_f32_e32 v7, v6
	v_div_scale_f32 v9, vcc, v5, v4, v5
	v_fma_f32 v10, -v6, v7, 1.0
	v_fmac_f32_e32 v7, v10, v7
	v_mul_f32_e32 v10, v9, v7
	v_fma_f32 v11, -v6, v10, v9
	v_fmac_f32_e32 v10, v11, v7
	v_fma_f32 v6, -v6, v10, v9
	v_div_fmas_f32 v6, v6, v7, v10
	v_div_fixup_f32 v6, v6, v4, v5
	v_fmac_f32_e32 v4, v5, v6
	v_div_scale_f32 v5, s[0:1], v4, v4, 1.0
	v_rcp_f32_e32 v7, v5
	v_fma_f32 v9, -v5, v7, 1.0
	v_fmac_f32_e32 v7, v9, v7
	v_div_scale_f32 v9, vcc, 1.0, v4, 1.0
	v_mul_f32_e32 v10, v9, v7
	v_fma_f32 v11, -v5, v10, v9
	v_fmac_f32_e32 v10, v11, v7
	v_fma_f32 v5, -v5, v10, v9
	v_div_fmas_f32 v5, v5, v7, v10
	v_pk_mul_f32 v[6:7], v[2:3], v[6:7] op_sel_hi:[1,0]
	v_pk_add_f32 v[10:11], v[2:3], v[6:7] op_sel:[0,1] op_sel_hi:[1,0] neg_lo:[0,1] neg_hi:[0,1]
	v_pk_add_f32 v[2:3], v[2:3], v[6:7] op_sel:[0,1] op_sel_hi:[1,0]
	v_div_fixup_f32 v4, v5, v4, 1.0
	v_mov_b32_e32 v3, v11
	v_pk_mul_f32 v[6:7], v[2:3], v[4:5] op_sel_hi:[1,0]
	s_branch .LBB147_141
.LBB147_148:
	s_mov_b64 s[4:5], 0
.LBB147_149:
	s_andn2_b64 vcc, exec, s[4:5]
	s_cbranch_vccnz .LBB147_188
; %bb.150:
	s_cmp_lt_i32 s16, 4
	s_mov_b32 s4, 0
	s_cbranch_scc1 .LBB147_173
; %bb.151:
	v_mov_b32_e32 v1, 0x480
	v_lshl_or_b32 v1, v0, 3, v1
	s_mov_b32 s2, 0
	s_mov_b32 s3, 0
.LBB147_152:                            ; =>This Loop Header: Depth=1
                                        ;     Child Loop BB147_154 Depth 2
	s_mul_i32 s4, s3, 12
	v_add_lshl_u32 v4, s4, v0, 3
	s_add_i32 s6, s4, 12
	s_add_i32 s5, s4, 24
	;; [unrolled: 1-line block ×3, first 2 shown]
	v_add_lshl_u32 v5, s6, v0, 3
	v_add_lshl_u32 v12, s5, v0, 3
	;; [unrolled: 1-line block ×3, first 2 shown]
	ds_read_b64 v[2:3], v4 offset:1152
	ds_read_b64 v[10:11], v5 offset:1152
	;; [unrolled: 1-line block ×4, first 2 shown]
	s_cmp_eq_u32 s3, 0
	s_cbranch_scc1 .LBB147_155
; %bb.153:                              ;   in Loop: Header=BB147_152 Depth=1
	s_mov_b32 s0, 0
	v_mov_b32_e32 v14, v1
	s_mov_b32 s1, s2
.LBB147_154:                            ;   Parent Loop BB147_152 Depth=1
                                        ; =>  This Inner Loop Header: Depth=2
	v_mov_b32_e32 v15, s1
	ds_read2_b64 v[16:19], v14 offset1:12
	ds_read_b128 v[20:23], v15
	ds_read_b128 v[24:27], v15 offset:96
	ds_read_b128 v[28:31], v15 offset:192
	;; [unrolled: 1-line block ×3, first 2 shown]
	s_add_i32 s0, s0, 2
	s_add_i32 s1, s1, 16
	v_add_u32_e32 v14, 0xc0, v14
	s_waitcnt lgkmcnt(3)
	v_mul_f32_e32 v15, v21, v17
	v_mul_f32_e32 v36, v20, v17
	s_waitcnt lgkmcnt(2)
	v_mul_f32_e32 v37, v25, v17
	v_mul_f32_e32 v25, v25, v16
	;; [unrolled: 3-line block ×4, first 2 shown]
	v_mul_f32_e32 v40, v23, v19
	v_mul_f32_e32 v41, v22, v19
	;; [unrolled: 1-line block ×8, first 2 shown]
	v_fma_f32 v15, v20, v16, -v15
	v_fmac_f32_e32 v36, v21, v16
	v_fma_f32 v20, v24, v16, -v37
	v_fmac_f32_e32 v25, v24, v17
	;; [unrolled: 2-line block ×8, first 2 shown]
	v_sub_f32_e32 v2, v2, v15
	v_sub_f32_e32 v3, v3, v36
	;; [unrolled: 1-line block ×8, first 2 shown]
	s_cmp_ge_u32 s0, s3
	v_sub_f32_e32 v2, v2, v17
	v_sub_f32_e32 v3, v3, v41
	;; [unrolled: 1-line block ×8, first 2 shown]
	s_cbranch_scc0 .LBB147_154
.LBB147_155:                            ;   in Loop: Header=BB147_152 Depth=1
	s_mul_i32 s7, s3, 0x68
	v_add_u32_e32 v17, 0x480, v4
	v_mov_b32_e32 v4, s7
	v_add_u32_e32 v16, 0x480, v5
	ds_read_b64 v[4:5], v4
	v_add_u32_e32 v15, 0x480, v12
	v_add_u32_e32 v14, 0x480, v13
	s_waitcnt lgkmcnt(0)
	v_cmp_gt_f32_e32 vcc, 0, v5
	v_cndmask_b32_e64 v12, v5, -v5, vcc
	v_cmp_gt_f32_e32 vcc, 0, v4
	v_cndmask_b32_e64 v13, v4, -v4, vcc
	v_cmp_ngt_f32_e32 vcc, v13, v12
	s_cbranch_vccz .LBB147_157
; %bb.156:                              ;   in Loop: Header=BB147_152 Depth=1
	v_div_scale_f32 v12, s[0:1], v5, v5, v4
	v_rcp_f32_e32 v13, v12
	v_div_scale_f32 v18, vcc, v4, v5, v4
	v_fma_f32 v19, -v12, v13, 1.0
	v_fmac_f32_e32 v13, v19, v13
	v_mul_f32_e32 v19, v18, v13
	v_fma_f32 v20, -v12, v19, v18
	v_fmac_f32_e32 v19, v20, v13
	v_fma_f32 v12, -v12, v19, v18
	v_div_fmas_f32 v12, v12, v13, v19
	v_div_fixup_f32 v13, v12, v5, v4
	v_fma_f32 v12, v4, v13, v5
	v_div_scale_f32 v18, s[0:1], v12, v12, 1.0
	v_rcp_f32_e32 v19, v18
	v_fma_f32 v20, -v18, v19, 1.0
	v_fmac_f32_e32 v19, v20, v19
	v_div_scale_f32 v20, vcc, 1.0, v12, 1.0
	v_mul_f32_e32 v21, v20, v19
	v_fma_f32 v22, -v18, v21, v20
	v_fmac_f32_e32 v21, v22, v19
	v_fma_f32 v18, -v18, v21, v20
	v_div_fmas_f32 v18, v18, v19, v21
	v_div_fixup_f32 v18, v18, v12, 1.0
	v_fma_f32 v12, v2, v13, v3
	v_fma_f32 v13, v3, v13, -v2
	v_mul_f32_e32 v12, v12, v18
	v_mul_f32_e32 v13, v13, v18
	s_cbranch_execz .LBB147_158
	s_branch .LBB147_159
.LBB147_157:                            ;   in Loop: Header=BB147_152 Depth=1
                                        ; implicit-def: $vgpr13
.LBB147_158:                            ;   in Loop: Header=BB147_152 Depth=1
	v_div_scale_f32 v12, s[0:1], v4, v4, v5
	v_rcp_f32_e32 v13, v12
	v_div_scale_f32 v18, vcc, v5, v4, v5
	v_fma_f32 v19, -v12, v13, 1.0
	v_fmac_f32_e32 v13, v19, v13
	v_mul_f32_e32 v19, v18, v13
	v_fma_f32 v20, -v12, v19, v18
	v_fmac_f32_e32 v19, v20, v13
	v_fma_f32 v12, -v12, v19, v18
	v_div_fmas_f32 v12, v12, v13, v19
	v_div_fixup_f32 v13, v12, v4, v5
	v_fmac_f32_e32 v4, v5, v13
	v_div_scale_f32 v5, s[0:1], v4, v4, 1.0
	v_rcp_f32_e32 v12, v5
	v_fma_f32 v18, -v5, v12, 1.0
	v_fmac_f32_e32 v12, v18, v12
	v_div_scale_f32 v18, vcc, 1.0, v4, 1.0
	v_mul_f32_e32 v19, v18, v12
	v_fma_f32 v20, -v5, v19, v18
	v_fmac_f32_e32 v19, v20, v12
	v_fma_f32 v5, -v5, v19, v18
	v_div_fmas_f32 v5, v5, v12, v19
	v_div_fixup_f32 v4, v5, v4, 1.0
	v_fma_f32 v5, v3, v13, v2
	v_fma_f32 v2, -v2, v13, v3
	v_mul_f32_e32 v12, v5, v4
	v_mul_f32_e32 v13, v2, v4
.LBB147_159:                            ;   in Loop: Header=BB147_152 Depth=1
	s_add_i32 s6, s6, s3
	s_lshl_b32 s0, s6, 3
	v_mov_b32_e32 v2, s0
	ds_read_b128 v[2:5], v2
	ds_write_b64 v17, v[12:13]
	s_waitcnt lgkmcnt(1)
	v_mul_f32_e32 v17, v13, v3
	v_mul_f32_e32 v3, v12, v3
	v_fma_f32 v17, v12, v2, -v17
	v_cmp_gt_f32_e32 vcc, 0, v5
	v_fmac_f32_e32 v3, v13, v2
	v_sub_f32_e32 v2, v10, v17
	v_cndmask_b32_e64 v10, v5, -v5, vcc
	v_cmp_gt_f32_e32 vcc, 0, v4
	v_sub_f32_e32 v3, v11, v3
	v_cndmask_b32_e64 v11, v4, -v4, vcc
	v_cmp_ngt_f32_e32 vcc, v11, v10
	s_cbranch_vccz .LBB147_161
; %bb.160:                              ;   in Loop: Header=BB147_152 Depth=1
	v_div_scale_f32 v10, s[0:1], v5, v5, v4
	v_rcp_f32_e32 v11, v10
	v_div_scale_f32 v17, vcc, v4, v5, v4
	v_fma_f32 v18, -v10, v11, 1.0
	v_fmac_f32_e32 v11, v18, v11
	v_mul_f32_e32 v18, v17, v11
	v_fma_f32 v19, -v10, v18, v17
	v_fmac_f32_e32 v18, v19, v11
	v_fma_f32 v10, -v10, v18, v17
	v_div_fmas_f32 v10, v10, v11, v18
	v_div_fixup_f32 v11, v10, v5, v4
	v_fma_f32 v10, v4, v11, v5
	v_div_scale_f32 v17, s[0:1], v10, v10, 1.0
	v_rcp_f32_e32 v18, v17
	v_fma_f32 v19, -v17, v18, 1.0
	v_fmac_f32_e32 v18, v19, v18
	v_div_scale_f32 v19, vcc, 1.0, v10, 1.0
	v_mul_f32_e32 v20, v19, v18
	v_fma_f32 v21, -v17, v20, v19
	v_fmac_f32_e32 v20, v21, v18
	v_fma_f32 v17, -v17, v20, v19
	v_div_fmas_f32 v17, v17, v18, v20
	v_div_fixup_f32 v17, v17, v10, 1.0
	v_fma_f32 v10, v11, v2, v3
	v_fma_f32 v11, v11, v3, -v2
	v_mul_f32_e32 v10, v10, v17
	v_mul_f32_e32 v11, v11, v17
	s_cbranch_execz .LBB147_162
	s_branch .LBB147_163
.LBB147_161:                            ;   in Loop: Header=BB147_152 Depth=1
                                        ; implicit-def: $vgpr11
.LBB147_162:                            ;   in Loop: Header=BB147_152 Depth=1
	v_div_scale_f32 v10, s[0:1], v4, v4, v5
	v_rcp_f32_e32 v11, v10
	v_div_scale_f32 v17, vcc, v5, v4, v5
	v_fma_f32 v18, -v10, v11, 1.0
	v_fmac_f32_e32 v11, v18, v11
	v_mul_f32_e32 v18, v17, v11
	v_fma_f32 v19, -v10, v18, v17
	v_fmac_f32_e32 v18, v19, v11
	v_fma_f32 v10, -v10, v18, v17
	v_div_fmas_f32 v10, v10, v11, v18
	v_div_fixup_f32 v11, v10, v4, v5
	v_fmac_f32_e32 v4, v5, v11
	v_div_scale_f32 v5, s[0:1], v4, v4, 1.0
	v_rcp_f32_e32 v10, v5
	v_fma_f32 v17, -v5, v10, 1.0
	v_fmac_f32_e32 v10, v17, v10
	v_div_scale_f32 v17, vcc, 1.0, v4, 1.0
	v_mul_f32_e32 v18, v17, v10
	v_fma_f32 v19, -v5, v18, v17
	v_fmac_f32_e32 v18, v19, v10
	v_fma_f32 v5, -v5, v18, v17
	v_div_fmas_f32 v5, v5, v10, v18
	v_div_fixup_f32 v4, v5, v4, 1.0
	v_fma_f32 v5, v11, v3, v2
	v_fma_f32 v2, -v11, v2, v3
	v_mul_f32_e32 v10, v5, v4
	v_mul_f32_e32 v11, v2, v4
.LBB147_163:                            ;   in Loop: Header=BB147_152 Depth=1
	s_add_i32 s5, s5, s3
	s_lshl_b32 s0, s5, 3
	v_mov_b32_e32 v2, s0
	ds_read_b128 v[18:21], v2
	v_mov_b32_e32 v2, s7
	ds_read_b64 v[2:3], v2 offset:208
	ds_write_b64 v16, v[10:11]
	s_waitcnt lgkmcnt(2)
	v_mul_f32_e32 v4, v13, v19
	v_mul_f32_e32 v5, v12, v19
	v_fma_f32 v4, v12, v18, -v4
	v_fmac_f32_e32 v5, v13, v18
	v_sub_f32_e32 v4, v8, v4
	v_mul_f32_e32 v8, v11, v21
	v_sub_f32_e32 v5, v9, v5
	v_fma_f32 v8, v10, v20, -v8
	v_mul_f32_e32 v9, v10, v21
	s_waitcnt lgkmcnt(1)
	v_cmp_gt_f32_e32 vcc, 0, v3
	v_fmac_f32_e32 v9, v11, v20
	v_sub_f32_e32 v4, v4, v8
	v_cndmask_b32_e64 v8, v3, -v3, vcc
	v_cmp_gt_f32_e32 vcc, 0, v2
	v_sub_f32_e32 v5, v5, v9
	v_cndmask_b32_e64 v9, v2, -v2, vcc
	v_cmp_ngt_f32_e32 vcc, v9, v8
	s_cbranch_vccz .LBB147_165
; %bb.164:                              ;   in Loop: Header=BB147_152 Depth=1
	v_div_scale_f32 v8, s[0:1], v3, v3, v2
	v_rcp_f32_e32 v9, v8
	v_div_scale_f32 v16, vcc, v2, v3, v2
	v_fma_f32 v17, -v8, v9, 1.0
	v_fmac_f32_e32 v9, v17, v9
	v_mul_f32_e32 v17, v16, v9
	v_fma_f32 v18, -v8, v17, v16
	v_fmac_f32_e32 v17, v18, v9
	v_fma_f32 v8, -v8, v17, v16
	v_div_fmas_f32 v8, v8, v9, v17
	v_div_fixup_f32 v9, v8, v3, v2
	v_fma_f32 v8, v2, v9, v3
	v_div_scale_f32 v16, s[0:1], v8, v8, 1.0
	v_rcp_f32_e32 v17, v16
	v_fma_f32 v18, -v16, v17, 1.0
	v_fmac_f32_e32 v17, v18, v17
	v_div_scale_f32 v18, vcc, 1.0, v8, 1.0
	v_mul_f32_e32 v19, v18, v17
	v_fma_f32 v20, -v16, v19, v18
	v_fmac_f32_e32 v19, v20, v17
	v_fma_f32 v16, -v16, v19, v18
	v_div_fmas_f32 v16, v16, v17, v19
	v_div_fixup_f32 v16, v16, v8, 1.0
	v_fma_f32 v8, v9, v4, v5
	v_fma_f32 v9, v9, v5, -v4
	v_mul_f32_e32 v8, v8, v16
	v_mul_f32_e32 v9, v9, v16
	s_cbranch_execz .LBB147_166
	s_branch .LBB147_167
.LBB147_165:                            ;   in Loop: Header=BB147_152 Depth=1
                                        ; implicit-def: $vgpr9
.LBB147_166:                            ;   in Loop: Header=BB147_152 Depth=1
	v_div_scale_f32 v8, s[0:1], v2, v2, v3
	v_rcp_f32_e32 v9, v8
	v_div_scale_f32 v16, vcc, v3, v2, v3
	v_fma_f32 v17, -v8, v9, 1.0
	v_fmac_f32_e32 v9, v17, v9
	v_mul_f32_e32 v17, v16, v9
	v_fma_f32 v18, -v8, v17, v16
	v_fmac_f32_e32 v17, v18, v9
	v_fma_f32 v8, -v8, v17, v16
	v_div_fmas_f32 v8, v8, v9, v17
	v_div_fixup_f32 v9, v8, v2, v3
	v_fmac_f32_e32 v2, v3, v9
	v_div_scale_f32 v3, s[0:1], v2, v2, 1.0
	v_rcp_f32_e32 v8, v3
	v_fma_f32 v16, -v3, v8, 1.0
	v_fmac_f32_e32 v8, v16, v8
	v_div_scale_f32 v16, vcc, 1.0, v2, 1.0
	v_mul_f32_e32 v17, v16, v8
	v_fma_f32 v18, -v3, v17, v16
	v_fmac_f32_e32 v17, v18, v8
	v_fma_f32 v3, -v3, v17, v16
	v_div_fmas_f32 v3, v3, v8, v17
	v_div_fixup_f32 v2, v3, v2, 1.0
	v_fma_f32 v3, v9, v5, v4
	v_mul_f32_e32 v8, v3, v2
	v_fma_f32 v3, -v9, v4, v5
	v_mul_f32_e32 v9, v3, v2
.LBB147_167:                            ;   in Loop: Header=BB147_152 Depth=1
	s_add_i32 s4, s4, s3
	s_lshl_b32 s0, s4, 3
	v_mov_b32_e32 v2, s0
	ds_read_b128 v[16:19], v2
	ds_write_b64 v15, v[8:9]
	ds_read_b128 v[2:5], v2 offset:16
	s_waitcnt lgkmcnt(2)
	v_mul_f32_e32 v15, v13, v17
	v_mul_f32_e32 v17, v12, v17
	v_fma_f32 v12, v12, v16, -v15
	v_sub_f32_e32 v6, v6, v12
	v_mul_f32_e32 v12, v11, v19
	v_fmac_f32_e32 v17, v13, v16
	v_fma_f32 v12, v10, v18, -v12
	v_mul_f32_e32 v10, v10, v19
	v_sub_f32_e32 v7, v7, v17
	v_fmac_f32_e32 v10, v11, v18
	v_sub_f32_e32 v7, v7, v10
	s_waitcnt lgkmcnt(0)
	v_mul_f32_e32 v10, v9, v3
	v_mul_f32_e32 v3, v8, v3
	v_cmp_gt_f32_e32 vcc, 0, v5
	v_fma_f32 v10, v8, v2, -v10
	v_fmac_f32_e32 v3, v9, v2
	v_cndmask_b32_e64 v2, v5, -v5, vcc
	v_cmp_gt_f32_e32 vcc, 0, v4
	v_sub_f32_e32 v7, v7, v3
	v_cndmask_b32_e64 v3, v4, -v4, vcc
	v_sub_f32_e32 v6, v6, v12
	v_cmp_ngt_f32_e32 vcc, v3, v2
	v_sub_f32_e32 v6, v6, v10
	s_cbranch_vccz .LBB147_169
; %bb.168:                              ;   in Loop: Header=BB147_152 Depth=1
	v_div_scale_f32 v2, s[0:1], v5, v5, v4
	v_rcp_f32_e32 v3, v2
	v_div_scale_f32 v8, vcc, v4, v5, v4
	v_fma_f32 v9, -v2, v3, 1.0
	v_fmac_f32_e32 v3, v9, v3
	v_mul_f32_e32 v9, v8, v3
	v_fma_f32 v10, -v2, v9, v8
	v_fmac_f32_e32 v9, v10, v3
	v_fma_f32 v2, -v2, v9, v8
	v_div_fmas_f32 v2, v2, v3, v9
	v_div_fixup_f32 v3, v2, v5, v4
	v_fma_f32 v2, v4, v3, v5
	v_div_scale_f32 v8, s[0:1], v2, v2, 1.0
	v_rcp_f32_e32 v9, v8
	v_fma_f32 v10, -v8, v9, 1.0
	v_fmac_f32_e32 v9, v10, v9
	v_div_scale_f32 v10, vcc, 1.0, v2, 1.0
	v_mul_f32_e32 v11, v10, v9
	v_fma_f32 v12, -v8, v11, v10
	v_fmac_f32_e32 v11, v12, v9
	v_fma_f32 v8, -v8, v11, v10
	v_div_fmas_f32 v8, v8, v9, v11
	v_div_fixup_f32 v8, v8, v2, 1.0
	v_fma_f32 v2, v3, v6, v7
	v_fma_f32 v3, v3, v7, -v6
	v_mul_f32_e32 v2, v2, v8
	v_mul_f32_e32 v3, v3, v8
	s_cbranch_execz .LBB147_170
	s_branch .LBB147_171
.LBB147_169:                            ;   in Loop: Header=BB147_152 Depth=1
                                        ; implicit-def: $vgpr3
.LBB147_170:                            ;   in Loop: Header=BB147_152 Depth=1
	v_div_scale_f32 v2, s[0:1], v4, v4, v5
	v_rcp_f32_e32 v3, v2
	v_div_scale_f32 v8, vcc, v5, v4, v5
	v_fma_f32 v9, -v2, v3, 1.0
	v_fmac_f32_e32 v3, v9, v3
	v_mul_f32_e32 v9, v8, v3
	v_fma_f32 v10, -v2, v9, v8
	v_fmac_f32_e32 v9, v10, v3
	v_fma_f32 v2, -v2, v9, v8
	v_div_fmas_f32 v2, v2, v3, v9
	v_div_fixup_f32 v3, v2, v4, v5
	v_fmac_f32_e32 v4, v5, v3
	v_div_scale_f32 v2, s[0:1], v4, v4, 1.0
	v_rcp_f32_e32 v5, v2
	v_fma_f32 v8, -v2, v5, 1.0
	v_fmac_f32_e32 v5, v8, v5
	v_div_scale_f32 v8, vcc, 1.0, v4, 1.0
	v_mul_f32_e32 v9, v8, v5
	v_fma_f32 v10, -v2, v9, v8
	v_fmac_f32_e32 v9, v10, v5
	v_fma_f32 v2, -v2, v9, v8
	v_div_fmas_f32 v2, v2, v5, v9
	v_div_fixup_f32 v4, v2, v4, 1.0
	v_fma_f32 v2, v3, v7, v6
	v_fma_f32 v3, -v3, v6, v7
	v_mul_f32_e32 v2, v2, v4
	v_mul_f32_e32 v3, v3, v4
.LBB147_171:                            ;   in Loop: Header=BB147_152 Depth=1
	s_add_i32 s4, s3, 4
	s_add_i32 s0, s3, 7
	s_addk_i32 s2, 0x180
	s_cmp_ge_i32 s0, s33
	ds_write_b64 v14, v[2:3]
	s_cbranch_scc1 .LBB147_173
; %bb.172:                              ;   in Loop: Header=BB147_152 Depth=1
	s_mov_b32 s3, s4
	s_branch .LBB147_152
.LBB147_173:
	s_cmp_ge_i32 s4, s33
	s_cbranch_scc1 .LBB147_188
; %bb.174:
	v_mov_b32_e32 v1, 0x480
	s_add_i32 s2, s4, -1
	s_mul_i32 s3, s4, 0x60
	v_lshl_or_b32 v1, v0, 3, v1
	s_mov_b32 s5, 0
	s_mov_b32 s6, s4
	s_branch .LBB147_176
.LBB147_175:                            ;   in Loop: Header=BB147_176 Depth=1
	s_add_i32 s4, s4, 1
	s_add_i32 s5, s5, 1
	s_addk_i32 s3, 0x60
	v_add_u16_e64 v2, s6, 1
	s_cmp_ge_i32 s4, s33
	v_readfirstlane_b32 s6, v2
	ds_write_b64 v8, v[6:7]
	s_cbranch_scc1 .LBB147_188
.LBB147_176:                            ; =>This Loop Header: Depth=1
                                        ;     Child Loop BB147_179 Depth 2
                                        ;     Child Loop BB147_183 Depth 2
	s_mul_i32 s0, s4, 12
	v_add_lshl_u32 v4, s0, v0, 3
	ds_read_b64 v[2:3], v4 offset:1152
	s_cmp_eq_u32 s4, 0
	s_cbranch_scc1 .LBB147_184
; %bb.177:                              ;   in Loop: Header=BB147_176 Depth=1
	s_add_i32 s0, s2, s5
	s_cmp_lt_u32 s0, 7
	s_cbranch_scc1 .LBB147_181
; %bb.178:                              ;   in Loop: Header=BB147_176 Depth=1
	s_and_b32 s0, s4, -8
	s_mov_b32 s1, 0
	v_mov_b32_e32 v5, v1
	s_mov_b32 s7, s3
.LBB147_179:                            ;   Parent Loop BB147_176 Depth=1
                                        ; =>  This Inner Loop Header: Depth=2
	ds_read2_b64 v[6:9], v5 offset1:12
	v_mov_b32_e32 v34, s7
	ds_read2_b64 v[10:13], v5 offset0:24 offset1:36
	ds_read2_b64 v[14:17], v5 offset0:48 offset1:60
	;; [unrolled: 1-line block ×3, first 2 shown]
	ds_read_b128 v[22:25], v34
	ds_read_b128 v[26:29], v34 offset:16
	ds_read_b128 v[30:33], v34 offset:32
	;; [unrolled: 1-line block ×3, first 2 shown]
	s_add_i32 s1, s1, 8
	s_waitcnt lgkmcnt(3)
	v_pk_mul_f32 v[38:39], v[22:23], v[6:7] op_sel:[0,1]
	v_pk_mul_f32 v[40:41], v[24:25], v[8:9] op_sel:[0,1]
	v_pk_fma_f32 v[54:55], v[22:23], v[6:7], v[38:39] op_sel:[0,0,1] op_sel_hi:[1,0,0]
	v_pk_fma_f32 v[6:7], v[22:23], v[6:7], v[38:39] op_sel:[0,0,1] op_sel_hi:[1,0,0] neg_lo:[0,0,1] neg_hi:[0,0,1]
	s_waitcnt lgkmcnt(2)
	v_pk_mul_f32 v[42:43], v[26:27], v[10:11] op_sel:[0,1]
	v_pk_fma_f32 v[22:23], v[24:25], v[8:9], v[40:41] op_sel:[0,0,1] op_sel_hi:[1,0,0]
	v_pk_fma_f32 v[8:9], v[24:25], v[8:9], v[40:41] op_sel:[0,0,1] op_sel_hi:[1,0,0] neg_lo:[0,0,1] neg_hi:[0,0,1]
	v_mov_b32_e32 v7, v55
	v_pk_mul_f32 v[44:45], v[28:29], v[12:13] op_sel:[0,1]
	v_pk_fma_f32 v[24:25], v[26:27], v[10:11], v[42:43] op_sel:[0,0,1] op_sel_hi:[1,0,0]
	v_pk_fma_f32 v[10:11], v[26:27], v[10:11], v[42:43] op_sel:[0,0,1] op_sel_hi:[1,0,0] neg_lo:[0,0,1] neg_hi:[0,0,1]
	v_mov_b32_e32 v9, v23
	v_pk_add_f32 v[2:3], v[2:3], v[6:7] neg_lo:[0,1] neg_hi:[0,1]
	s_waitcnt lgkmcnt(1)
	v_pk_mul_f32 v[46:47], v[30:31], v[14:15] op_sel:[0,1]
	v_pk_fma_f32 v[26:27], v[28:29], v[12:13], v[44:45] op_sel:[0,0,1] op_sel_hi:[1,0,0]
	v_pk_fma_f32 v[12:13], v[28:29], v[12:13], v[44:45] op_sel:[0,0,1] op_sel_hi:[1,0,0] neg_lo:[0,0,1] neg_hi:[0,0,1]
	v_mov_b32_e32 v11, v25
	v_pk_add_f32 v[2:3], v[2:3], v[8:9] neg_lo:[0,1] neg_hi:[0,1]
	v_pk_mul_f32 v[48:49], v[32:33], v[16:17] op_sel:[0,1]
	v_pk_fma_f32 v[28:29], v[30:31], v[14:15], v[46:47] op_sel:[0,0,1] op_sel_hi:[1,0,0]
	v_pk_fma_f32 v[14:15], v[30:31], v[14:15], v[46:47] op_sel:[0,0,1] op_sel_hi:[1,0,0] neg_lo:[0,0,1] neg_hi:[0,0,1]
	v_mov_b32_e32 v13, v27
	v_pk_add_f32 v[2:3], v[2:3], v[10:11] neg_lo:[0,1] neg_hi:[0,1]
	s_waitcnt lgkmcnt(0)
	v_pk_mul_f32 v[50:51], v[34:35], v[18:19] op_sel:[0,1]
	v_pk_fma_f32 v[30:31], v[32:33], v[16:17], v[48:49] op_sel:[0,0,1] op_sel_hi:[1,0,0]
	v_pk_fma_f32 v[16:17], v[32:33], v[16:17], v[48:49] op_sel:[0,0,1] op_sel_hi:[1,0,0] neg_lo:[0,0,1] neg_hi:[0,0,1]
	v_mov_b32_e32 v15, v29
	v_pk_add_f32 v[2:3], v[2:3], v[12:13] neg_lo:[0,1] neg_hi:[0,1]
	v_pk_mul_f32 v[52:53], v[36:37], v[20:21] op_sel:[0,1]
	v_pk_fma_f32 v[32:33], v[34:35], v[18:19], v[50:51] op_sel:[0,0,1] op_sel_hi:[1,0,0]
	v_pk_fma_f32 v[18:19], v[34:35], v[18:19], v[50:51] op_sel:[0,0,1] op_sel_hi:[1,0,0] neg_lo:[0,0,1] neg_hi:[0,0,1]
	v_mov_b32_e32 v17, v31
	v_pk_add_f32 v[2:3], v[2:3], v[14:15] neg_lo:[0,1] neg_hi:[0,1]
	v_pk_fma_f32 v[34:35], v[36:37], v[20:21], v[52:53] op_sel:[0,0,1] op_sel_hi:[1,0,0]
	v_pk_fma_f32 v[20:21], v[36:37], v[20:21], v[52:53] op_sel:[0,0,1] op_sel_hi:[1,0,0] neg_lo:[0,0,1] neg_hi:[0,0,1]
	v_mov_b32_e32 v19, v33
	v_pk_add_f32 v[2:3], v[2:3], v[16:17] neg_lo:[0,1] neg_hi:[0,1]
	s_add_i32 s7, s7, 64
	v_mov_b32_e32 v21, v35
	v_pk_add_f32 v[2:3], v[2:3], v[18:19] neg_lo:[0,1] neg_hi:[0,1]
	v_add_u32_e32 v5, 0x300, v5
	s_cmp_eq_u32 s0, s1
	v_pk_add_f32 v[2:3], v[2:3], v[20:21] neg_lo:[0,1] neg_hi:[0,1]
	s_cbranch_scc0 .LBB147_179
; %bb.180:                              ;   in Loop: Header=BB147_176 Depth=1
	s_and_b32 s1, s4, 7
	s_cmp_eq_u32 s1, 0
	s_cbranch_scc0 .LBB147_182
	s_branch .LBB147_184
.LBB147_181:                            ;   in Loop: Header=BB147_176 Depth=1
	s_mov_b32 s0, 0
	s_and_b32 s1, s4, 7
	s_cmp_eq_u32 s1, 0
	s_cbranch_scc1 .LBB147_184
.LBB147_182:                            ;   in Loop: Header=BB147_176 Depth=1
	s_lshl_b32 s7, s0, 3
	s_mulk_i32 s0, 0x60
	s_and_b32 s1, s6, 7
	v_add_u32_e32 v5, s0, v1
.LBB147_183:                            ;   Parent Loop BB147_176 Depth=1
                                        ; =>  This Inner Loop Header: Depth=2
	s_add_i32 s0, s3, s7
	v_mov_b32_e32 v8, s0
	ds_read_b64 v[6:7], v5
	ds_read_b64 v[8:9], v8
	s_add_i32 s7, s7, 8
	s_add_i32 s1, s1, -1
	v_add_u32_e32 v5, 0x60, v5
	s_cmp_lg_u32 s1, 0
	s_waitcnt lgkmcnt(0)
	v_pk_mul_f32 v[10:11], v[8:9], v[6:7] op_sel:[0,1]
	v_pk_fma_f32 v[12:13], v[8:9], v[6:7], v[10:11] op_sel:[0,0,1] op_sel_hi:[1,0,0]
	v_pk_fma_f32 v[6:7], v[8:9], v[6:7], v[10:11] op_sel:[0,0,1] op_sel_hi:[1,0,0] neg_lo:[0,0,1] neg_hi:[0,0,1]
	v_mov_b32_e32 v7, v13
	v_pk_add_f32 v[2:3], v[2:3], v[6:7] neg_lo:[0,1] neg_hi:[0,1]
	s_cbranch_scc1 .LBB147_183
.LBB147_184:                            ;   in Loop: Header=BB147_176 Depth=1
	s_mul_i32 s0, s4, 0x68
	v_add_u32_e32 v8, 0x480, v4
	v_mov_b32_e32 v4, s0
	ds_read_b64 v[4:5], v4
	s_waitcnt lgkmcnt(0)
	v_cmp_gt_f32_e32 vcc, 0, v5
	v_cndmask_b32_e64 v6, v5, -v5, vcc
	v_cmp_gt_f32_e32 vcc, 0, v4
	v_cndmask_b32_e64 v7, v4, -v4, vcc
	v_cmp_ngt_f32_e32 vcc, v7, v6
	s_cbranch_vccz .LBB147_186
; %bb.185:                              ;   in Loop: Header=BB147_176 Depth=1
	v_div_scale_f32 v6, s[0:1], v5, v5, v4
	v_rcp_f32_e32 v7, v6
	v_div_scale_f32 v9, vcc, v4, v5, v4
	v_fma_f32 v10, -v6, v7, 1.0
	v_fmac_f32_e32 v7, v10, v7
	v_mul_f32_e32 v10, v9, v7
	v_fma_f32 v11, -v6, v10, v9
	v_fmac_f32_e32 v10, v11, v7
	v_fma_f32 v6, -v6, v10, v9
	v_div_fmas_f32 v6, v6, v7, v10
	v_div_fixup_f32 v6, v6, v5, v4
	v_fma_f32 v7, v4, v6, v5
	v_div_scale_f32 v9, s[0:1], v7, v7, 1.0
	v_rcp_f32_e32 v10, v9
	v_fma_f32 v11, -v9, v10, 1.0
	v_fmac_f32_e32 v10, v11, v10
	v_div_scale_f32 v11, vcc, 1.0, v7, 1.0
	v_mul_f32_e32 v12, v11, v10
	v_fma_f32 v13, -v9, v12, v11
	v_fmac_f32_e32 v12, v13, v10
	v_fma_f32 v9, -v9, v12, v11
	v_div_fmas_f32 v9, v9, v10, v12
	v_div_fixup_f32 v10, v9, v7, 1.0
	v_pk_fma_f32 v[12:13], v[2:3], v[6:7], v[2:3] op_sel:[0,0,1] op_sel_hi:[1,0,0] neg_lo:[0,0,1] neg_hi:[0,0,1]
	v_pk_fma_f32 v[6:7], v[2:3], v[6:7], v[2:3] op_sel:[0,0,1] op_sel_hi:[1,0,0]
	v_mov_b32_e32 v7, v13
	v_pk_mul_f32 v[6:7], v[6:7], v[10:11] op_sel_hi:[1,0]
	s_cbranch_execnz .LBB147_175
	s_branch .LBB147_187
.LBB147_186:                            ;   in Loop: Header=BB147_176 Depth=1
                                        ; implicit-def: $vgpr6_vgpr7
.LBB147_187:                            ;   in Loop: Header=BB147_176 Depth=1
	v_div_scale_f32 v6, s[0:1], v4, v4, v5
	v_rcp_f32_e32 v7, v6
	v_div_scale_f32 v9, vcc, v5, v4, v5
	v_fma_f32 v10, -v6, v7, 1.0
	v_fmac_f32_e32 v7, v10, v7
	v_mul_f32_e32 v10, v9, v7
	v_fma_f32 v11, -v6, v10, v9
	v_fmac_f32_e32 v10, v11, v7
	v_fma_f32 v6, -v6, v10, v9
	v_div_fmas_f32 v6, v6, v7, v10
	v_div_fixup_f32 v6, v6, v4, v5
	v_fmac_f32_e32 v4, v5, v6
	v_div_scale_f32 v5, s[0:1], v4, v4, 1.0
	v_rcp_f32_e32 v7, v5
	v_fma_f32 v9, -v5, v7, 1.0
	v_fmac_f32_e32 v7, v9, v7
	v_div_scale_f32 v9, vcc, 1.0, v4, 1.0
	v_mul_f32_e32 v10, v9, v7
	v_fma_f32 v11, -v5, v10, v9
	v_fmac_f32_e32 v10, v11, v7
	v_fma_f32 v5, -v5, v10, v9
	v_div_fmas_f32 v5, v5, v7, v10
	v_pk_mul_f32 v[6:7], v[2:3], v[6:7] op_sel_hi:[1,0]
	v_pk_add_f32 v[10:11], v[2:3], v[6:7] op_sel:[0,1] op_sel_hi:[1,0] neg_lo:[0,1] neg_hi:[0,1]
	v_pk_add_f32 v[2:3], v[2:3], v[6:7] op_sel:[0,1] op_sel_hi:[1,0]
	v_div_fixup_f32 v4, v5, v4, 1.0
	v_mov_b32_e32 v3, v11
	v_pk_mul_f32 v[6:7], v[2:3], v[4:5] op_sel_hi:[1,0]
	s_branch .LBB147_175
.LBB147_188:
	s_and_saveexec_b64 s[0:1], s[26:27]
	s_cbranch_execz .LBB147_195
; %bb.189:
	s_ashr_i32 s15, s14, 31
	s_mov_b32 s6, 0
	s_cmp_lt_u32 s16, 4
	v_lshlrev_b32_e32 v1, 3, v0
	s_cbranch_scc1 .LBB147_192
; %bb.190:
	v_mov_b32_e32 v3, s41
	v_add_co_u32_e32 v2, vcc, s40, v1
	s_mul_hi_i32 s9, s14, 24
	s_lshl_b64 s[0:1], s[14:15], 5
	s_lshl_b64 s[2:3], s[14:15], 4
	;; [unrolled: 1-line block ×3, first 2 shown]
	v_mov_b32_e32 v4, 0x480
	v_addc_co_u32_e32 v3, vcc, 0, v3, vcc
	s_and_b32 s6, s16, 0x7ffffffc
	s_mul_i32 s7, s14, 24
	v_lshl_or_b32 v4, v0, 3, v4
	s_mov_b32 s8, 0
	v_mov_b32_e32 v5, s5
	v_mov_b32_e32 v6, s3
	;; [unrolled: 1-line block ×4, first 2 shown]
.LBB147_191:                            ; =>This Inner Loop Header: Depth=1
	v_add_co_u32_e32 v18, vcc, s4, v2
	ds_read2_b64 v[10:13], v4 offset1:12
	v_addc_co_u32_e32 v19, vcc, v3, v5, vcc
	v_add_co_u32_e32 v20, vcc, s2, v2
	v_addc_co_u32_e32 v21, vcc, v3, v6, vcc
	ds_read2_b64 v[14:17], v4 offset0:24 offset1:36
	v_add_co_u32_e32 v22, vcc, s7, v2
	v_addc_co_u32_e32 v23, vcc, v3, v7, vcc
	s_add_i32 s8, s8, 4
	s_waitcnt lgkmcnt(1)
	global_store_dwordx2 v[2:3], v[10:11], off
	global_store_dwordx2 v[18:19], v[12:13], off
	s_waitcnt lgkmcnt(0)
	global_store_dwordx2 v[20:21], v[14:15], off
	global_store_dwordx2 v[22:23], v[16:17], off
	v_add_co_u32_e32 v2, vcc, s0, v2
	v_add_u32_e32 v4, 0x180, v4
	s_cmp_lg_u32 s6, s8
	v_addc_co_u32_e32 v3, vcc, v3, v8, vcc
	s_cbranch_scc1 .LBB147_191
.LBB147_192:
	s_and_b32 s2, s16, 3
	s_cmp_eq_u32 s2, 0
	s_cbranch_scc1 .LBB147_195
; %bb.193:
	s_mul_hi_i32 s1, s14, s6
	s_mul_i32 s0, s14, s6
	s_lshl_b64 s[0:1], s[0:1], 3
	s_add_u32 s0, s24, s0
	s_addc_u32 s1, s25, s1
	s_add_u32 s0, s0, s39
	s_addc_u32 s1, s1, s38
	;; [unrolled: 2-line block ×4, first 2 shown]
	s_mul_i32 s3, s6, 0x60
	v_mov_b32_e32 v3, s1
	v_add_co_u32_e32 v2, vcc, s0, v1
	s_lshl_b64 s[0:1], s[14:15], 3
	v_lshl_add_u32 v0, v0, 3, s3
	v_addc_co_u32_e32 v3, vcc, 0, v3, vcc
	v_add_u32_e32 v0, 0x480, v0
	v_mov_b32_e32 v1, s1
.LBB147_194:                            ; =>This Inner Loop Header: Depth=1
	ds_read_b64 v[4:5], v0
	s_add_i32 s2, s2, -1
	v_add_u32_e32 v0, 0x60, v0
	s_cmp_lg_u32 s2, 0
	s_waitcnt lgkmcnt(0)
	global_store_dwordx2 v[2:3], v[4:5], off
	v_add_co_u32_e32 v2, vcc, s0, v2
	v_addc_co_u32_e32 v3, vcc, v3, v1, vcc
	s_cbranch_scc1 .LBB147_194
.LBB147_195:
	s_endpgm
	.section	.rodata,"a",@progbits
	.p2align	6, 0x0
	.amdhsa_kernel _ZL31rocblas_trsm_small_right_deviceI19rocblas_complex_numIfES1_PKS1_PS1_Li12EEv13rocblas_fill_18rocblas_operation_17rocblas_diagonal_iiT0_T1_lilT2_lili
		.amdhsa_group_segment_fixed_size 2304
		.amdhsa_private_segment_fixed_size 0
		.amdhsa_kernarg_size 360
		.amdhsa_user_sgpr_count 6
		.amdhsa_user_sgpr_private_segment_buffer 1
		.amdhsa_user_sgpr_dispatch_ptr 0
		.amdhsa_user_sgpr_queue_ptr 0
		.amdhsa_user_sgpr_kernarg_segment_ptr 1
		.amdhsa_user_sgpr_dispatch_id 0
		.amdhsa_user_sgpr_flat_scratch_init 0
		.amdhsa_user_sgpr_kernarg_preload_length 0
		.amdhsa_user_sgpr_kernarg_preload_offset 0
		.amdhsa_user_sgpr_private_segment_size 0
		.amdhsa_uses_dynamic_stack 0
		.amdhsa_system_sgpr_private_segment_wavefront_offset 0
		.amdhsa_system_sgpr_workgroup_id_x 1
		.amdhsa_system_sgpr_workgroup_id_y 0
		.amdhsa_system_sgpr_workgroup_id_z 1
		.amdhsa_system_sgpr_workgroup_info 0
		.amdhsa_system_vgpr_workitem_id 0
		.amdhsa_next_free_vgpr 56
		.amdhsa_next_free_sgpr 48
		.amdhsa_accum_offset 56
		.amdhsa_reserve_vcc 1
		.amdhsa_reserve_flat_scratch 0
		.amdhsa_float_round_mode_32 0
		.amdhsa_float_round_mode_16_64 0
		.amdhsa_float_denorm_mode_32 3
		.amdhsa_float_denorm_mode_16_64 3
		.amdhsa_dx10_clamp 1
		.amdhsa_ieee_mode 1
		.amdhsa_fp16_overflow 0
		.amdhsa_tg_split 0
		.amdhsa_exception_fp_ieee_invalid_op 0
		.amdhsa_exception_fp_denorm_src 0
		.amdhsa_exception_fp_ieee_div_zero 0
		.amdhsa_exception_fp_ieee_overflow 0
		.amdhsa_exception_fp_ieee_underflow 0
		.amdhsa_exception_fp_ieee_inexact 0
		.amdhsa_exception_int_div_zero 0
	.end_amdhsa_kernel
	.section	.text._ZL31rocblas_trsm_small_right_deviceI19rocblas_complex_numIfES1_PKS1_PS1_Li12EEv13rocblas_fill_18rocblas_operation_17rocblas_diagonal_iiT0_T1_lilT2_lili,"axG",@progbits,_ZL31rocblas_trsm_small_right_deviceI19rocblas_complex_numIfES1_PKS1_PS1_Li12EEv13rocblas_fill_18rocblas_operation_17rocblas_diagonal_iiT0_T1_lilT2_lili,comdat
.Lfunc_end147:
	.size	_ZL31rocblas_trsm_small_right_deviceI19rocblas_complex_numIfES1_PKS1_PS1_Li12EEv13rocblas_fill_18rocblas_operation_17rocblas_diagonal_iiT0_T1_lilT2_lili, .Lfunc_end147-_ZL31rocblas_trsm_small_right_deviceI19rocblas_complex_numIfES1_PKS1_PS1_Li12EEv13rocblas_fill_18rocblas_operation_17rocblas_diagonal_iiT0_T1_lilT2_lili
                                        ; -- End function
	.section	.AMDGPU.csdata,"",@progbits
; Kernel info:
; codeLenInByte = 15812
; NumSgprs: 52
; NumVgprs: 56
; NumAgprs: 0
; TotalNumVgprs: 56
; ScratchSize: 0
; MemoryBound: 0
; FloatMode: 240
; IeeeMode: 1
; LDSByteSize: 2304 bytes/workgroup (compile time only)
; SGPRBlocks: 6
; VGPRBlocks: 6
; NumSGPRsForWavesPerEU: 52
; NumVGPRsForWavesPerEU: 56
; AccumOffset: 56
; Occupancy: 7
; WaveLimiterHint : 0
; COMPUTE_PGM_RSRC2:SCRATCH_EN: 0
; COMPUTE_PGM_RSRC2:USER_SGPR: 6
; COMPUTE_PGM_RSRC2:TRAP_HANDLER: 0
; COMPUTE_PGM_RSRC2:TGID_X_EN: 1
; COMPUTE_PGM_RSRC2:TGID_Y_EN: 0
; COMPUTE_PGM_RSRC2:TGID_Z_EN: 1
; COMPUTE_PGM_RSRC2:TIDIG_COMP_CNT: 0
; COMPUTE_PGM_RSRC3_GFX90A:ACCUM_OFFSET: 13
; COMPUTE_PGM_RSRC3_GFX90A:TG_SPLIT: 0
	.section	.text._ZL38rocblas_trsm_small_left_device_sharedBILi16ELi16ELb0E19rocblas_complex_numIfES1_PKS1_PS1_Ev13rocblas_fill_18rocblas_operation_17rocblas_diagonal_iiT3_T4_lilT5_lili,"axG",@progbits,_ZL38rocblas_trsm_small_left_device_sharedBILi16ELi16ELb0E19rocblas_complex_numIfES1_PKS1_PS1_Ev13rocblas_fill_18rocblas_operation_17rocblas_diagonal_iiT3_T4_lilT5_lili,comdat
	.globl	_ZL38rocblas_trsm_small_left_device_sharedBILi16ELi16ELb0E19rocblas_complex_numIfES1_PKS1_PS1_Ev13rocblas_fill_18rocblas_operation_17rocblas_diagonal_iiT3_T4_lilT5_lili ; -- Begin function _ZL38rocblas_trsm_small_left_device_sharedBILi16ELi16ELb0E19rocblas_complex_numIfES1_PKS1_PS1_Ev13rocblas_fill_18rocblas_operation_17rocblas_diagonal_iiT3_T4_lilT5_lili
	.p2align	8
	.type	_ZL38rocblas_trsm_small_left_device_sharedBILi16ELi16ELb0E19rocblas_complex_numIfES1_PKS1_PS1_Ev13rocblas_fill_18rocblas_operation_17rocblas_diagonal_iiT3_T4_lilT5_lili,@function
_ZL38rocblas_trsm_small_left_device_sharedBILi16ELi16ELb0E19rocblas_complex_numIfES1_PKS1_PS1_Ev13rocblas_fill_18rocblas_operation_17rocblas_diagonal_iiT3_T4_lilT5_lili: ; @_ZL38rocblas_trsm_small_left_device_sharedBILi16ELi16ELb0E19rocblas_complex_numIfES1_PKS1_PS1_Ev13rocblas_fill_18rocblas_operation_17rocblas_diagonal_iiT3_T4_lilT5_lili
; %bb.0:
	s_add_u32 s0, s0, s10
	s_load_dwordx4 s[20:23], s[4:5], 0x4
	s_load_dwordx2 s[30:31], s[4:5], 0x14
	s_load_dwordx4 s[16:19], s[4:5], 0x38
	s_load_dwordx2 s[24:25], s[4:5], 0x48
	s_load_dword s42, s[4:5], 0x68
	s_addc_u32 s1, s1, 0
	s_waitcnt lgkmcnt(0)
	s_min_i32 s33, s22, 16
	s_mov_b32 s43, 0
	s_add_i32 s52, s33, -1
	v_cmp_gt_i32_e32 vcc, s33, v0
	s_and_saveexec_b64 s[26:27], vcc
	s_cbranch_execz .LBB148_35
; %bb.1:
	s_load_dword s28, s[4:5], 0x30
	s_load_dwordx4 s[12:15], s[4:5], 0x20
	s_mul_i32 s6, s9, s17
	s_mul_hi_u32 s7, s9, s16
	s_mul_i32 s16, s9, s16
	s_waitcnt lgkmcnt(0)
	s_ashr_i32 s29, s28, 31
	s_cmpk_lg_i32 s20, 0x71
	s_cselect_b64 s[34:35], -1, 0
	s_add_i32 s17, s7, s6
	v_cndmask_b32_e64 v1, 0, 1, s[34:35]
	s_cmp_lt_u32 s52, 3
	v_cmp_ne_u32_e64 s[6:7], 1, v1
	s_cbranch_scc1 .LBB148_20
; %bb.2:
	s_lshl_b64 s[10:11], s[16:17], 3
	s_add_u32 s36, s12, s10
	s_addc_u32 s37, s13, s11
	s_lshl_b64 s[10:11], s[14:15], 3
	s_add_u32 s10, s36, s10
	s_addc_u32 s11, s37, s11
	v_lshlrev_b32_e32 v1, 3, v0
	v_mov_b32_e32 v3, s11
	v_add_co_u32_e32 v2, vcc, s10, v1
	s_mul_hi_i32 s10, s28, 24
	s_lshl_b64 s[36:37], s[28:29], 5
	s_lshl_b64 s[38:39], s[28:29], 4
	;; [unrolled: 1-line block ×3, first 2 shown]
	v_addc_co_u32_e32 v3, vcc, 0, v3, vcc
	s_and_b32 s43, s33, -4
	s_mul_i32 s44, s28, 24
	s_mov_b32 s45, 0
	v_mov_b32_e32 v8, s41
	v_mov_b32_e32 v9, s39
	;; [unrolled: 1-line block ×4, first 2 shown]
	s_branch .LBB148_4
.LBB148_3:                              ;   in Loop: Header=BB148_4 Depth=1
	global_load_dword v4, v[6:7], off
	s_add_i32 s45, s45, 4
	v_add_co_u32_e32 v2, vcc, s36, v2
	v_addc_co_u32_e32 v3, vcc, v3, v11, vcc
	s_cmp_eq_u32 s43, s45
	s_waitcnt vmcnt(0)
	ds_write_b64 v1, v[4:5] offset:384
	v_add_u32_e32 v1, 0x200, v1
	s_cbranch_scc1 .LBB148_20
.LBB148_4:                              ; =>This Inner Loop Header: Depth=1
	s_and_b64 vcc, exec, s[34:35]
	s_cbranch_vccz .LBB148_6
; %bb.5:                                ;   in Loop: Header=BB148_4 Depth=1
	global_load_dword v5, v[2:3], off offset:4
	s_cbranch_execz .LBB148_7
	s_branch .LBB148_8
.LBB148_6:                              ;   in Loop: Header=BB148_4 Depth=1
                                        ; implicit-def: $vgpr5
.LBB148_7:                              ;   in Loop: Header=BB148_4 Depth=1
	global_load_dword v4, v[2:3], off offset:4
	s_waitcnt vmcnt(0)
	v_xor_b32_e32 v5, 0x80000000, v4
.LBB148_8:                              ;   in Loop: Header=BB148_4 Depth=1
	global_load_dword v4, v[2:3], off
	v_add_co_u32_e64 v6, s[10:11], s40, v2
	s_and_b64 vcc, exec, s[6:7]
	v_addc_co_u32_e64 v7, s[10:11], v3, v8, s[10:11]
	s_waitcnt vmcnt(0)
	ds_write_b64 v1, v[4:5]
	s_cbranch_vccnz .LBB148_10
; %bb.9:                                ;   in Loop: Header=BB148_4 Depth=1
	global_load_dword v5, v[6:7], off offset:4
	s_cbranch_execz .LBB148_11
	s_branch .LBB148_12
.LBB148_10:                             ;   in Loop: Header=BB148_4 Depth=1
                                        ; implicit-def: $vgpr5
.LBB148_11:                             ;   in Loop: Header=BB148_4 Depth=1
	global_load_dword v4, v[6:7], off offset:4
	s_waitcnt vmcnt(0)
	v_xor_b32_e32 v5, 0x80000000, v4
.LBB148_12:                             ;   in Loop: Header=BB148_4 Depth=1
	global_load_dword v4, v[6:7], off
	v_add_co_u32_e64 v6, s[10:11], s38, v2
	s_and_b64 vcc, exec, s[6:7]
	v_addc_co_u32_e64 v7, s[10:11], v3, v9, s[10:11]
	s_waitcnt vmcnt(0)
	ds_write_b64 v1, v[4:5] offset:128
	s_cbranch_vccnz .LBB148_14
; %bb.13:                               ;   in Loop: Header=BB148_4 Depth=1
	global_load_dword v5, v[6:7], off offset:4
	s_cbranch_execz .LBB148_15
	s_branch .LBB148_16
.LBB148_14:                             ;   in Loop: Header=BB148_4 Depth=1
                                        ; implicit-def: $vgpr5
.LBB148_15:                             ;   in Loop: Header=BB148_4 Depth=1
	global_load_dword v4, v[6:7], off offset:4
	s_waitcnt vmcnt(0)
	v_xor_b32_e32 v5, 0x80000000, v4
.LBB148_16:                             ;   in Loop: Header=BB148_4 Depth=1
	global_load_dword v4, v[6:7], off
	v_add_co_u32_e64 v6, s[10:11], s44, v2
	s_and_b64 vcc, exec, s[6:7]
	v_addc_co_u32_e64 v7, s[10:11], v3, v10, s[10:11]
	s_waitcnt vmcnt(0)
	ds_write_b64 v1, v[4:5] offset:256
	s_cbranch_vccnz .LBB148_18
; %bb.17:                               ;   in Loop: Header=BB148_4 Depth=1
	global_load_dword v5, v[6:7], off offset:4
	s_cbranch_execnz .LBB148_3
	s_branch .LBB148_19
.LBB148_18:                             ;   in Loop: Header=BB148_4 Depth=1
                                        ; implicit-def: $vgpr5
.LBB148_19:                             ;   in Loop: Header=BB148_4 Depth=1
	global_load_dword v4, v[6:7], off offset:4
	s_waitcnt vmcnt(0)
	v_xor_b32_e32 v5, 0x80000000, v4
	s_branch .LBB148_3
.LBB148_20:
	s_and_b32 s34, s33, 3
	s_cmp_eq_u32 s34, 0
	s_cbranch_scc1 .LBB148_27
; %bb.21:
	s_lshl_b64 s[10:11], s[16:17], 3
	s_mul_i32 s16, s29, s43
	s_mul_hi_u32 s17, s28, s43
	s_add_i32 s17, s17, s16
	s_mul_i32 s16, s28, s43
	s_lshl_b64 s[16:17], s[16:17], 3
	s_add_u32 s16, s10, s16
	s_addc_u32 s17, s11, s17
	s_lshl_b64 s[10:11], s[14:15], 3
	s_add_u32 s10, s16, s10
	s_addc_u32 s11, s17, s11
	s_add_u32 s10, s12, s10
	v_lshlrev_b32_e32 v2, 3, v0
	s_addc_u32 s11, s13, s11
	v_lshl_or_b32 v1, s43, 7, v2
	v_mov_b32_e32 v3, s11
	v_add_co_u32_e32 v2, vcc, s10, v2
	v_addc_co_u32_e32 v3, vcc, 0, v3, vcc
	v_add_co_u32_e32 v2, vcc, 4, v2
	s_lshl_b64 s[10:11], s[28:29], 3
	v_addc_co_u32_e32 v3, vcc, 0, v3, vcc
	v_mov_b32_e32 v6, s11
	s_branch .LBB148_23
.LBB148_22:                             ;   in Loop: Header=BB148_23 Depth=1
	global_load_dword v4, v[2:3], off offset:-4
	s_add_i32 s34, s34, -1
	v_add_co_u32_e32 v2, vcc, s10, v2
	s_cmp_lg_u32 s34, 0
	v_addc_co_u32_e32 v3, vcc, v3, v6, vcc
	s_waitcnt vmcnt(0)
	ds_write_b64 v1, v[4:5]
	v_add_u32_e32 v1, 0x80, v1
	s_cbranch_scc0 .LBB148_27
.LBB148_23:                             ; =>This Inner Loop Header: Depth=1
	s_and_b64 vcc, exec, s[6:7]
	s_cbranch_vccnz .LBB148_25
; %bb.24:                               ;   in Loop: Header=BB148_23 Depth=1
	global_load_dword v5, v[2:3], off
	s_cbranch_execnz .LBB148_22
	s_branch .LBB148_26
.LBB148_25:                             ;   in Loop: Header=BB148_23 Depth=1
                                        ; implicit-def: $vgpr5
.LBB148_26:                             ;   in Loop: Header=BB148_23 Depth=1
	global_load_dword v4, v[2:3], off
	s_waitcnt vmcnt(0)
	v_xor_b32_e32 v5, 0x80000000, v4
	s_branch .LBB148_22
.LBB148_27:
	v_mul_u32_u24_e32 v1, 17, v0
	s_cmpk_lg_i32 s21, 0x84
	v_lshlrev_b32_e32 v1, 3, v1
	s_mov_b64 s[6:7], -1
	s_cbranch_scc0 .LBB148_33
; %bb.28:
	ds_read_b64 v[2:3], v1
	s_mov_b32 s6, 0
	s_waitcnt lgkmcnt(0)
	v_cmp_gt_f32_e32 vcc, 0, v3
	v_cndmask_b32_e64 v4, v3, -v3, vcc
	v_cmp_gt_f32_e32 vcc, 0, v2
	v_cndmask_b32_e64 v5, v2, -v2, vcc
	v_cmp_ngt_f32_e32 vcc, v5, v4
                                        ; implicit-def: $vgpr4_vgpr5
	s_and_saveexec_b64 s[10:11], vcc
	s_xor_b64 s[10:11], exec, s[10:11]
	s_cbranch_execz .LBB148_30
; %bb.29:
	v_div_scale_f32 v4, s[12:13], v3, v3, v2
	v_rcp_f32_e32 v5, v4
	v_div_scale_f32 v6, vcc, v2, v3, v2
	s_mov_b32 s7, -1.0
	v_fma_f32 v7, -v4, v5, 1.0
	v_fmac_f32_e32 v5, v7, v5
	v_mul_f32_e32 v7, v6, v5
	v_fma_f32 v8, -v4, v7, v6
	v_fmac_f32_e32 v7, v8, v5
	v_fma_f32 v4, -v4, v7, v6
	v_div_fmas_f32 v4, v4, v5, v7
	v_div_fixup_f32 v4, v4, v3, v2
	v_fmac_f32_e32 v3, v2, v4
	v_div_scale_f32 v2, s[12:13], v3, v3, 1.0
	v_rcp_f32_e32 v5, v2
	v_fma_f32 v6, -v2, v5, 1.0
	v_fmac_f32_e32 v5, v6, v5
	v_div_scale_f32 v6, vcc, 1.0, v3, 1.0
	v_mul_f32_e32 v7, v6, v5
	v_fma_f32 v8, -v2, v7, v6
	v_fmac_f32_e32 v7, v8, v5
	v_fma_f32 v2, -v2, v7, v6
	v_div_fmas_f32 v2, v2, v5, v7
	v_mul_f32_e32 v5, 0, v4
	v_div_fixup_f32 v2, v2, v3, 1.0
	v_pk_add_f32 v[4:5], v[4:5], s[6:7]
	v_pk_mul_f32 v[4:5], v[4:5], v[2:3] op_sel_hi:[1,0]
                                        ; implicit-def: $vgpr2_vgpr3
.LBB148_30:
	s_andn2_saveexec_b64 s[6:7], s[10:11]
	s_cbranch_execz .LBB148_32
; %bb.31:
	v_div_scale_f32 v4, s[10:11], v2, v2, v3
	v_rcp_f32_e32 v5, v4
	v_div_scale_f32 v6, vcc, v3, v2, v3
	v_fma_f32 v7, -v4, v5, 1.0
	v_fmac_f32_e32 v5, v7, v5
	v_mul_f32_e32 v7, v6, v5
	v_fma_f32 v8, -v4, v7, v6
	v_fmac_f32_e32 v7, v8, v5
	v_fma_f32 v4, -v4, v7, v6
	v_div_fmas_f32 v4, v4, v5, v7
	v_div_fixup_f32 v5, v4, v2, v3
	v_fmac_f32_e32 v2, v3, v5
	v_div_scale_f32 v3, s[10:11], v2, v2, 1.0
	v_rcp_f32_e32 v4, v3
	s_mov_b32 s10, 1.0
	s_mov_b32 s11, 0
	v_fma_f32 v6, -v3, v4, 1.0
	v_fmac_f32_e32 v4, v6, v4
	v_div_scale_f32 v6, vcc, 1.0, v2, 1.0
	v_mul_f32_e32 v7, v6, v4
	v_fma_f32 v8, -v3, v7, v6
	v_fmac_f32_e32 v7, v8, v4
	v_fma_f32 v3, -v3, v7, v6
	v_div_fmas_f32 v3, v3, v4, v7
	v_mul_f32_e32 v4, 0, v5
	v_pk_add_f32 v[6:7], v[4:5], s[10:11]
	v_pk_add_f32 v[4:5], v[4:5], s[10:11] neg_lo:[1,0] neg_hi:[1,0]
	v_div_fixup_f32 v2, v3, v2, 1.0
	v_mov_b32_e32 v7, v5
	v_pk_mul_f32 v[4:5], v[6:7], v[2:3] op_sel_hi:[1,0]
.LBB148_32:
	s_or_b64 exec, exec, s[6:7]
	s_mov_b64 s[6:7], 0
	ds_write_b64 v1, v[4:5]
.LBB148_33:
	s_and_b64 vcc, exec, s[6:7]
	s_cbranch_vccz .LBB148_35
; %bb.34:
	v_mov_b32_e32 v2, 1.0
	v_mov_b32_e32 v3, 0
	ds_write_b64 v1, v[2:3]
.LBB148_35:
	s_or_b64 exec, exec, s[26:27]
	s_load_dword s21, s[4:5], 0x50
	s_load_dwordx2 s[6:7], s[4:5], 0x58
	s_waitcnt lgkmcnt(0)
	s_ashr_i32 s53, s21, 31
	s_mul_i32 s5, s9, s7
	s_mul_hi_u32 s7, s9, s6
	s_mul_i32 s4, s9, s6
	s_add_i32 s5, s7, s5
	s_lshl_b64 s[16:17], s[4:5], 3
	s_add_u32 s4, s18, s16
	s_addc_u32 s5, s19, s17
	s_lshl_b64 s[24:25], s[24:25], 3
	s_add_u32 s6, s4, s24
	s_addc_u32 s7, s5, s25
	s_lshl_b32 s26, s8, 4
	s_add_i32 s42, s42, -1
	s_sub_i32 s4, s23, s26
	s_cmp_ge_u32 s8, s42
	s_cselect_b32 s8, s4, 16
	s_mul_hi_i32 s5, s21, s26
	s_mul_i32 s4, s21, s26
	s_ashr_i32 s27, s26, 31
	s_lshl_b64 s[4:5], s[4:5], 3
	s_add_u32 s23, s6, s4
	s_addc_u32 s54, s7, s5
	s_cmp_gt_i32 s22, 0
	v_cmp_gt_i32_e32 vcc, s8, v0
	s_cselect_b64 s[4:5], -1, 0
	s_mov_b32 s6, 0
	s_and_b64 s[28:29], vcc, s[4:5]
	s_and_saveexec_b64 s[34:35], s[28:29]
	s_cbranch_execz .LBB148_48
; %bb.36:
	s_cmp_lt_i32 s22, 2
	s_mov_b64 s[4:5], -1
	s_cbranch_scc1 .LBB148_45
; %bb.37:
	v_mad_i64_i32 v[2:3], s[4:5], s21, v0, 0
	s_add_i32 s5, s33, -2
	v_lshlrev_b64 v[2:3], 3, v[2:3]
	s_lshr_b32 s55, s5, 1
	v_mov_b32_e32 v4, s54
	v_add_co_u32_e32 v1, vcc, s23, v2
	s_mov_b32 s40, 1
	s_add_i32 s55, s55, 1
	s_mov_b32 s43, 0
	v_addc_co_u32_e32 v2, vcc, v4, v3, vcc
	s_mov_b32 s36, s30
	s_mov_b32 s37, s30
	s_mov_b32 s38, s31
	s_mov_b32 s39, s31
	s_mov_b32 s4, s43
	s_cmp_lt_u32 s5, 6
	s_mov_b32 s5, s40
	s_cbranch_scc1 .LBB148_41
; %bb.38:
	s_and_b32 s56, s55, -4
	v_lshlrev_b32_e32 v3, 3, v0
	s_mov_b32 s42, s43
.LBB148_39:                             ; =>This Inner Loop Header: Depth=1
	s_lshl_b64 s[4:5], s[42:43], 3
	s_mov_b32 s41, s43
	s_add_i32 s44, s40, 2
	s_add_i32 s46, s42, 2
	s_mov_b32 s47, s43
	s_mov_b32 s45, s43
	s_add_i32 s48, s40, 4
	s_add_i32 s50, s42, 4
	s_mov_b32 s51, s43
	;; [unrolled: 4-line block ×3, first 2 shown]
	s_mov_b32 s59, s43
	v_mov_b32_e32 v5, s5
	v_add_co_u32_e32 v4, vcc, s4, v1
	s_lshl_b64 s[14:15], s[40:41], 3
	s_lshl_b64 s[6:7], s[46:47], 3
	;; [unrolled: 1-line block ×7, first 2 shown]
	v_addc_co_u32_e32 v5, vcc, v2, v5, vcc
	v_mov_b32_e32 v7, s15
	v_mov_b32_e32 v9, s7
	v_add_co_u32_e32 v6, vcc, s6, v1
	v_mov_b32_e32 v11, s9
	v_add_co_u32_e64 v8, s[4:5], s8, v1
	v_mov_b32_e32 v13, s11
	v_add_co_u32_e64 v10, s[6:7], s10, v1
	;; [unrolled: 2-line block ×5, first 2 shown]
	v_add_co_u32_e64 v18, s[14:15], s14, v1
	v_addc_co_u32_e64 v19, s[14:15], v2, v7, s[14:15]
	v_addc_co_u32_e32 v7, vcc, v2, v9, vcc
	v_addc_co_u32_e64 v9, vcc, v2, v11, s[4:5]
	v_addc_co_u32_e64 v11, vcc, v2, v13, s[6:7]
	;; [unrolled: 1-line block ×5, first 2 shown]
	global_load_dwordx2 v[20:21], v[4:5], off
	global_load_dwordx2 v[22:23], v[18:19], off
	;; [unrolled: 1-line block ×8, first 2 shown]
	v_lshl_or_b32 v36, s42, 7, v3
	v_lshl_or_b32 v37, s40, 7, v3
	s_add_i32 s42, s42, 8
	s_add_i32 s56, s56, -4
	s_add_i32 s40, s40, 8
	s_cmp_lg_u32 s56, 0
	v_lshl_or_b32 v38, s46, 7, v3
	v_lshl_or_b32 v39, s44, 7, v3
	;; [unrolled: 1-line block ×6, first 2 shown]
	s_waitcnt vmcnt(7)
	v_mov_b32_e32 v4, v20
	s_waitcnt vmcnt(6)
	v_mov_b32_e32 v5, v22
	v_mov_b32_e32 v22, v21
	s_waitcnt vmcnt(4)
	v_mov_b32_e32 v7, v26
	;; [unrolled: 3-line block ×4, first 2 shown]
	v_mov_b32_e32 v34, v33
	v_pk_mul_f32 v[12:13], s[38:39], v[22:23]
	v_pk_mul_f32 v[14:15], s[36:37], v[22:23]
	v_mov_b32_e32 v6, v24
	v_mov_b32_e32 v8, v28
	;; [unrolled: 1-line block ×3, first 2 shown]
	v_pk_mul_f32 v[16:17], s[38:39], v[26:27]
	v_pk_mul_f32 v[18:19], s[36:37], v[26:27]
	v_pk_mul_f32 v[20:21], s[38:39], v[30:31]
	v_pk_mul_f32 v[22:23], s[36:37], v[30:31]
	v_pk_mul_f32 v[24:25], s[38:39], v[34:35]
	v_pk_mul_f32 v[26:27], s[36:37], v[34:35]
	v_pk_fma_f32 v[12:13], s[36:37], v[4:5], v[12:13] neg_lo:[0,0,1] neg_hi:[0,0,1]
	v_pk_fma_f32 v[4:5], s[38:39], v[4:5], v[14:15]
	v_pk_fma_f32 v[14:15], s[36:37], v[6:7], v[16:17] neg_lo:[0,0,1] neg_hi:[0,0,1]
	v_pk_fma_f32 v[6:7], s[38:39], v[6:7], v[18:19]
	;; [unrolled: 2-line block ×4, first 2 shown]
	v_mov_b32_e32 v20, v12
	v_mov_b32_e32 v21, v4
	;; [unrolled: 1-line block ×12, first 2 shown]
	ds_write_b64 v36, v[20:21] offset:2048
	ds_write_b64 v37, v[4:5] offset:2048
	;; [unrolled: 1-line block ×8, first 2 shown]
	s_cbranch_scc1 .LBB148_39
; %bb.40:
	s_mov_b32 s43, s40
	s_mov_b64 s[4:5], s[42:43]
.LBB148_41:
	s_and_b32 s6, s55, 3
	s_cmp_eq_u32 s6, 0
	s_mov_b32 s7, 0
	s_cbranch_scc1 .LBB148_44
; %bb.42:
	s_sub_i32 s6, 0, s6
	v_mov_b32_e32 v3, s6
	v_lshlrev_b32_e32 v4, 3, v0
.LBB148_43:                             ; =>This Inner Loop Header: Depth=1
	s_mov_b32 s6, s4
	s_lshl_b64 s[8:9], s[6:7], 3
	s_mov_b32 s6, s5
	v_mov_b32_e32 v5, s9
	v_add_co_u32_e32 v6, vcc, s8, v1
	s_lshl_b64 s[10:11], s[6:7], 3
	v_addc_co_u32_e32 v7, vcc, v2, v5, vcc
	v_mov_b32_e32 v5, s11
	v_add_co_u32_e32 v8, vcc, s10, v1
	v_addc_co_u32_e32 v9, vcc, v2, v5, vcc
	global_load_dwordx2 v[10:11], v[6:7], off
	global_load_dwordx2 v[12:13], v[8:9], off
	v_add_co_u32_e32 v3, vcc, 1, v3
	v_lshl_or_b32 v5, s4, 7, v4
	v_lshl_or_b32 v14, s5, 7, v4
	s_add_i32 s4, s4, 2
	s_add_i32 s5, s5, 2
	s_andn2_b64 vcc, exec, vcc
	s_waitcnt vmcnt(1)
	v_mov_b32_e32 v6, v10
	s_waitcnt vmcnt(0)
	v_mov_b32_e32 v7, v12
	v_mov_b32_e32 v12, v11
	v_pk_mul_f32 v[8:9], s[38:39], v[12:13]
	v_pk_mul_f32 v[10:11], s[36:37], v[12:13]
	v_pk_fma_f32 v[8:9], s[36:37], v[6:7], v[8:9] neg_lo:[0,0,1] neg_hi:[0,0,1]
	v_pk_fma_f32 v[6:7], s[38:39], v[6:7], v[10:11]
	v_mov_b32_e32 v10, v8
	v_mov_b32_e32 v11, v6
	;; [unrolled: 1-line block ×3, first 2 shown]
	ds_write_b64 v5, v[10:11] offset:2048
	ds_write_b64 v14, v[6:7] offset:2048
	s_cbranch_vccnz .LBB148_43
.LBB148_44:
	s_and_b32 s6, s33, 30
	s_cmp_lg_u32 s33, s6
	s_cselect_b64 s[4:5], -1, 0
.LBB148_45:
	s_and_b64 vcc, exec, s[4:5]
	s_cbranch_vccz .LBB148_48
; %bb.46:
	s_sub_i32 s4, s33, s6
	s_lshl_b64 s[8:9], s[26:27], 3
	s_lshl_b32 s5, s6, 3
	v_lshlrev_b32_e32 v2, 3, v0
	s_add_u32 s5, s18, s5
	v_lshl_or_b32 v1, s6, 7, v2
	s_addc_u32 s6, s19, 0
	s_add_u32 s5, s5, s24
	s_addc_u32 s7, s6, s25
	s_add_u32 s6, s5, s16
	v_mov_b32_e32 v3, s9
	v_add_co_u32_e32 v4, vcc, s8, v2
	s_addc_u32 s7, s7, s17
	v_addc_co_u32_e32 v5, vcc, 0, v3, vcc
	v_pk_mov_b32 v[2:3], s[6:7], s[6:7] op_sel:[0,1]
	v_mad_u64_u32 v[2:3], s[6:7], v4, s21, v[2:3]
	v_mul_lo_u32 v4, v4, s53
	v_mul_lo_u32 v5, v5, s21
	v_add3_u32 v3, v5, v3, v4
	v_add_co_u32_e32 v2, vcc, 4, v2
	v_add_u32_e32 v1, 0x800, v1
	v_addc_co_u32_e32 v3, vcc, 0, v3, vcc
.LBB148_47:                             ; =>This Inner Loop Header: Depth=1
	global_load_dwordx2 v[4:5], v[2:3], off offset:-4
	s_add_i32 s4, s4, -1
	v_add_co_u32_e32 v2, vcc, 8, v2
	v_addc_co_u32_e32 v3, vcc, 0, v3, vcc
	s_cmp_lg_u32 s4, 0
	s_waitcnt vmcnt(0)
	v_mul_f32_e32 v6, s31, v5
	v_mul_f32_e32 v7, s30, v5
	v_fma_f32 v6, s30, v4, -v6
	v_fmac_f32_e32 v7, s31, v4
	ds_write_b64 v1, v[6:7]
	v_add_u32_e32 v1, 0x80, v1
	s_cbranch_scc1 .LBB148_47
.LBB148_48:
	s_or_b64 exec, exec, s[34:35]
	s_cmpk_eq_i32 s20, 0x6f
	s_mov_b64 s[4:5], -1
	s_waitcnt lgkmcnt(0)
	; wave barrier
	s_waitcnt lgkmcnt(0)
	s_cbranch_scc1 .LBB148_77
; %bb.49:
	v_mov_b32_e32 v1, 0x800
	s_mov_b32 s5, 0
	v_lshl_or_b32 v1, v0, 3, v1
	v_lshlrev_b32_e32 v10, 3, v0
	v_mov_b32_e32 v11, 0
	s_mov_b32 s4, s5
	s_mov_b32 s14, s5
	s_branch .LBB148_51
.LBB148_50:                             ;   in Loop: Header=BB148_51 Depth=1
	s_cmp_ge_i32 s14, s33
	s_cselect_b64 s[6:7], -1, 0
	s_add_i32 s4, s4, 1
	s_cmp_eq_u32 s4, 3
	s_cselect_b64 s[8:9], -1, 0
	s_or_b64 s[6:7], s[6:7], s[8:9]
	s_andn2_b64 vcc, exec, s[6:7]
	s_cbranch_vccz .LBB148_76
.LBB148_51:                             ; =>This Loop Header: Depth=1
                                        ;     Child Loop BB148_54 Depth 2
                                        ;       Child Loop BB148_55 Depth 3
                                        ;       Child Loop BB148_59 Depth 3
                                        ;         Child Loop BB148_61 Depth 4
                                        ;         Child Loop BB148_67 Depth 4
                                        ;       Child Loop BB148_70 Depth 3
                                        ;         Child Loop BB148_72 Depth 4
	s_lshl_b64 s[6:7], s[4:5], 2
	s_getpc_b64 s[8:9]
	s_add_u32 s8, s8, __const._ZL38rocblas_trsm_small_left_device_sharedBILi16ELi16ELb0E19rocblas_complex_numIfES1_PKS1_PS1_Ev13rocblas_fill_18rocblas_operation_17rocblas_diagonal_iiT3_T4_lilT5_lili.step_sizes@rel32@lo+4
	s_addc_u32 s9, s9, __const._ZL38rocblas_trsm_small_left_device_sharedBILi16ELi16ELb0E19rocblas_complex_numIfES1_PKS1_PS1_Ev13rocblas_fill_18rocblas_operation_17rocblas_diagonal_iiT3_T4_lilT5_lili.step_sizes@rel32@hi+12
	s_add_u32 s6, s6, s8
	s_addc_u32 s7, s7, s9
	s_load_dword s15, s[6:7], 0x0
	s_waitcnt lgkmcnt(0)
	s_add_i32 s20, s15, -1
	s_add_i32 s6, s20, s14
	s_cmp_ge_i32 s6, s33
	s_cbranch_scc1 .LBB148_50
; %bb.52:                               ;   in Loop: Header=BB148_51 Depth=1
	s_max_i32 s30, s15, 1
	s_cmp_lg_u32 s4, 2
	s_cselect_b64 s[6:7], -1, 0
	s_and_b32 s31, s30, 0x7ffffffe
	s_cmp_lg_u32 s30, s31
	s_cselect_b64 s[8:9], -1, 0
	v_lshl_add_u32 v12, s14, 7, v1
	s_lshl_b32 s34, s15, 7
	s_mul_i32 s35, s14, 0x88
	s_mul_i32 s36, s15, 0x88
	s_branch .LBB148_54
.LBB148_53:                             ;   in Loop: Header=BB148_54 Depth=2
	s_add_i32 s14, s14, s15
	s_add_i32 s10, s20, s14
	;; [unrolled: 1-line block ×3, first 2 shown]
	s_cmp_ge_i32 s10, s33
	v_add_u32_e32 v12, s34, v12
	s_cbranch_scc1 .LBB148_50
.LBB148_54:                             ;   Parent Loop BB148_51 Depth=1
                                        ; =>  This Loop Header: Depth=2
                                        ;       Child Loop BB148_55 Depth 3
                                        ;       Child Loop BB148_59 Depth 3
                                        ;         Child Loop BB148_61 Depth 4
                                        ;         Child Loop BB148_67 Depth 4
                                        ;       Child Loop BB148_70 Depth 3
                                        ;         Child Loop BB148_72 Depth 4
	v_mov_b32_e32 v2, 0
	v_mov_b32_e32 v3, v12
	s_mov_b32 s10, s30
.LBB148_55:                             ;   Parent Loop BB148_51 Depth=1
                                        ;     Parent Loop BB148_54 Depth=2
                                        ; =>    This Inner Loop Header: Depth=3
	ds_read_b64 v[4:5], v3
	s_add_i32 s10, s10, -1
	v_add_u32_e32 v3, 0x80, v3
	s_cmp_eq_u32 s10, 0
	s_waitcnt lgkmcnt(0)
	buffer_store_dword v5, v2, s[0:3], 0 offen offset:4
	buffer_store_dword v4, v2, s[0:3], 0 offen
	v_add_u32_e32 v2, 8, v2
	s_cbranch_scc0 .LBB148_55
; %bb.56:                               ;   in Loop: Header=BB148_54 Depth=2
	s_cmp_lt_i32 s14, 1
	s_cbranch_scc1 .LBB148_68
; %bb.57:                               ;   in Loop: Header=BB148_54 Depth=2
	s_mov_b32 s37, s14
	s_mov_b32 s38, 0
	;; [unrolled: 1-line block ×3, first 2 shown]
	s_branch .LBB148_59
.LBB148_58:                             ;   in Loop: Header=BB148_59 Depth=3
	s_add_i32 s39, s39, 1
	s_add_i32 s38, s38, 8
	s_cmp_ge_i32 s39, s14
	s_cbranch_scc1 .LBB148_68
.LBB148_59:                             ;   Parent Loop BB148_51 Depth=1
                                        ;     Parent Loop BB148_54 Depth=2
                                        ; =>    This Loop Header: Depth=3
                                        ;         Child Loop BB148_61 Depth 4
                                        ;         Child Loop BB148_67 Depth 4
	s_waitcnt lgkmcnt(0)
	v_lshl_or_b32 v2, s39, 7, v10
	ds_read_b64 v[2:3], v2 offset:2048
	s_and_b64 vcc, exec, s[6:7]
	s_cbranch_vccz .LBB148_63
; %bb.60:                               ;   in Loop: Header=BB148_59 Depth=3
	s_mov_b32 s10, s39
	s_waitcnt lgkmcnt(0)
	v_mov_b32_e32 v6, v2
	v_mov_b32_e32 v7, v2
	;; [unrolled: 1-line block ×6, first 2 shown]
	s_mov_b32 s11, 1
	s_mov_b32 s12, 0
	;; [unrolled: 1-line block ×3, first 2 shown]
.LBB148_61:                             ;   Parent Loop BB148_51 Depth=1
                                        ;     Parent Loop BB148_54 Depth=2
                                        ;       Parent Loop BB148_59 Depth=3
                                        ; =>      This Inner Loop Header: Depth=4
	buffer_load_dword v14, v5, s[0:3], 0 offen
	buffer_load_dword v16, v5, s[0:3], 0 offen offset:4
	buffer_load_dword v15, v5, s[0:3], 0 offen offset:8
	;; [unrolled: 1-line block ×3, first 2 shown]
	s_add_i32 s40, s11, s37
	s_add_i32 s41, s12, s14
	s_lshl_b32 s41, s41, 4
	s_lshl_b32 s40, s40, 4
	s_add_i32 s40, s40, s10
	s_add_i32 s41, s41, s39
	s_lshl_b32 s41, s41, 3
	s_lshl_b32 s40, s40, 3
	v_mov_b32_e32 v13, s41
	v_mov_b32_e32 v20, s40
	ds_read_b64 v[18:19], v13
	ds_read_b64 v[20:21], v20
	s_add_i32 s12, s12, 2
	s_add_i32 s11, s11, 2
	s_add_i32 s13, s13, -2
	s_waitcnt lgkmcnt(1)
	v_mov_b32_e32 v22, v18
	s_waitcnt lgkmcnt(0)
	v_mov_b32_e32 v23, v20
	v_mov_b32_e32 v20, v19
	v_pk_mul_f32 v[18:19], v[20:21], v[8:9]
	v_pk_mul_f32 v[20:21], v[20:21], v[6:7]
	v_pk_fma_f32 v[18:19], v[22:23], v[6:7], v[18:19] neg_lo:[0,0,1] neg_hi:[0,0,1]
	v_pk_fma_f32 v[20:21], v[22:23], v[8:9], v[20:21]
	s_cmp_lg_u32 s13, 0
	s_waitcnt vmcnt(1)
	v_pk_add_f32 v[14:15], v[14:15], v[18:19] neg_lo:[0,1] neg_hi:[0,1]
	s_waitcnt vmcnt(0)
	v_pk_add_f32 v[16:17], v[16:17], v[20:21] neg_lo:[0,1] neg_hi:[0,1]
	buffer_store_dword v14, v5, s[0:3], 0 offen
	buffer_store_dword v16, v5, s[0:3], 0 offen offset:4
	buffer_store_dword v15, v5, s[0:3], 0 offen offset:8
	;; [unrolled: 1-line block ×3, first 2 shown]
	v_add_u32_e32 v5, 16, v5
	s_cbranch_scc1 .LBB148_61
; %bb.62:                               ;   in Loop: Header=BB148_59 Depth=3
	s_mov_b64 s[10:11], s[8:9]
	s_mov_b32 s12, s31
	s_branch .LBB148_65
.LBB148_63:                             ;   in Loop: Header=BB148_59 Depth=3
	s_mov_b64 s[10:11], 0
                                        ; implicit-def: $vgpr4_vgpr5
	s_mov_b32 s12, s31
	s_cbranch_execz .LBB148_65
; %bb.64:                               ;   in Loop: Header=BB148_59 Depth=3
	s_waitcnt lgkmcnt(0)
	v_mov_b32_e32 v4, v3
	s_mov_b64 s[10:11], -1
	s_mov_b32 s12, 0
.LBB148_65:                             ;   in Loop: Header=BB148_59 Depth=3
	s_andn2_b64 vcc, exec, s[10:11]
	s_cbranch_vccnz .LBB148_58
; %bb.66:                               ;   in Loop: Header=BB148_59 Depth=3
	s_add_i32 s11, s14, s12
	s_sub_i32 s10, s30, s12
	s_lshl_b32 s11, s11, 7
	s_lshl_b32 s12, s12, 3
	s_waitcnt lgkmcnt(0)
	v_mov_b32_e32 v5, v3
	v_mov_b32_e32 v3, v2
	s_add_i32 s11, s38, s11
	v_add_u32_e32 v6, s12, v11
.LBB148_67:                             ;   Parent Loop BB148_51 Depth=1
                                        ;     Parent Loop BB148_54 Depth=2
                                        ;       Parent Loop BB148_59 Depth=3
                                        ; =>      This Inner Loop Header: Depth=4
	buffer_load_dword v8, v6, s[0:3], 0 offen
	buffer_load_dword v9, v6, s[0:3], 0 offen offset:4
	v_mov_b32_e32 v7, s11
	ds_read_b64 v[14:15], v7
	s_add_i32 s10, s10, -1
	s_addk_i32 s11, 0x80
	s_cmp_eq_u32 s10, 0
	s_waitcnt lgkmcnt(0)
	v_pk_mul_f32 v[16:17], v[14:15], v[4:5]
	v_pk_fma_f32 v[18:19], v[14:15], v[2:3], v[16:17] op_sel:[0,0,1] op_sel_hi:[1,1,0] neg_lo:[0,0,1] neg_hi:[0,0,1]
	v_pk_fma_f32 v[14:15], v[14:15], v[2:3], v[16:17] op_sel:[0,0,1] op_sel_hi:[1,1,0]
	v_mov_b32_e32 v19, v15
	s_waitcnt vmcnt(0)
	v_pk_add_f32 v[8:9], v[8:9], v[18:19] neg_lo:[0,1] neg_hi:[0,1]
	buffer_store_dword v8, v6, s[0:3], 0 offen
	buffer_store_dword v9, v6, s[0:3], 0 offen offset:4
	v_add_u32_e32 v6, 8, v6
	s_cbranch_scc0 .LBB148_67
	s_branch .LBB148_58
.LBB148_68:                             ;   in Loop: Header=BB148_54 Depth=2
	s_lshl_b32 s12, s14, 4
	s_mov_b32 s13, 0
	s_mov_b32 s37, s35
	s_branch .LBB148_70
.LBB148_69:                             ;   in Loop: Header=BB148_70 Depth=3
	s_mul_i32 s10, s39, 0x88
	v_mov_b32_e32 v4, s10
	ds_read_b64 v[4:5], v4
	s_lshl_b32 s10, s13, 3
	s_add_i32 s13, s13, 1
	s_addk_i32 s37, 0x80
	v_add_u32_e32 v8, s10, v11
	s_waitcnt vmcnt(0) lgkmcnt(0)
	v_mul_f32_e32 v6, v5, v3
	v_mul_f32_e32 v7, v4, v3
	v_fma_f32 v6, v4, v2, -v6
	v_fmac_f32_e32 v7, v5, v2
	v_add_lshl_u32 v2, s38, v0, 3
	s_cmp_eq_u32 s13, s30
	buffer_store_dword v6, v8, s[0:3], 0 offen
	buffer_store_dword v7, v8, s[0:3], 0 offen offset:4
	ds_write_b64 v2, v[6:7] offset:2048
	s_cbranch_scc1 .LBB148_53
.LBB148_70:                             ;   Parent Loop BB148_51 Depth=1
                                        ;     Parent Loop BB148_54 Depth=2
                                        ; =>    This Loop Header: Depth=3
                                        ;         Child Loop BB148_72 Depth 4
	s_cmp_lg_u32 s13, 0
	s_cbranch_scc0 .LBB148_74
; %bb.71:                               ;   in Loop: Header=BB148_70 Depth=3
	s_lshl_b32 s10, s13, 3
	v_add_u32_e32 v4, s10, v11
	s_waitcnt lgkmcnt(0)
	buffer_load_dword v2, v4, s[0:3], 0 offen
	buffer_load_dword v3, v4, s[0:3], 0 offen offset:4
	v_mov_b32_e32 v5, 0
	s_mov_b32 s10, 0
	s_mov_b32 s11, s37
.LBB148_72:                             ;   Parent Loop BB148_51 Depth=1
                                        ;     Parent Loop BB148_54 Depth=2
                                        ;       Parent Loop BB148_70 Depth=3
                                        ; =>      This Inner Loop Header: Depth=4
	buffer_load_dword v7, v5, s[0:3], 0 offen offset:4
	buffer_load_dword v6, v5, s[0:3], 0 offen
	v_mov_b32_e32 v8, s11
	ds_read_b64 v[8:9], v8
	s_add_i32 s10, s10, 1
	s_add_i32 s11, s11, 8
	v_add_u32_e32 v5, 8, v5
	s_cmp_ge_u32 s10, s13
	s_waitcnt vmcnt(1)
	v_mov_b32_e32 v14, v7
	s_waitcnt lgkmcnt(0)
	v_pk_mul_f32 v[14:15], v[8:9], v[14:15] op_sel_hi:[1,0]
	s_waitcnt vmcnt(0)
	v_pk_fma_f32 v[16:17], v[8:9], v[6:7], v[14:15] op_sel:[0,0,1] op_sel_hi:[1,1,0] neg_lo:[0,0,1] neg_hi:[0,0,1]
	v_pk_fma_f32 v[6:7], v[8:9], v[6:7], v[14:15] op_sel:[0,0,1] op_sel_hi:[1,0,0]
	v_mov_b32_e32 v17, v7
	v_pk_add_f32 v[2:3], v[2:3], v[16:17] neg_lo:[0,1] neg_hi:[0,1]
	buffer_store_dword v2, v4, s[0:3], 0 offen
	buffer_store_dword v3, v4, s[0:3], 0 offen offset:4
	s_cbranch_scc0 .LBB148_72
; %bb.73:                               ;   in Loop: Header=BB148_70 Depth=3
	s_add_i32 s39, s13, s14
	s_lshl_b32 s38, s39, 4
	s_branch .LBB148_69
.LBB148_74:                             ;   in Loop: Header=BB148_70 Depth=3
                                        ; implicit-def: $vgpr2
                                        ; implicit-def: $sgpr39
                                        ; implicit-def: $sgpr38
	s_cbranch_execz .LBB148_69
; %bb.75:                               ;   in Loop: Header=BB148_70 Depth=3
	s_waitcnt lgkmcnt(0)
	buffer_load_dword v2, off, s[0:3], 0
	buffer_load_dword v3, off, s[0:3], 0 offset:4
	s_mov_b32 s38, s12
	s_mov_b32 s39, s14
	s_branch .LBB148_69
.LBB148_76:
	s_mov_b64 s[4:5], 0
.LBB148_77:
	s_and_b64 vcc, exec, s[4:5]
	s_cbranch_vccz .LBB148_104
; %bb.78:
	v_mov_b32_e32 v1, 0x800
	s_lshl_b32 s14, s33, 7
	s_mov_b32 s5, 0
	v_lshl_or_b32 v1, v0, 3, v1
	s_addk_i32 s14, 0xff80
	v_mov_b32_e32 v10, 0
	v_lshlrev_b32_e32 v11, 3, v0
	s_mov_b32 s4, s5
	s_mov_b32 s15, s52
	s_branch .LBB148_80
.LBB148_79:                             ;   in Loop: Header=BB148_80 Depth=1
	s_cmp_lt_i32 s15, 0
	s_cselect_b64 s[6:7], -1, 0
	s_add_i32 s4, s4, 1
	s_cmp_eq_u32 s4, 3
	s_cselect_b64 s[8:9], -1, 0
	s_or_b64 s[6:7], s[6:7], s[8:9]
	s_and_b64 vcc, exec, s[6:7]
	s_cbranch_vccnz .LBB148_104
.LBB148_80:                             ; =>This Loop Header: Depth=1
                                        ;     Child Loop BB148_83 Depth 2
                                        ;       Child Loop BB148_84 Depth 3
                                        ;       Child Loop BB148_95 Depth 3
                                        ;         Child Loop BB148_97 Depth 4
                                        ;         Child Loop BB148_103 Depth 4
                                        ;       Child Loop BB148_88 Depth 3
                                        ;         Child Loop BB148_90 Depth 4
	s_lshl_b64 s[6:7], s[4:5], 2
	s_getpc_b64 s[8:9]
	s_add_u32 s8, s8, __const._ZL38rocblas_trsm_small_left_device_sharedBILi16ELi16ELb0E19rocblas_complex_numIfES1_PKS1_PS1_Ev13rocblas_fill_18rocblas_operation_17rocblas_diagonal_iiT3_T4_lilT5_lili.step_sizes@rel32@lo+4
	s_addc_u32 s9, s9, __const._ZL38rocblas_trsm_small_left_device_sharedBILi16ELi16ELb0E19rocblas_complex_numIfES1_PKS1_PS1_Ev13rocblas_fill_18rocblas_operation_17rocblas_diagonal_iiT3_T4_lilT5_lili.step_sizes@rel32@hi+12
	s_add_u32 s6, s6, s8
	s_addc_u32 s7, s7, s9
	s_load_dword s20, s[6:7], 0x0
	s_waitcnt lgkmcnt(0)
	s_add_i32 s30, s20, -1
	s_cmp_lt_i32 s15, s30
	s_cbranch_scc1 .LBB148_79
; %bb.81:                               ;   in Loop: Header=BB148_80 Depth=1
	s_max_i32 s31, s20, 1
	s_cmp_lg_u32 s4, 2
	s_cselect_b64 s[6:7], -1, 0
	s_and_b32 s34, s31, 0x7ffffffe
	s_cmp_lg_u32 s31, s34
	s_cselect_b64 s[8:9], -1, 0
	s_lshl_b32 s10, s20, 7
	s_sub_i32 s35, 0, s10
	s_lshl_b32 s10, s15, 3
	s_add_i32 s36, s14, s10
	s_lshl_b32 s10, s20, 3
	v_lshl_add_u32 v12, s15, 7, v1
	s_sub_i32 s37, 0, s10
	s_mul_i32 s38, s15, 0x88
	s_mul_i32 s39, s20, 0xffffff78
	s_branch .LBB148_83
.LBB148_82:                             ;   in Loop: Header=BB148_83 Depth=2
	s_sub_i32 s15, s15, s20
	s_add_i32 s36, s36, s37
	s_add_i32 s38, s38, s39
	s_cmp_lt_i32 s15, s30
	v_add_u32_e32 v12, s35, v12
	s_cbranch_scc1 .LBB148_79
.LBB148_83:                             ;   Parent Loop BB148_80 Depth=1
                                        ; =>  This Loop Header: Depth=2
                                        ;       Child Loop BB148_84 Depth 3
                                        ;       Child Loop BB148_95 Depth 3
                                        ;         Child Loop BB148_97 Depth 4
                                        ;         Child Loop BB148_103 Depth 4
                                        ;       Child Loop BB148_88 Depth 3
                                        ;         Child Loop BB148_90 Depth 4
	v_mov_b32_e32 v2, 0
	v_mov_b32_e32 v3, v12
	s_mov_b32 s10, s31
.LBB148_84:                             ;   Parent Loop BB148_80 Depth=1
                                        ;     Parent Loop BB148_83 Depth=2
                                        ; =>    This Inner Loop Header: Depth=3
	ds_read_b64 v[4:5], v3
	s_add_i32 s10, s10, -1
	v_add_u32_e32 v3, 0xffffff80, v3
	s_cmp_eq_u32 s10, 0
	s_waitcnt lgkmcnt(0)
	buffer_store_dword v5, v2, s[0:3], 0 offen offset:4
	buffer_store_dword v4, v2, s[0:3], 0 offen
	v_add_u32_e32 v2, 8, v2
	s_cbranch_scc0 .LBB148_84
; %bb.85:                               ;   in Loop: Header=BB148_83 Depth=2
	s_cmp_le_i32 s52, s15
	s_mov_b32 s40, s36
	s_mov_b32 s41, s52
	s_cbranch_scc0 .LBB148_95
.LBB148_86:                             ;   in Loop: Header=BB148_83 Depth=2
	s_mov_b32 s12, 0
	s_mov_b32 s13, s38
	s_branch .LBB148_88
.LBB148_87:                             ;   in Loop: Header=BB148_88 Depth=3
	s_mul_i32 s10, s40, 0x88
	v_mov_b32_e32 v4, s10
	ds_read_b64 v[4:5], v4
	s_lshl_b32 s10, s12, 3
	s_add_i32 s12, s12, 1
	s_add_i32 s13, s13, -8
	v_add_u32_e32 v8, s10, v10
	s_waitcnt vmcnt(0) lgkmcnt(0)
	v_mul_f32_e32 v6, v5, v3
	v_mul_f32_e32 v7, v4, v3
	v_fma_f32 v6, v4, v2, -v6
	v_fmac_f32_e32 v7, v5, v2
	v_lshl_or_b32 v2, s40, 7, v11
	s_cmp_eq_u32 s12, s31
	buffer_store_dword v6, v8, s[0:3], 0 offen
	buffer_store_dword v7, v8, s[0:3], 0 offen offset:4
	ds_write_b64 v2, v[6:7] offset:2048
	s_cbranch_scc1 .LBB148_82
.LBB148_88:                             ;   Parent Loop BB148_80 Depth=1
                                        ;     Parent Loop BB148_83 Depth=2
                                        ; =>    This Loop Header: Depth=3
                                        ;         Child Loop BB148_90 Depth 4
	s_cmp_lg_u32 s12, 0
	s_cbranch_scc0 .LBB148_92
; %bb.89:                               ;   in Loop: Header=BB148_88 Depth=3
	s_lshl_b32 s10, s12, 3
	v_add_u32_e32 v4, s10, v10
	s_waitcnt lgkmcnt(0)
	buffer_load_dword v2, v4, s[0:3], 0 offen
	buffer_load_dword v3, v4, s[0:3], 0 offen offset:4
	v_mov_b32_e32 v5, 0
	s_mov_b32 s10, 0
	s_mov_b32 s11, s13
.LBB148_90:                             ;   Parent Loop BB148_80 Depth=1
                                        ;     Parent Loop BB148_83 Depth=2
                                        ;       Parent Loop BB148_88 Depth=3
                                        ; =>      This Inner Loop Header: Depth=4
	buffer_load_dword v7, v5, s[0:3], 0 offen offset:4
	buffer_load_dword v6, v5, s[0:3], 0 offen
	v_mov_b32_e32 v8, s11
	ds_read_b64 v[8:9], v8
	s_add_i32 s10, s10, 1
	s_addk_i32 s11, 0xff80
	v_add_u32_e32 v5, 8, v5
	s_cmp_ge_u32 s10, s12
	s_waitcnt vmcnt(1)
	v_mov_b32_e32 v14, v7
	s_waitcnt lgkmcnt(0)
	v_pk_mul_f32 v[14:15], v[8:9], v[14:15] op_sel_hi:[1,0]
	s_waitcnt vmcnt(0)
	v_pk_fma_f32 v[16:17], v[8:9], v[6:7], v[14:15] op_sel:[0,0,1] op_sel_hi:[1,1,0] neg_lo:[0,0,1] neg_hi:[0,0,1]
	v_pk_fma_f32 v[6:7], v[8:9], v[6:7], v[14:15] op_sel:[0,0,1] op_sel_hi:[1,0,0]
	v_mov_b32_e32 v17, v7
	v_pk_add_f32 v[2:3], v[2:3], v[16:17] neg_lo:[0,1] neg_hi:[0,1]
	buffer_store_dword v2, v4, s[0:3], 0 offen
	buffer_store_dword v3, v4, s[0:3], 0 offen offset:4
	s_cbranch_scc0 .LBB148_90
; %bb.91:                               ;   in Loop: Header=BB148_88 Depth=3
	s_sub_i32 s40, s15, s12
	s_branch .LBB148_87
.LBB148_92:                             ;   in Loop: Header=BB148_88 Depth=3
                                        ; implicit-def: $vgpr2
                                        ; implicit-def: $sgpr40
	s_cbranch_execz .LBB148_87
; %bb.93:                               ;   in Loop: Header=BB148_88 Depth=3
	s_waitcnt lgkmcnt(0)
	buffer_load_dword v2, off, s[0:3], 0
	buffer_load_dword v3, off, s[0:3], 0 offset:4
	s_mov_b32 s40, s15
	s_branch .LBB148_87
.LBB148_94:                             ;   in Loop: Header=BB148_95 Depth=3
	s_add_i32 s41, s41, -1
	s_addk_i32 s40, 0xff80
	s_cmp_le_i32 s41, s15
	s_cbranch_scc1 .LBB148_86
.LBB148_95:                             ;   Parent Loop BB148_80 Depth=1
                                        ;     Parent Loop BB148_83 Depth=2
                                        ; =>    This Loop Header: Depth=3
                                        ;         Child Loop BB148_97 Depth 4
                                        ;         Child Loop BB148_103 Depth 4
	s_lshl_b32 s10, s41, 4
	s_waitcnt lgkmcnt(0)
	v_or_b32_e32 v2, s10, v0
	v_lshlrev_b32_e32 v2, 3, v2
	ds_read_b64 v[2:3], v2 offset:2048
	s_and_b64 vcc, exec, s[6:7]
	s_cbranch_vccz .LBB148_99
; %bb.96:                               ;   in Loop: Header=BB148_95 Depth=3
	s_add_i32 s10, s10, s15
	s_mov_b32 s11, s10
	s_waitcnt lgkmcnt(0)
	v_mov_b32_e32 v6, v2
	v_mov_b32_e32 v7, v2
	;; [unrolled: 1-line block ×6, first 2 shown]
	s_mov_b32 s12, 1
	s_mov_b32 s13, 0
	;; [unrolled: 1-line block ×3, first 2 shown]
.LBB148_97:                             ;   Parent Loop BB148_80 Depth=1
                                        ;     Parent Loop BB148_83 Depth=2
                                        ;       Parent Loop BB148_95 Depth=3
                                        ; =>      This Inner Loop Header: Depth=4
	buffer_load_dword v14, v5, s[0:3], 0 offen
	buffer_load_dword v16, v5, s[0:3], 0 offen offset:4
	buffer_load_dword v15, v5, s[0:3], 0 offen offset:8
	;; [unrolled: 1-line block ×3, first 2 shown]
	s_sub_i32 s43, s11, s12
	s_sub_i32 s44, s10, s13
	s_lshl_b32 s44, s44, 3
	s_lshl_b32 s43, s43, 3
	v_mov_b32_e32 v13, s44
	v_mov_b32_e32 v20, s43
	ds_read_b64 v[18:19], v13
	ds_read_b64 v[20:21], v20
	s_add_i32 s13, s13, 2
	s_add_i32 s12, s12, 2
	s_add_i32 s42, s42, -2
	s_waitcnt lgkmcnt(1)
	v_mov_b32_e32 v22, v18
	s_waitcnt lgkmcnt(0)
	v_mov_b32_e32 v23, v20
	v_mov_b32_e32 v20, v19
	v_pk_mul_f32 v[18:19], v[20:21], v[8:9]
	v_pk_mul_f32 v[20:21], v[20:21], v[6:7]
	v_pk_fma_f32 v[18:19], v[22:23], v[6:7], v[18:19] neg_lo:[0,0,1] neg_hi:[0,0,1]
	v_pk_fma_f32 v[20:21], v[22:23], v[8:9], v[20:21]
	s_cmp_lg_u32 s42, 0
	s_waitcnt vmcnt(1)
	v_pk_add_f32 v[14:15], v[14:15], v[18:19] neg_lo:[0,1] neg_hi:[0,1]
	s_waitcnt vmcnt(0)
	v_pk_add_f32 v[16:17], v[16:17], v[20:21] neg_lo:[0,1] neg_hi:[0,1]
	buffer_store_dword v14, v5, s[0:3], 0 offen
	buffer_store_dword v16, v5, s[0:3], 0 offen offset:4
	buffer_store_dword v15, v5, s[0:3], 0 offen offset:8
	;; [unrolled: 1-line block ×3, first 2 shown]
	v_add_u32_e32 v5, 16, v5
	s_cbranch_scc1 .LBB148_97
; %bb.98:                               ;   in Loop: Header=BB148_95 Depth=3
	s_mov_b64 s[10:11], s[8:9]
	s_mov_b32 s12, s34
	s_branch .LBB148_101
.LBB148_99:                             ;   in Loop: Header=BB148_95 Depth=3
	s_mov_b64 s[10:11], 0
                                        ; implicit-def: $vgpr4_vgpr5
	s_mov_b32 s12, s34
	s_cbranch_execz .LBB148_101
; %bb.100:                              ;   in Loop: Header=BB148_95 Depth=3
	s_waitcnt lgkmcnt(0)
	v_mov_b32_e32 v4, v3
	s_mov_b64 s[10:11], -1
	s_mov_b32 s12, 0
.LBB148_101:                            ;   in Loop: Header=BB148_95 Depth=3
	s_andn2_b64 vcc, exec, s[10:11]
	s_cbranch_vccnz .LBB148_94
; %bb.102:                              ;   in Loop: Header=BB148_95 Depth=3
	s_lshl_b32 s13, s12, 3
	s_waitcnt lgkmcnt(0)
	v_mov_b32_e32 v5, v3
	v_mov_b32_e32 v3, v2
	s_sub_i32 s10, s40, s13
	s_sub_i32 s11, s31, s12
	v_add_u32_e32 v6, s13, v10
.LBB148_103:                            ;   Parent Loop BB148_80 Depth=1
                                        ;     Parent Loop BB148_83 Depth=2
                                        ;       Parent Loop BB148_95 Depth=3
                                        ; =>      This Inner Loop Header: Depth=4
	buffer_load_dword v8, v6, s[0:3], 0 offen
	buffer_load_dword v9, v6, s[0:3], 0 offen offset:4
	v_mov_b32_e32 v7, s10
	ds_read_b64 v[14:15], v7
	s_add_i32 s10, s10, -8
	s_add_i32 s11, s11, -1
	s_cmp_eq_u32 s11, 0
	s_waitcnt lgkmcnt(0)
	v_pk_mul_f32 v[16:17], v[14:15], v[4:5]
	v_pk_fma_f32 v[18:19], v[14:15], v[2:3], v[16:17] op_sel:[0,0,1] op_sel_hi:[1,1,0] neg_lo:[0,0,1] neg_hi:[0,0,1]
	v_pk_fma_f32 v[14:15], v[14:15], v[2:3], v[16:17] op_sel:[0,0,1] op_sel_hi:[1,1,0]
	v_mov_b32_e32 v19, v15
	s_waitcnt vmcnt(0)
	v_pk_add_f32 v[8:9], v[8:9], v[18:19] neg_lo:[0,1] neg_hi:[0,1]
	buffer_store_dword v8, v6, s[0:3], 0 offen
	buffer_store_dword v9, v6, s[0:3], 0 offen offset:4
	v_add_u32_e32 v6, 8, v6
	s_cbranch_scc0 .LBB148_103
	s_branch .LBB148_94
.LBB148_104:
	s_waitcnt lgkmcnt(0)
	; wave barrier
	s_waitcnt lgkmcnt(0)
	s_and_saveexec_b64 s[4:5], s[28:29]
	s_cbranch_execz .LBB148_111
; %bb.105:
	s_cmp_lt_i32 s22, 8
	s_mov_b32 s4, 0
	s_cbranch_scc1 .LBB148_108
; %bb.106:
	v_mad_i64_i32 v[2:3], s[4:5], s21, v0, 0
	v_lshlrev_b64 v[2:3], 3, v[2:3]
	v_mov_b32_e32 v4, s54
	v_add_co_u32_e32 v1, vcc, s23, v2
	v_addc_co_u32_e32 v2, vcc, v4, v3, vcc
	v_mov_b32_e32 v3, 0x800
	s_lshl_b32 s4, s33, 3
	v_lshl_or_b32 v3, v0, 3, v3
	s_and_b32 s5, s4, 0xc0
	s_mov_b32 s4, 0
	s_mov_b64 s[6:7], 0
.LBB148_107:                            ; =>This Inner Loop Header: Depth=1
	ds_read2_b64 v[4:7], v3 offset1:16
	ds_read2_b64 v[8:11], v3 offset0:32 offset1:48
	ds_read2_b64 v[12:15], v3 offset0:64 offset1:80
	;; [unrolled: 1-line block ×3, first 2 shown]
	s_add_i32 s4, s4, 8
	v_add_co_u32_e32 v20, vcc, s6, v1
	s_add_u32 s6, s6, 64
	v_mov_b32_e32 v21, s7
	s_addc_u32 s7, s7, 0
	v_add_u32_e32 v3, 0x400, v3
	v_addc_co_u32_e32 v21, vcc, v2, v21, vcc
	s_cmp_lg_u32 s5, s6
	s_waitcnt lgkmcnt(3)
	global_store_dwordx4 v[20:21], v[4:7], off
	s_waitcnt lgkmcnt(2)
	global_store_dwordx4 v[20:21], v[8:11], off offset:16
	s_waitcnt lgkmcnt(1)
	global_store_dwordx4 v[20:21], v[12:15], off offset:32
	;; [unrolled: 2-line block ×3, first 2 shown]
	s_cbranch_scc1 .LBB148_107
.LBB148_108:
	s_and_b32 s6, s33, 7
	s_cmp_eq_u32 s6, 0
	s_mov_b32 s5, 0
	s_cbranch_scc1 .LBB148_111
; %bb.109:
	s_lshl_b64 s[8:9], s[26:27], 3
	v_lshlrev_b32_e32 v2, 3, v0
	v_mov_b32_e32 v0, s9
	v_add_co_u32_e32 v3, vcc, s8, v2
	s_lshl_b64 s[8:9], s[4:5], 3
	s_add_u32 s5, s18, s8
	s_addc_u32 s7, s19, s9
	s_add_u32 s5, s5, s24
	s_addc_u32 s7, s7, s25
	;; [unrolled: 2-line block ×3, first 2 shown]
	v_addc_co_u32_e32 v4, vcc, 0, v0, vcc
	v_pk_mov_b32 v[0:1], s[8:9], s[8:9] op_sel:[0,1]
	v_mad_u64_u32 v[0:1], s[8:9], v3, s21, v[0:1]
	v_mul_lo_u32 v3, v3, s53
	v_mul_lo_u32 v4, v4, s21
	v_lshl_or_b32 v2, s4, 7, v2
	v_add3_u32 v1, v4, v1, v3
	v_add_u32_e32 v2, 0x800, v2
.LBB148_110:                            ; =>This Inner Loop Header: Depth=1
	ds_read_b64 v[4:5], v2
	s_add_i32 s6, s6, -1
	v_add_u32_e32 v2, 0x80, v2
	s_cmp_lg_u32 s6, 0
	s_waitcnt lgkmcnt(0)
	global_store_dwordx2 v[0:1], v[4:5], off
	v_add_co_u32_e32 v0, vcc, 8, v0
	v_addc_co_u32_e32 v1, vcc, 0, v1, vcc
	s_cbranch_scc1 .LBB148_110
.LBB148_111:
	s_endpgm
	.section	.rodata,"a",@progbits
	.p2align	6, 0x0
	.amdhsa_kernel _ZL38rocblas_trsm_small_left_device_sharedBILi16ELi16ELb0E19rocblas_complex_numIfES1_PKS1_PS1_Ev13rocblas_fill_18rocblas_operation_17rocblas_diagonal_iiT3_T4_lilT5_lili
		.amdhsa_group_segment_fixed_size 4096
		.amdhsa_private_segment_fixed_size 144
		.amdhsa_kernarg_size 360
		.amdhsa_user_sgpr_count 8
		.amdhsa_user_sgpr_private_segment_buffer 1
		.amdhsa_user_sgpr_dispatch_ptr 0
		.amdhsa_user_sgpr_queue_ptr 0
		.amdhsa_user_sgpr_kernarg_segment_ptr 1
		.amdhsa_user_sgpr_dispatch_id 0
		.amdhsa_user_sgpr_flat_scratch_init 1
		.amdhsa_user_sgpr_kernarg_preload_length 0
		.amdhsa_user_sgpr_kernarg_preload_offset 0
		.amdhsa_user_sgpr_private_segment_size 0
		.amdhsa_uses_dynamic_stack 0
		.amdhsa_system_sgpr_private_segment_wavefront_offset 1
		.amdhsa_system_sgpr_workgroup_id_x 1
		.amdhsa_system_sgpr_workgroup_id_y 0
		.amdhsa_system_sgpr_workgroup_id_z 1
		.amdhsa_system_sgpr_workgroup_info 0
		.amdhsa_system_vgpr_workitem_id 0
		.amdhsa_next_free_vgpr 44
		.amdhsa_next_free_sgpr 66
		.amdhsa_accum_offset 44
		.amdhsa_reserve_vcc 1
		.amdhsa_reserve_flat_scratch 0
		.amdhsa_float_round_mode_32 0
		.amdhsa_float_round_mode_16_64 0
		.amdhsa_float_denorm_mode_32 3
		.amdhsa_float_denorm_mode_16_64 3
		.amdhsa_dx10_clamp 1
		.amdhsa_ieee_mode 1
		.amdhsa_fp16_overflow 0
		.amdhsa_tg_split 0
		.amdhsa_exception_fp_ieee_invalid_op 0
		.amdhsa_exception_fp_denorm_src 0
		.amdhsa_exception_fp_ieee_div_zero 0
		.amdhsa_exception_fp_ieee_overflow 0
		.amdhsa_exception_fp_ieee_underflow 0
		.amdhsa_exception_fp_ieee_inexact 0
		.amdhsa_exception_int_div_zero 0
	.end_amdhsa_kernel
	.section	.text._ZL38rocblas_trsm_small_left_device_sharedBILi16ELi16ELb0E19rocblas_complex_numIfES1_PKS1_PS1_Ev13rocblas_fill_18rocblas_operation_17rocblas_diagonal_iiT3_T4_lilT5_lili,"axG",@progbits,_ZL38rocblas_trsm_small_left_device_sharedBILi16ELi16ELb0E19rocblas_complex_numIfES1_PKS1_PS1_Ev13rocblas_fill_18rocblas_operation_17rocblas_diagonal_iiT3_T4_lilT5_lili,comdat
.Lfunc_end148:
	.size	_ZL38rocblas_trsm_small_left_device_sharedBILi16ELi16ELb0E19rocblas_complex_numIfES1_PKS1_PS1_Ev13rocblas_fill_18rocblas_operation_17rocblas_diagonal_iiT3_T4_lilT5_lili, .Lfunc_end148-_ZL38rocblas_trsm_small_left_device_sharedBILi16ELi16ELb0E19rocblas_complex_numIfES1_PKS1_PS1_Ev13rocblas_fill_18rocblas_operation_17rocblas_diagonal_iiT3_T4_lilT5_lili
                                        ; -- End function
	.section	.AMDGPU.csdata,"",@progbits
; Kernel info:
; codeLenInByte = 5280
; NumSgprs: 70
; NumVgprs: 44
; NumAgprs: 0
; TotalNumVgprs: 44
; ScratchSize: 144
; MemoryBound: 0
; FloatMode: 240
; IeeeMode: 1
; LDSByteSize: 4096 bytes/workgroup (compile time only)
; SGPRBlocks: 8
; VGPRBlocks: 5
; NumSGPRsForWavesPerEU: 70
; NumVGPRsForWavesPerEU: 44
; AccumOffset: 44
; Occupancy: 4
; WaveLimiterHint : 0
; COMPUTE_PGM_RSRC2:SCRATCH_EN: 1
; COMPUTE_PGM_RSRC2:USER_SGPR: 8
; COMPUTE_PGM_RSRC2:TRAP_HANDLER: 0
; COMPUTE_PGM_RSRC2:TGID_X_EN: 1
; COMPUTE_PGM_RSRC2:TGID_Y_EN: 0
; COMPUTE_PGM_RSRC2:TGID_Z_EN: 1
; COMPUTE_PGM_RSRC2:TIDIG_COMP_CNT: 0
; COMPUTE_PGM_RSRC3_GFX90A:ACCUM_OFFSET: 10
; COMPUTE_PGM_RSRC3_GFX90A:TG_SPLIT: 0
	.section	.text._ZL30rocblas_trsm_small_left_deviceILi16ELi16ELb0E19rocblas_complex_numIfES1_PKS1_PS1_Ev13rocblas_fill_18rocblas_operation_17rocblas_diagonal_iiT3_T4_lilT5_lili,"axG",@progbits,_ZL30rocblas_trsm_small_left_deviceILi16ELi16ELb0E19rocblas_complex_numIfES1_PKS1_PS1_Ev13rocblas_fill_18rocblas_operation_17rocblas_diagonal_iiT3_T4_lilT5_lili,comdat
	.globl	_ZL30rocblas_trsm_small_left_deviceILi16ELi16ELb0E19rocblas_complex_numIfES1_PKS1_PS1_Ev13rocblas_fill_18rocblas_operation_17rocblas_diagonal_iiT3_T4_lilT5_lili ; -- Begin function _ZL30rocblas_trsm_small_left_deviceILi16ELi16ELb0E19rocblas_complex_numIfES1_PKS1_PS1_Ev13rocblas_fill_18rocblas_operation_17rocblas_diagonal_iiT3_T4_lilT5_lili
	.p2align	8
	.type	_ZL30rocblas_trsm_small_left_deviceILi16ELi16ELb0E19rocblas_complex_numIfES1_PKS1_PS1_Ev13rocblas_fill_18rocblas_operation_17rocblas_diagonal_iiT3_T4_lilT5_lili,@function
_ZL30rocblas_trsm_small_left_deviceILi16ELi16ELb0E19rocblas_complex_numIfES1_PKS1_PS1_Ev13rocblas_fill_18rocblas_operation_17rocblas_diagonal_iiT3_T4_lilT5_lili: ; @_ZL30rocblas_trsm_small_left_deviceILi16ELi16ELb0E19rocblas_complex_numIfES1_PKS1_PS1_Ev13rocblas_fill_18rocblas_operation_17rocblas_diagonal_iiT3_T4_lilT5_lili
; %bb.0:
	s_add_u32 s0, s0, s10
	s_load_dwordx4 s[16:19], s[4:5], 0x4
	s_load_dwordx2 s[24:25], s[4:5], 0x14
	s_load_dwordx4 s[12:15], s[4:5], 0x38
	s_load_dwordx2 s[26:27], s[4:5], 0x48
	s_load_dword s43, s[4:5], 0x68
	s_addc_u32 s1, s1, 0
	s_waitcnt lgkmcnt(0)
	s_min_i32 s42, s18, 16
	s_mov_b32 s44, 0
	s_add_i32 s33, s42, -1
	v_cmp_gt_i32_e32 vcc, s42, v0
	s_and_saveexec_b64 s[28:29], vcc
	s_cbranch_execz .LBB149_35
; %bb.1:
	s_load_dword s30, s[4:5], 0x30
	s_load_dwordx4 s[20:23], s[4:5], 0x20
	s_mul_i32 s6, s9, s13
	s_mul_hi_u32 s7, s9, s12
	s_mul_i32 s12, s9, s12
	s_waitcnt lgkmcnt(0)
	s_ashr_i32 s31, s30, 31
	s_cmpk_lg_i32 s16, 0x71
	s_cselect_b64 s[34:35], -1, 0
	s_add_i32 s13, s7, s6
	v_cndmask_b32_e64 v2, 0, 1, s[34:35]
	s_cmp_lt_u32 s33, 3
	v_lshlrev_b32_e32 v1, 3, v0
	v_cmp_ne_u32_e64 s[6:7], 1, v2
	s_cbranch_scc1 .LBB149_20
; %bb.2:
	s_lshl_b64 s[10:11], s[12:13], 3
	s_add_u32 s18, s20, s10
	s_addc_u32 s36, s21, s11
	s_lshl_b64 s[10:11], s[22:23], 3
	s_add_u32 s10, s18, s10
	s_addc_u32 s11, s36, s11
	v_mov_b32_e32 v3, s11
	v_add_co_u32_e32 v2, vcc, s10, v1
	s_mul_hi_i32 s10, s30, 24
	s_lshl_b64 s[36:37], s[30:31], 5
	s_lshl_b64 s[38:39], s[30:31], 4
	;; [unrolled: 1-line block ×3, first 2 shown]
	v_addc_co_u32_e32 v3, vcc, 0, v3, vcc
	s_and_b32 s44, s42, -4
	s_mul_i32 s18, s30, 24
	s_mov_b32 s45, 0
	v_mov_b32_e32 v8, s41
	v_mov_b32_e32 v9, s39
	;; [unrolled: 1-line block ×5, first 2 shown]
	s_branch .LBB149_4
.LBB149_3:                              ;   in Loop: Header=BB149_4 Depth=1
	global_load_dword v4, v[6:7], off
	s_add_i32 s45, s45, 4
	v_add_co_u32_e32 v2, vcc, s36, v2
	v_addc_co_u32_e32 v3, vcc, v3, v11, vcc
	s_cmp_eq_u32 s44, s45
	s_waitcnt vmcnt(0)
	ds_write_b64 v12, v[4:5] offset:384
	v_add_u32_e32 v12, 0x200, v12
	s_cbranch_scc1 .LBB149_20
.LBB149_4:                              ; =>This Inner Loop Header: Depth=1
	s_and_b64 vcc, exec, s[34:35]
	s_cbranch_vccz .LBB149_6
; %bb.5:                                ;   in Loop: Header=BB149_4 Depth=1
	global_load_dword v5, v[2:3], off offset:4
	s_cbranch_execz .LBB149_7
	s_branch .LBB149_8
.LBB149_6:                              ;   in Loop: Header=BB149_4 Depth=1
                                        ; implicit-def: $vgpr5
.LBB149_7:                              ;   in Loop: Header=BB149_4 Depth=1
	global_load_dword v4, v[2:3], off offset:4
	s_waitcnt vmcnt(0)
	v_xor_b32_e32 v5, 0x80000000, v4
.LBB149_8:                              ;   in Loop: Header=BB149_4 Depth=1
	global_load_dword v4, v[2:3], off
	v_add_co_u32_e64 v6, s[10:11], s40, v2
	s_and_b64 vcc, exec, s[6:7]
	v_addc_co_u32_e64 v7, s[10:11], v3, v8, s[10:11]
	s_waitcnt vmcnt(0)
	ds_write_b64 v12, v[4:5]
	s_cbranch_vccnz .LBB149_10
; %bb.9:                                ;   in Loop: Header=BB149_4 Depth=1
	global_load_dword v5, v[6:7], off offset:4
	s_cbranch_execz .LBB149_11
	s_branch .LBB149_12
.LBB149_10:                             ;   in Loop: Header=BB149_4 Depth=1
                                        ; implicit-def: $vgpr5
.LBB149_11:                             ;   in Loop: Header=BB149_4 Depth=1
	global_load_dword v4, v[6:7], off offset:4
	s_waitcnt vmcnt(0)
	v_xor_b32_e32 v5, 0x80000000, v4
.LBB149_12:                             ;   in Loop: Header=BB149_4 Depth=1
	global_load_dword v4, v[6:7], off
	v_add_co_u32_e64 v6, s[10:11], s38, v2
	s_and_b64 vcc, exec, s[6:7]
	v_addc_co_u32_e64 v7, s[10:11], v3, v9, s[10:11]
	s_waitcnt vmcnt(0)
	ds_write_b64 v12, v[4:5] offset:128
	s_cbranch_vccnz .LBB149_14
; %bb.13:                               ;   in Loop: Header=BB149_4 Depth=1
	global_load_dword v5, v[6:7], off offset:4
	s_cbranch_execz .LBB149_15
	s_branch .LBB149_16
.LBB149_14:                             ;   in Loop: Header=BB149_4 Depth=1
                                        ; implicit-def: $vgpr5
.LBB149_15:                             ;   in Loop: Header=BB149_4 Depth=1
	global_load_dword v4, v[6:7], off offset:4
	s_waitcnt vmcnt(0)
	v_xor_b32_e32 v5, 0x80000000, v4
.LBB149_16:                             ;   in Loop: Header=BB149_4 Depth=1
	global_load_dword v4, v[6:7], off
	v_add_co_u32_e64 v6, s[10:11], s18, v2
	s_and_b64 vcc, exec, s[6:7]
	v_addc_co_u32_e64 v7, s[10:11], v3, v10, s[10:11]
	s_waitcnt vmcnt(0)
	ds_write_b64 v12, v[4:5] offset:256
	s_cbranch_vccnz .LBB149_18
; %bb.17:                               ;   in Loop: Header=BB149_4 Depth=1
	global_load_dword v5, v[6:7], off offset:4
	s_cbranch_execnz .LBB149_3
	s_branch .LBB149_19
.LBB149_18:                             ;   in Loop: Header=BB149_4 Depth=1
                                        ; implicit-def: $vgpr5
.LBB149_19:                             ;   in Loop: Header=BB149_4 Depth=1
	global_load_dword v4, v[6:7], off offset:4
	s_waitcnt vmcnt(0)
	v_xor_b32_e32 v5, 0x80000000, v4
	s_branch .LBB149_3
.LBB149_20:
	s_and_b32 s18, s42, 3
	s_cmp_eq_u32 s18, 0
	s_cbranch_scc1 .LBB149_27
; %bb.21:
	s_lshl_b64 s[10:11], s[12:13], 3
	s_mul_i32 s12, s31, s44
	s_mul_hi_u32 s13, s30, s44
	s_add_i32 s13, s13, s12
	s_mul_i32 s12, s30, s44
	s_lshl_b64 s[12:13], s[12:13], 3
	s_add_u32 s12, s10, s12
	s_addc_u32 s13, s11, s13
	s_lshl_b64 s[10:11], s[22:23], 3
	s_add_u32 s10, s12, s10
	s_addc_u32 s11, s13, s11
	s_add_u32 s10, s20, s10
	s_addc_u32 s11, s21, s11
	v_lshl_or_b32 v6, s44, 7, v1
	v_mov_b32_e32 v2, s11
	v_add_co_u32_e32 v1, vcc, s10, v1
	v_addc_co_u32_e32 v3, vcc, 0, v2, vcc
	v_add_co_u32_e32 v2, vcc, 4, v1
	s_lshl_b64 s[10:11], s[30:31], 3
	v_addc_co_u32_e32 v3, vcc, 0, v3, vcc
	v_mov_b32_e32 v1, s11
	s_branch .LBB149_23
.LBB149_22:                             ;   in Loop: Header=BB149_23 Depth=1
	global_load_dword v4, v[2:3], off offset:-4
	s_add_i32 s18, s18, -1
	v_add_co_u32_e32 v2, vcc, s10, v2
	s_cmp_lg_u32 s18, 0
	v_addc_co_u32_e32 v3, vcc, v3, v1, vcc
	s_waitcnt vmcnt(0)
	ds_write_b64 v6, v[4:5]
	v_add_u32_e32 v6, 0x80, v6
	s_cbranch_scc0 .LBB149_27
.LBB149_23:                             ; =>This Inner Loop Header: Depth=1
	s_and_b64 vcc, exec, s[6:7]
	s_cbranch_vccnz .LBB149_25
; %bb.24:                               ;   in Loop: Header=BB149_23 Depth=1
	global_load_dword v5, v[2:3], off
	s_cbranch_execnz .LBB149_22
	s_branch .LBB149_26
.LBB149_25:                             ;   in Loop: Header=BB149_23 Depth=1
                                        ; implicit-def: $vgpr5
.LBB149_26:                             ;   in Loop: Header=BB149_23 Depth=1
	global_load_dword v4, v[2:3], off
	s_waitcnt vmcnt(0)
	v_xor_b32_e32 v5, 0x80000000, v4
	s_branch .LBB149_22
.LBB149_27:
	v_mul_u32_u24_e32 v1, 17, v0
	s_cmpk_lg_i32 s17, 0x84
	v_lshlrev_b32_e32 v1, 3, v1
	s_mov_b64 s[6:7], -1
	s_cbranch_scc0 .LBB149_33
; %bb.28:
	ds_read_b64 v[2:3], v1
	s_mov_b32 s6, 0
	s_waitcnt lgkmcnt(0)
	v_cmp_gt_f32_e32 vcc, 0, v3
	v_cndmask_b32_e64 v4, v3, -v3, vcc
	v_cmp_gt_f32_e32 vcc, 0, v2
	v_cndmask_b32_e64 v5, v2, -v2, vcc
	v_cmp_ngt_f32_e32 vcc, v5, v4
                                        ; implicit-def: $vgpr4_vgpr5
	s_and_saveexec_b64 s[10:11], vcc
	s_xor_b64 s[10:11], exec, s[10:11]
	s_cbranch_execz .LBB149_30
; %bb.29:
	v_div_scale_f32 v4, s[12:13], v3, v3, v2
	v_rcp_f32_e32 v5, v4
	v_div_scale_f32 v6, vcc, v2, v3, v2
	s_mov_b32 s7, -1.0
	v_fma_f32 v7, -v4, v5, 1.0
	v_fmac_f32_e32 v5, v7, v5
	v_mul_f32_e32 v7, v6, v5
	v_fma_f32 v8, -v4, v7, v6
	v_fmac_f32_e32 v7, v8, v5
	v_fma_f32 v4, -v4, v7, v6
	v_div_fmas_f32 v4, v4, v5, v7
	v_div_fixup_f32 v4, v4, v3, v2
	v_fmac_f32_e32 v3, v2, v4
	v_div_scale_f32 v2, s[12:13], v3, v3, 1.0
	v_rcp_f32_e32 v5, v2
	v_fma_f32 v6, -v2, v5, 1.0
	v_fmac_f32_e32 v5, v6, v5
	v_div_scale_f32 v6, vcc, 1.0, v3, 1.0
	v_mul_f32_e32 v7, v6, v5
	v_fma_f32 v8, -v2, v7, v6
	v_fmac_f32_e32 v7, v8, v5
	v_fma_f32 v2, -v2, v7, v6
	v_div_fmas_f32 v2, v2, v5, v7
	v_mul_f32_e32 v5, 0, v4
	v_div_fixup_f32 v2, v2, v3, 1.0
	v_pk_add_f32 v[4:5], v[4:5], s[6:7]
	v_pk_mul_f32 v[4:5], v[4:5], v[2:3] op_sel_hi:[1,0]
                                        ; implicit-def: $vgpr2_vgpr3
.LBB149_30:
	s_andn2_saveexec_b64 s[6:7], s[10:11]
	s_cbranch_execz .LBB149_32
; %bb.31:
	v_div_scale_f32 v4, s[10:11], v2, v2, v3
	v_rcp_f32_e32 v5, v4
	v_div_scale_f32 v6, vcc, v3, v2, v3
	v_fma_f32 v7, -v4, v5, 1.0
	v_fmac_f32_e32 v5, v7, v5
	v_mul_f32_e32 v7, v6, v5
	v_fma_f32 v8, -v4, v7, v6
	v_fmac_f32_e32 v7, v8, v5
	v_fma_f32 v4, -v4, v7, v6
	v_div_fmas_f32 v4, v4, v5, v7
	v_div_fixup_f32 v5, v4, v2, v3
	v_fmac_f32_e32 v2, v3, v5
	v_div_scale_f32 v3, s[10:11], v2, v2, 1.0
	v_rcp_f32_e32 v4, v3
	s_mov_b32 s10, 1.0
	s_mov_b32 s11, 0
	v_fma_f32 v6, -v3, v4, 1.0
	v_fmac_f32_e32 v4, v6, v4
	v_div_scale_f32 v6, vcc, 1.0, v2, 1.0
	v_mul_f32_e32 v7, v6, v4
	v_fma_f32 v8, -v3, v7, v6
	v_fmac_f32_e32 v7, v8, v4
	v_fma_f32 v3, -v3, v7, v6
	v_div_fmas_f32 v3, v3, v4, v7
	v_mul_f32_e32 v4, 0, v5
	v_pk_add_f32 v[6:7], v[4:5], s[10:11]
	v_pk_add_f32 v[4:5], v[4:5], s[10:11] neg_lo:[1,0] neg_hi:[1,0]
	v_div_fixup_f32 v2, v3, v2, 1.0
	v_mov_b32_e32 v7, v5
	v_pk_mul_f32 v[4:5], v[6:7], v[2:3] op_sel_hi:[1,0]
.LBB149_32:
	s_or_b64 exec, exec, s[6:7]
	s_mov_b64 s[6:7], 0
	ds_write_b64 v1, v[4:5]
.LBB149_33:
	s_and_b64 vcc, exec, s[6:7]
	s_cbranch_vccz .LBB149_35
; %bb.34:
	v_mov_b32_e32 v2, 1.0
	v_mov_b32_e32 v3, 0
	ds_write_b64 v1, v[2:3]
.LBB149_35:
	s_or_b64 exec, exec, s[28:29]
	s_lshl_b32 s10, s8, 4
	s_add_i32 s43, s43, -1
	s_sub_i32 s6, s19, s10
	s_cmp_ge_u32 s8, s43
	s_cselect_b32 s6, s6, 16
	v_cmp_gt_i32_e32 vcc, s6, v0
	s_waitcnt lgkmcnt(0)
	; wave barrier
	s_waitcnt lgkmcnt(0)
	s_and_saveexec_b64 s[6:7], vcc
	s_cbranch_execz .LBB149_102
; %bb.36:
	s_load_dwordx2 s[6:7], s[4:5], 0x58
	s_load_dword s11, s[4:5], 0x50
	v_add_u32_e32 v0, s10, v0
	s_waitcnt lgkmcnt(0)
	s_mul_i32 s5, s9, s7
	s_mul_hi_u32 s7, s9, s6
	s_mul_i32 s4, s9, s6
	s_add_i32 s5, s7, s5
	s_lshl_b64 s[6:7], s[4:5], 3
	s_add_u32 s4, s14, s6
	s_addc_u32 s5, s15, s7
	s_lshl_b64 s[8:9], s[26:27], 3
	s_add_u32 s12, s4, s8
	s_addc_u32 s13, s5, s9
	v_mad_i64_i32 v[0:1], s[4:5], s11, v0, 0
	v_lshlrev_b64 v[0:1], 3, v[0:1]
	v_mov_b32_e32 v2, s13
	v_add_co_u32_e32 v10, vcc, s12, v0
	v_addc_co_u32_e32 v11, vcc, v2, v1, vcc
	s_cmpk_eq_i32 s16, 0x6f
	s_mov_b64 s[4:5], -1
	s_cbranch_scc1 .LBB149_70
; %bb.37:
	s_add_u32 s4, s14, s8
	s_addc_u32 s5, s15, s9
	s_add_u32 s4, s4, s6
	s_addc_u32 s5, s5, s7
	v_mov_b32_e32 v2, s5
	v_add_co_u32_e32 v3, vcc, s4, v0
	v_addc_co_u32_e32 v2, vcc, v2, v1, vcc
	v_add_co_u32_e32 v12, vcc, 4, v3
	s_mov_b32 s17, 0
	s_mov_b32 s10, s24
	;; [unrolled: 1-line block ×5, first 2 shown]
	v_addc_co_u32_e32 v13, vcc, 0, v2, vcc
	v_mov_b32_e32 v14, 0
	s_mov_b32 s16, s17
	s_mov_b32 s28, s17
	s_branch .LBB149_39
.LBB149_38:                             ;   in Loop: Header=BB149_39 Depth=1
	s_cmp_ge_i32 s28, s42
	s_cselect_b64 s[4:5], -1, 0
	s_add_i32 s16, s16, 1
	s_cmp_eq_u32 s16, 3
	s_cselect_b64 s[18:19], -1, 0
	s_or_b64 s[4:5], s[4:5], s[18:19]
	s_andn2_b64 vcc, exec, s[4:5]
	s_cbranch_vccz .LBB149_69
.LBB149_39:                             ; =>This Loop Header: Depth=1
                                        ;     Child Loop BB149_42 Depth 2
                                        ;       Child Loop BB149_44 Depth 3
                                        ;       Child Loop BB149_48 Depth 3
	;; [unrolled: 1-line block ×3, first 2 shown]
                                        ;         Child Loop BB149_54 Depth 4
                                        ;         Child Loop BB149_60 Depth 4
                                        ;       Child Loop BB149_63 Depth 3
                                        ;         Child Loop BB149_65 Depth 4
	s_lshl_b64 s[4:5], s[16:17], 2
	s_getpc_b64 s[18:19]
	s_add_u32 s18, s18, __const._ZL30rocblas_trsm_small_left_deviceILi16ELi16ELb0E19rocblas_complex_numIfES1_PKS1_PS1_Ev13rocblas_fill_18rocblas_operation_17rocblas_diagonal_iiT3_T4_lilT5_lili.step_sizes@rel32@lo+4
	s_addc_u32 s19, s19, __const._ZL30rocblas_trsm_small_left_deviceILi16ELi16ELb0E19rocblas_complex_numIfES1_PKS1_PS1_Ev13rocblas_fill_18rocblas_operation_17rocblas_diagonal_iiT3_T4_lilT5_lili.step_sizes@rel32@hi+12
	s_add_u32 s4, s4, s18
	s_addc_u32 s5, s5, s19
	s_load_dword s29, s[4:5], 0x0
	s_waitcnt lgkmcnt(0)
	s_add_i32 s30, s29, -1
	s_add_i32 s4, s30, s28
	s_cmp_ge_i32 s4, s42
	s_cbranch_scc1 .LBB149_38
; %bb.40:                               ;   in Loop: Header=BB149_39 Depth=1
	s_max_i32 s31, s29, 1
	s_cmp_lg_u32 s16, 2
	s_cselect_b64 s[18:19], -1, 0
	s_and_b32 s34, s31, 0x7ffffffe
	s_cmp_lg_u32 s31, s34
	s_cselect_b64 s[20:21], -1, 0
	s_ashr_i32 s35, s28, 31
	s_ashr_i32 s36, s29, 31
	s_mul_i32 s37, s28, 0x88
	s_mul_i32 s38, s29, 0x88
	s_branch .LBB149_42
.LBB149_41:                             ;   in Loop: Header=BB149_42 Depth=2
	s_add_u32 s28, s28, s29
	s_addc_u32 s35, s35, s36
	s_add_i32 s4, s30, s28
	s_add_i32 s37, s37, s38
	s_cmp_ge_i32 s4, s42
	s_cbranch_scc1 .LBB149_38
.LBB149_42:                             ;   Parent Loop BB149_39 Depth=1
                                        ; =>  This Loop Header: Depth=2
                                        ;       Child Loop BB149_44 Depth 3
                                        ;       Child Loop BB149_48 Depth 3
	;; [unrolled: 1-line block ×3, first 2 shown]
                                        ;         Child Loop BB149_54 Depth 4
                                        ;         Child Loop BB149_60 Depth 4
                                        ;       Child Loop BB149_63 Depth 3
                                        ;         Child Loop BB149_65 Depth 4
	s_and_b64 vcc, exec, s[18:19]
	s_cbranch_vccz .LBB149_46
; %bb.43:                               ;   in Loop: Header=BB149_42 Depth=2
	v_mov_b32_e32 v2, 0
	s_mov_b32 s22, s28
	s_mov_b32 s23, s28
	;; [unrolled: 1-line block ×5, first 2 shown]
.LBB149_44:                             ;   Parent Loop BB149_39 Depth=1
                                        ;     Parent Loop BB149_42 Depth=2
                                        ; =>    This Inner Loop Header: Depth=3
	s_add_i32 s4, s27, s22
	s_add_i32 s40, s26, s23
	s_ashr_i32 s5, s4, 31
	s_ashr_i32 s41, s40, 31
	s_lshl_b64 s[4:5], s[4:5], 3
	s_lshl_b64 s[40:41], s[40:41], 3
	v_mov_b32_e32 v3, s5
	v_add_co_u32_e64 v6, s[4:5], s4, v10
	v_mov_b32_e32 v5, s41
	v_add_co_u32_e32 v4, vcc, s40, v10
	v_addc_co_u32_e64 v7, s[4:5], v11, v3, s[4:5]
	v_addc_co_u32_e32 v5, vcc, v11, v5, vcc
	global_load_dwordx2 v[8:9], v[6:7], off
	global_load_dwordx2 v[16:17], v[4:5], off
	s_add_i32 s27, s27, 2
	s_add_i32 s26, s26, 2
	s_add_i32 s39, s39, -2
	s_mov_b32 s40, s34
	s_mov_b64 s[4:5], s[20:21]
	s_cmp_lg_u32 s39, 0
	s_waitcnt vmcnt(1)
	v_mov_b32_e32 v4, v8
	s_waitcnt vmcnt(0)
	v_mov_b32_e32 v5, v16
	v_mov_b32_e32 v16, v9
	v_pk_mul_f32 v[6:7], v[16:17], s[12:13]
	v_pk_mul_f32 v[8:9], v[16:17], s[10:11]
	v_pk_fma_f32 v[6:7], v[4:5], s[10:11], v[6:7] neg_lo:[0,0,1] neg_hi:[0,0,1]
	v_pk_fma_f32 v[4:5], v[4:5], s[12:13], v[8:9]
	buffer_store_dword v4, v2, s[0:3], 0 offen offset:4
	buffer_store_dword v6, v2, s[0:3], 0 offen
	buffer_store_dword v5, v2, s[0:3], 0 offen offset:12
	buffer_store_dword v7, v2, s[0:3], 0 offen offset:8
	v_add_u32_e32 v2, 16, v2
	s_cbranch_scc1 .LBB149_44
; %bb.45:                               ;   in Loop: Header=BB149_42 Depth=2
	s_and_b64 vcc, exec, s[4:5]
	s_cbranch_vccnz .LBB149_47
	s_branch .LBB149_49
.LBB149_46:                             ;   in Loop: Header=BB149_42 Depth=2
	s_mov_b32 s40, 0
	s_cbranch_execz .LBB149_49
.LBB149_47:                             ;   in Loop: Header=BB149_42 Depth=2
	s_sub_i32 s4, s31, s40
	s_add_u32 s22, s28, s40
	s_addc_u32 s23, s35, 0
	s_lshl_b64 s[22:23], s[22:23], 3
	v_mov_b32_e32 v3, s23
	v_add_co_u32_e32 v2, vcc, s22, v12
	s_lshl_b32 s5, s40, 3
	v_addc_co_u32_e32 v3, vcc, v13, v3, vcc
	v_add_u32_e32 v4, s5, v14
.LBB149_48:                             ;   Parent Loop BB149_39 Depth=1
                                        ;     Parent Loop BB149_42 Depth=2
                                        ; =>    This Inner Loop Header: Depth=3
	global_load_dwordx2 v[6:7], v[2:3], off offset:-4
	s_add_i32 s4, s4, -1
	v_add_co_u32_e32 v2, vcc, 8, v2
	v_addc_co_u32_e32 v3, vcc, 0, v3, vcc
	s_cmp_eq_u32 s4, 0
	s_waitcnt vmcnt(0)
	v_mul_f32_e32 v5, s25, v7
	v_mul_f32_e32 v7, s24, v7
	v_fma_f32 v5, v6, s24, -v5
	v_fmac_f32_e32 v7, s25, v6
	buffer_store_dword v5, v4, s[0:3], 0 offen
	buffer_store_dword v7, v4, s[0:3], 0 offen offset:4
	v_add_u32_e32 v4, 8, v4
	s_cbranch_scc0 .LBB149_48
.LBB149_49:                             ;   in Loop: Header=BB149_42 Depth=2
	s_cmp_lt_i32 s28, 1
	s_cbranch_scc1 .LBB149_61
; %bb.50:                               ;   in Loop: Header=BB149_42 Depth=2
	s_mov_b32 s39, s28
	s_mov_b32 s40, s28
	;; [unrolled: 1-line block ×4, first 2 shown]
	s_branch .LBB149_52
.LBB149_51:                             ;   in Loop: Header=BB149_52 Depth=3
	s_add_i32 s4, s4, 1
	s_add_i32 s41, s41, 8
	s_cmp_ge_i32 s4, s28
	s_cbranch_scc1 .LBB149_61
.LBB149_52:                             ;   Parent Loop BB149_39 Depth=1
                                        ;     Parent Loop BB149_42 Depth=2
                                        ; =>    This Loop Header: Depth=3
                                        ;         Child Loop BB149_54 Depth 4
                                        ;         Child Loop BB149_60 Depth 4
	s_mov_b32 s5, s17
	s_lshl_b64 s[22:23], s[4:5], 3
	s_waitcnt vmcnt(0)
	v_mov_b32_e32 v3, s23
	v_add_co_u32_e32 v2, vcc, s22, v10
	v_addc_co_u32_e32 v3, vcc, v11, v3, vcc
	global_load_dwordx2 v[2:3], v[2:3], off
	s_and_b64 vcc, exec, s[18:19]
	s_cbranch_vccz .LBB149_56
; %bb.53:                               ;   in Loop: Header=BB149_52 Depth=3
	s_mov_b32 s5, s4
	s_waitcnt vmcnt(0)
	v_mov_b32_e32 v6, v2
	v_mov_b32_e32 v7, v2
	;; [unrolled: 1-line block ×6, first 2 shown]
	s_mov_b32 s22, 1
	s_mov_b32 s23, 0
	;; [unrolled: 1-line block ×3, first 2 shown]
.LBB149_54:                             ;   Parent Loop BB149_39 Depth=1
                                        ;     Parent Loop BB149_42 Depth=2
                                        ;       Parent Loop BB149_52 Depth=3
                                        ; =>      This Inner Loop Header: Depth=4
	buffer_load_dword v16, v5, s[0:3], 0 offen
	buffer_load_dword v18, v5, s[0:3], 0 offen offset:4
	buffer_load_dword v17, v5, s[0:3], 0 offen offset:8
	;; [unrolled: 1-line block ×3, first 2 shown]
	s_add_i32 s27, s22, s40
	s_add_i32 s43, s23, s39
	s_lshl_b32 s43, s43, 4
	s_lshl_b32 s27, s27, 4
	s_add_i32 s27, s27, s5
	s_add_i32 s43, s43, s4
	s_lshl_b32 s43, s43, 3
	s_lshl_b32 s27, s27, 3
	v_mov_b32_e32 v15, s43
	v_mov_b32_e32 v22, s27
	ds_read_b64 v[20:21], v15
	ds_read_b64 v[22:23], v22
	s_add_i32 s23, s23, 2
	s_add_i32 s22, s22, 2
	s_add_i32 s26, s26, -2
	s_waitcnt lgkmcnt(1)
	v_mov_b32_e32 v24, v20
	s_waitcnt lgkmcnt(0)
	v_mov_b32_e32 v25, v22
	v_mov_b32_e32 v22, v21
	v_pk_mul_f32 v[20:21], v[22:23], v[8:9]
	v_pk_mul_f32 v[22:23], v[22:23], v[6:7]
	v_pk_fma_f32 v[20:21], v[24:25], v[6:7], v[20:21] neg_lo:[0,0,1] neg_hi:[0,0,1]
	v_pk_fma_f32 v[22:23], v[24:25], v[8:9], v[22:23]
	s_cmp_lg_u32 s26, 0
	s_waitcnt vmcnt(1)
	v_pk_add_f32 v[16:17], v[16:17], v[20:21] neg_lo:[0,1] neg_hi:[0,1]
	s_waitcnt vmcnt(0)
	v_pk_add_f32 v[18:19], v[18:19], v[22:23] neg_lo:[0,1] neg_hi:[0,1]
	buffer_store_dword v16, v5, s[0:3], 0 offen
	buffer_store_dword v18, v5, s[0:3], 0 offen offset:4
	buffer_store_dword v17, v5, s[0:3], 0 offen offset:8
	;; [unrolled: 1-line block ×3, first 2 shown]
	v_add_u32_e32 v5, 16, v5
	s_cbranch_scc1 .LBB149_54
; %bb.55:                               ;   in Loop: Header=BB149_52 Depth=3
	s_mov_b64 s[22:23], s[20:21]
	s_mov_b32 s26, s34
	s_branch .LBB149_58
.LBB149_56:                             ;   in Loop: Header=BB149_52 Depth=3
	s_mov_b64 s[22:23], 0
                                        ; implicit-def: $vgpr4_vgpr5
	s_mov_b32 s26, s34
	s_cbranch_execz .LBB149_58
; %bb.57:                               ;   in Loop: Header=BB149_52 Depth=3
	s_waitcnt vmcnt(0)
	v_mov_b32_e32 v4, v3
	s_mov_b64 s[22:23], -1
	s_mov_b32 s26, 0
.LBB149_58:                             ;   in Loop: Header=BB149_52 Depth=3
	s_andn2_b64 vcc, exec, s[22:23]
	s_cbranch_vccnz .LBB149_51
; %bb.59:                               ;   in Loop: Header=BB149_52 Depth=3
	s_add_i32 s22, s28, s26
	s_lshl_b32 s22, s22, 7
	s_lshl_b32 s23, s26, 3
	s_waitcnt vmcnt(0)
	v_mov_b32_e32 v5, v3
	v_mov_b32_e32 v3, v2
	s_sub_i32 s5, s31, s26
	s_add_i32 s22, s41, s22
	v_add_u32_e32 v6, s23, v14
.LBB149_60:                             ;   Parent Loop BB149_39 Depth=1
                                        ;     Parent Loop BB149_42 Depth=2
                                        ;       Parent Loop BB149_52 Depth=3
                                        ; =>      This Inner Loop Header: Depth=4
	buffer_load_dword v8, v6, s[0:3], 0 offen
	buffer_load_dword v9, v6, s[0:3], 0 offen offset:4
	v_mov_b32_e32 v7, s22
	ds_read_b64 v[16:17], v7
	s_add_i32 s5, s5, -1
	s_addk_i32 s22, 0x80
	s_cmp_eq_u32 s5, 0
	s_waitcnt lgkmcnt(0)
	v_pk_mul_f32 v[18:19], v[16:17], v[4:5]
	v_pk_fma_f32 v[20:21], v[16:17], v[2:3], v[18:19] op_sel:[0,0,1] op_sel_hi:[1,1,0] neg_lo:[0,0,1] neg_hi:[0,0,1]
	v_pk_fma_f32 v[16:17], v[16:17], v[2:3], v[18:19] op_sel:[0,0,1] op_sel_hi:[1,1,0]
	v_mov_b32_e32 v21, v17
	s_waitcnt vmcnt(0)
	v_pk_add_f32 v[8:9], v[8:9], v[20:21] neg_lo:[0,1] neg_hi:[0,1]
	buffer_store_dword v8, v6, s[0:3], 0 offen
	buffer_store_dword v9, v6, s[0:3], 0 offen offset:4
	v_add_u32_e32 v6, 8, v6
	s_cbranch_scc0 .LBB149_60
	s_branch .LBB149_51
.LBB149_61:                             ;   in Loop: Header=BB149_42 Depth=2
	s_mov_b32 s26, 0
	s_mov_b32 s27, s37
	s_branch .LBB149_63
.LBB149_62:                             ;   in Loop: Header=BB149_63 Depth=3
	s_mul_i32 s5, s4, 0x88
	v_mov_b32_e32 v4, s5
	ds_read_b64 v[4:5], v4
	s_lshl_b32 s5, s26, 3
	v_add_u32_e32 v8, s5, v14
	s_ashr_i32 s5, s4, 31
	s_lshl_b64 s[4:5], s[4:5], 3
	s_waitcnt vmcnt(0) lgkmcnt(0)
	v_mul_f32_e32 v6, v5, v3
	v_mul_f32_e32 v7, v4, v3
	v_fma_f32 v6, v4, v2, -v6
	v_fmac_f32_e32 v7, v5, v2
	v_mov_b32_e32 v3, s5
	v_add_co_u32_e32 v2, vcc, s4, v10
	s_add_i32 s26, s26, 1
	s_addk_i32 s27, 0x80
	v_addc_co_u32_e32 v3, vcc, v11, v3, vcc
	s_cmp_eq_u32 s26, s31
	buffer_store_dword v6, v8, s[0:3], 0 offen
	buffer_store_dword v7, v8, s[0:3], 0 offen offset:4
	global_store_dwordx2 v[2:3], v[6:7], off
	s_cbranch_scc1 .LBB149_41
.LBB149_63:                             ;   Parent Loop BB149_39 Depth=1
                                        ;     Parent Loop BB149_42 Depth=2
                                        ; =>    This Loop Header: Depth=3
                                        ;         Child Loop BB149_65 Depth 4
	s_cmp_lg_u32 s26, 0
	s_cbranch_scc0 .LBB149_67
; %bb.64:                               ;   in Loop: Header=BB149_63 Depth=3
	s_lshl_b32 s4, s26, 3
	v_add_u32_e32 v4, s4, v14
	buffer_load_dword v2, v4, s[0:3], 0 offen
	buffer_load_dword v3, v4, s[0:3], 0 offen offset:4
	v_mov_b32_e32 v5, 0
	s_mov_b32 s4, 0
	s_mov_b32 s5, s27
.LBB149_65:                             ;   Parent Loop BB149_39 Depth=1
                                        ;     Parent Loop BB149_42 Depth=2
                                        ;       Parent Loop BB149_63 Depth=3
                                        ; =>      This Inner Loop Header: Depth=4
	buffer_load_dword v7, v5, s[0:3], 0 offen offset:4
	buffer_load_dword v6, v5, s[0:3], 0 offen
	v_mov_b32_e32 v8, s5
	ds_read_b64 v[8:9], v8
	s_add_i32 s4, s4, 1
	s_add_i32 s5, s5, 8
	v_add_u32_e32 v5, 8, v5
	s_cmp_ge_u32 s4, s26
	s_waitcnt vmcnt(1)
	v_mov_b32_e32 v16, v7
	s_waitcnt lgkmcnt(0)
	v_pk_mul_f32 v[16:17], v[8:9], v[16:17] op_sel_hi:[1,0]
	s_waitcnt vmcnt(0)
	v_pk_fma_f32 v[18:19], v[8:9], v[6:7], v[16:17] op_sel:[0,0,1] op_sel_hi:[1,1,0] neg_lo:[0,0,1] neg_hi:[0,0,1]
	v_pk_fma_f32 v[6:7], v[8:9], v[6:7], v[16:17] op_sel:[0,0,1] op_sel_hi:[1,0,0]
	v_mov_b32_e32 v19, v7
	v_pk_add_f32 v[2:3], v[2:3], v[18:19] neg_lo:[0,1] neg_hi:[0,1]
	buffer_store_dword v2, v4, s[0:3], 0 offen
	buffer_store_dword v3, v4, s[0:3], 0 offen offset:4
	s_cbranch_scc0 .LBB149_65
; %bb.66:                               ;   in Loop: Header=BB149_63 Depth=3
	s_add_i32 s4, s26, s28
	s_branch .LBB149_62
.LBB149_67:                             ;   in Loop: Header=BB149_63 Depth=3
                                        ; implicit-def: $vgpr2
                                        ; implicit-def: $sgpr4
	s_cbranch_execz .LBB149_62
; %bb.68:                               ;   in Loop: Header=BB149_63 Depth=3
	buffer_load_dword v2, off, s[0:3], 0
	buffer_load_dword v3, off, s[0:3], 0 offset:4
	s_mov_b32 s4, s28
	s_branch .LBB149_62
.LBB149_69:
	s_mov_b64 s[4:5], 0
.LBB149_70:
	s_and_b64 vcc, exec, s[4:5]
	s_cbranch_vccz .LBB149_102
; %bb.71:
	s_add_u32 s4, s14, s8
	s_addc_u32 s5, s15, s9
	s_add_u32 s4, s4, s6
	s_addc_u32 s5, s5, s7
	v_mov_b32_e32 v2, s5
	v_add_co_u32_e32 v0, vcc, s4, v0
	v_addc_co_u32_e32 v1, vcc, v2, v1, vcc
	v_add_co_u32_e32 v8, vcc, 4, v0
	s_lshl_b32 s26, s42, 7
	s_mov_b32 s7, 0
	s_mov_b32 s10, s24
	;; [unrolled: 1-line block ×5, first 2 shown]
	v_addc_co_u32_e32 v9, vcc, 0, v1, vcc
	s_addk_i32 s26, 0xff80
	v_mov_b32_e32 v12, 0
	s_mov_b32 s8, s33
	s_mov_b32 s14, s7
	s_branch .LBB149_73
.LBB149_72:                             ;   in Loop: Header=BB149_73 Depth=1
	s_cmp_lt_i32 s8, 0
	s_cselect_b64 s[4:5], -1, 0
	s_add_i32 s14, s14, 1
	s_cmp_eq_u32 s14, 3
	s_cselect_b64 s[16:17], -1, 0
	s_or_b64 s[4:5], s[4:5], s[16:17]
	s_and_b64 vcc, exec, s[4:5]
	s_cbranch_vccnz .LBB149_102
.LBB149_73:                             ; =>This Loop Header: Depth=1
                                        ;     Child Loop BB149_76 Depth 2
                                        ;       Child Loop BB149_78 Depth 3
                                        ;       Child Loop BB149_82 Depth 3
	;; [unrolled: 1-line block ×3, first 2 shown]
                                        ;         Child Loop BB149_95 Depth 4
                                        ;         Child Loop BB149_101 Depth 4
                                        ;       Child Loop BB149_86 Depth 3
                                        ;         Child Loop BB149_88 Depth 4
	s_mov_b32 s15, s7
	s_lshl_b64 s[4:5], s[14:15], 2
	s_getpc_b64 s[16:17]
	s_add_u32 s16, s16, __const._ZL30rocblas_trsm_small_left_deviceILi16ELi16ELb0E19rocblas_complex_numIfES1_PKS1_PS1_Ev13rocblas_fill_18rocblas_operation_17rocblas_diagonal_iiT3_T4_lilT5_lili.step_sizes@rel32@lo+4
	s_addc_u32 s17, s17, __const._ZL30rocblas_trsm_small_left_deviceILi16ELi16ELb0E19rocblas_complex_numIfES1_PKS1_PS1_Ev13rocblas_fill_18rocblas_operation_17rocblas_diagonal_iiT3_T4_lilT5_lili.step_sizes@rel32@hi+12
	s_add_u32 s4, s4, s16
	s_addc_u32 s5, s5, s17
	s_load_dword s15, s[4:5], 0x0
	s_waitcnt lgkmcnt(0)
	s_add_i32 s27, s15, -1
	s_cmp_lt_i32 s8, s27
	s_cbranch_scc1 .LBB149_72
; %bb.74:                               ;   in Loop: Header=BB149_73 Depth=1
	s_max_i32 s28, s15, 1
	s_cmp_lg_u32 s14, 2
	s_cselect_b64 s[16:17], -1, 0
	s_and_b32 s29, s28, 0x7ffffffe
	s_cmp_lg_u32 s28, s29
	s_cselect_b64 s[18:19], -1, 0
	s_lshl_b32 s4, s8, 3
	s_add_i32 s30, s26, s4
	s_lshl_b32 s4, s15, 3
	s_sub_i32 s31, 0, s4
	s_mul_i32 s34, s8, 0x88
	s_mul_i32 s35, s15, 0xffffff78
	s_branch .LBB149_76
.LBB149_75:                             ;   in Loop: Header=BB149_76 Depth=2
	s_sub_i32 s8, s8, s15
	s_add_i32 s30, s30, s31
	s_add_i32 s34, s34, s35
	s_cmp_lt_i32 s8, s27
	s_cbranch_scc1 .LBB149_72
.LBB149_76:                             ;   Parent Loop BB149_73 Depth=1
                                        ; =>  This Loop Header: Depth=2
                                        ;       Child Loop BB149_78 Depth 3
                                        ;       Child Loop BB149_82 Depth 3
	;; [unrolled: 1-line block ×3, first 2 shown]
                                        ;         Child Loop BB149_95 Depth 4
                                        ;         Child Loop BB149_101 Depth 4
                                        ;       Child Loop BB149_86 Depth 3
                                        ;         Child Loop BB149_88 Depth 4
	s_and_b64 vcc, exec, s[16:17]
	s_cbranch_vccz .LBB149_80
; %bb.77:                               ;   in Loop: Header=BB149_76 Depth=2
	v_mov_b32_e32 v0, 0
	s_mov_b32 s9, s8
	s_mov_b32 s20, 1
	;; [unrolled: 1-line block ×4, first 2 shown]
.LBB149_78:                             ;   Parent Loop BB149_73 Depth=1
                                        ;     Parent Loop BB149_76 Depth=2
                                        ; =>    This Inner Loop Header: Depth=3
	s_sub_i32 s4, s8, s21
	s_sub_i32 s36, s9, s20
	s_ashr_i32 s5, s4, 31
	s_ashr_i32 s37, s36, 31
	s_lshl_b64 s[4:5], s[4:5], 3
	s_lshl_b64 s[36:37], s[36:37], 3
	v_mov_b32_e32 v1, s5
	v_add_co_u32_e64 v4, s[4:5], s4, v10
	v_mov_b32_e32 v3, s37
	v_add_co_u32_e32 v2, vcc, s36, v10
	v_addc_co_u32_e64 v5, s[4:5], v11, v1, s[4:5]
	v_addc_co_u32_e32 v3, vcc, v11, v3, vcc
	global_load_dwordx2 v[6:7], v[4:5], off
	global_load_dwordx2 v[14:15], v[2:3], off
	s_add_i32 s21, s21, 2
	s_add_i32 s20, s20, 2
	s_add_i32 s22, s22, -2
	s_mov_b32 s6, s29
	s_mov_b64 s[4:5], s[18:19]
	s_cmp_lg_u32 s22, 0
	s_waitcnt vmcnt(1)
	v_mov_b32_e32 v2, v6
	s_waitcnt vmcnt(0)
	v_mov_b32_e32 v3, v14
	v_mov_b32_e32 v14, v7
	v_pk_mul_f32 v[4:5], v[14:15], s[12:13]
	v_pk_mul_f32 v[6:7], v[14:15], s[10:11]
	v_pk_fma_f32 v[4:5], v[2:3], s[10:11], v[4:5] neg_lo:[0,0,1] neg_hi:[0,0,1]
	v_pk_fma_f32 v[2:3], v[2:3], s[12:13], v[6:7]
	buffer_store_dword v2, v0, s[0:3], 0 offen offset:4
	buffer_store_dword v4, v0, s[0:3], 0 offen
	buffer_store_dword v3, v0, s[0:3], 0 offen offset:12
	buffer_store_dword v5, v0, s[0:3], 0 offen offset:8
	v_add_u32_e32 v0, 16, v0
	s_cbranch_scc1 .LBB149_78
; %bb.79:                               ;   in Loop: Header=BB149_76 Depth=2
	s_ashr_i32 s9, s8, 31
	s_and_b64 vcc, exec, s[4:5]
	s_cbranch_vccnz .LBB149_81
	s_branch .LBB149_83
.LBB149_80:                             ;   in Loop: Header=BB149_76 Depth=2
	s_mov_b32 s6, 0
	s_ashr_i32 s9, s8, 31
	s_cbranch_execz .LBB149_83
.LBB149_81:                             ;   in Loop: Header=BB149_76 Depth=2
	s_lshl_b64 s[20:21], s[8:9], 3
	s_sub_i32 s4, s28, s6
	s_lshl_b64 s[22:23], s[6:7], 3
	s_sub_u32 s5, s20, s22
	s_subb_u32 s20, s21, s23
	v_mov_b32_e32 v1, s20
	v_add_co_u32_e32 v0, vcc, s5, v8
	s_lshl_b32 s5, s6, 3
	v_addc_co_u32_e32 v1, vcc, v9, v1, vcc
	v_add_u32_e32 v2, s5, v12
.LBB149_82:                             ;   Parent Loop BB149_73 Depth=1
                                        ;     Parent Loop BB149_76 Depth=2
                                        ; =>    This Inner Loop Header: Depth=3
	global_load_dwordx2 v[4:5], v[0:1], off offset:-4
	s_add_i32 s4, s4, -1
	v_add_co_u32_e32 v0, vcc, -8, v0
	v_addc_co_u32_e32 v1, vcc, -1, v1, vcc
	s_cmp_eq_u32 s4, 0
	s_waitcnt vmcnt(0)
	v_mul_f32_e32 v3, s25, v5
	v_mul_f32_e32 v5, s24, v5
	v_fma_f32 v3, v4, s24, -v3
	v_fmac_f32_e32 v5, s25, v4
	buffer_store_dword v3, v2, s[0:3], 0 offen
	buffer_store_dword v5, v2, s[0:3], 0 offen offset:4
	v_add_u32_e32 v2, 8, v2
	s_cbranch_scc0 .LBB149_82
.LBB149_83:                             ;   in Loop: Header=BB149_76 Depth=2
	s_cmp_le_i32 s33, s8
	s_mov_b32 s6, s30
	s_mov_b32 s4, s33
	s_cbranch_scc0 .LBB149_93
.LBB149_84:                             ;   in Loop: Header=BB149_76 Depth=2
	s_mov_b32 s6, 0
	s_mov_b32 s36, s34
	s_branch .LBB149_86
.LBB149_85:                             ;   in Loop: Header=BB149_86 Depth=3
	s_mulk_i32 s20, 0x88
	v_mov_b32_e32 v2, s20
	ds_read_b64 v[2:3], v2
	s_lshl_b64 s[4:5], s[4:5], 3
	s_lshl_b32 s20, s6, 3
	s_add_i32 s6, s6, 1
	s_add_i32 s36, s36, -8
	s_waitcnt vmcnt(0) lgkmcnt(0)
	v_mul_f32_e32 v4, v3, v1
	v_mul_f32_e32 v5, v2, v1
	v_fma_f32 v4, v2, v0, -v4
	v_fmac_f32_e32 v5, v3, v0
	v_mov_b32_e32 v1, s5
	v_add_co_u32_e32 v0, vcc, s4, v10
	v_add_u32_e32 v6, s20, v12
	v_addc_co_u32_e32 v1, vcc, v11, v1, vcc
	s_cmp_eq_u32 s6, s28
	buffer_store_dword v4, v6, s[0:3], 0 offen
	buffer_store_dword v5, v6, s[0:3], 0 offen offset:4
	global_store_dwordx2 v[0:1], v[4:5], off
	s_cbranch_scc1 .LBB149_75
.LBB149_86:                             ;   Parent Loop BB149_73 Depth=1
                                        ;     Parent Loop BB149_76 Depth=2
                                        ; =>    This Loop Header: Depth=3
                                        ;         Child Loop BB149_88 Depth 4
	s_cmp_lg_u32 s6, 0
	s_cbranch_scc0 .LBB149_90
; %bb.87:                               ;   in Loop: Header=BB149_86 Depth=3
	s_lshl_b32 s4, s6, 3
	v_add_u32_e32 v2, s4, v12
	buffer_load_dword v0, v2, s[0:3], 0 offen
	buffer_load_dword v1, v2, s[0:3], 0 offen offset:4
	v_mov_b32_e32 v3, 0
	s_mov_b32 s4, 0
	s_mov_b32 s5, s36
.LBB149_88:                             ;   Parent Loop BB149_73 Depth=1
                                        ;     Parent Loop BB149_76 Depth=2
                                        ;       Parent Loop BB149_86 Depth=3
                                        ; =>      This Inner Loop Header: Depth=4
	buffer_load_dword v5, v3, s[0:3], 0 offen offset:4
	buffer_load_dword v4, v3, s[0:3], 0 offen
	v_mov_b32_e32 v6, s5
	ds_read_b64 v[6:7], v6
	s_add_i32 s4, s4, 1
	s_addk_i32 s5, 0xff80
	v_add_u32_e32 v3, 8, v3
	s_cmp_ge_u32 s4, s6
	s_waitcnt vmcnt(1)
	v_mov_b32_e32 v14, v5
	s_waitcnt lgkmcnt(0)
	v_pk_mul_f32 v[14:15], v[6:7], v[14:15] op_sel_hi:[1,0]
	s_waitcnt vmcnt(0)
	v_pk_fma_f32 v[16:17], v[6:7], v[4:5], v[14:15] op_sel:[0,0,1] op_sel_hi:[1,1,0] neg_lo:[0,0,1] neg_hi:[0,0,1]
	v_pk_fma_f32 v[4:5], v[6:7], v[4:5], v[14:15] op_sel:[0,0,1] op_sel_hi:[1,0,0]
	v_mov_b32_e32 v17, v5
	v_pk_add_f32 v[0:1], v[0:1], v[16:17] neg_lo:[0,1] neg_hi:[0,1]
	buffer_store_dword v0, v2, s[0:3], 0 offen
	buffer_store_dword v1, v2, s[0:3], 0 offen offset:4
	s_cbranch_scc0 .LBB149_88
; %bb.89:                               ;   in Loop: Header=BB149_86 Depth=3
	s_sub_i32 s20, s8, s6
	s_ashr_i32 s21, s20, 31
	s_mov_b64 s[4:5], s[20:21]
	s_branch .LBB149_85
.LBB149_90:                             ;   in Loop: Header=BB149_86 Depth=3
                                        ; implicit-def: $vgpr0
                                        ; implicit-def: $sgpr20
                                        ; implicit-def: $sgpr4_sgpr5
	s_cbranch_execz .LBB149_85
; %bb.91:                               ;   in Loop: Header=BB149_86 Depth=3
	buffer_load_dword v0, off, s[0:3], 0
	buffer_load_dword v1, off, s[0:3], 0 offset:4
	s_mov_b64 s[4:5], s[8:9]
	s_mov_b32 s20, s8
	s_branch .LBB149_85
.LBB149_92:                             ;   in Loop: Header=BB149_93 Depth=3
	s_add_i32 s4, s4, -1
	s_addk_i32 s6, 0xff80
	s_cmp_le_i32 s4, s8
	s_cbranch_scc1 .LBB149_84
.LBB149_93:                             ;   Parent Loop BB149_73 Depth=1
                                        ;     Parent Loop BB149_76 Depth=2
                                        ; =>    This Loop Header: Depth=3
                                        ;         Child Loop BB149_95 Depth 4
                                        ;         Child Loop BB149_101 Depth 4
	s_ashr_i32 s5, s4, 31
	s_lshl_b64 s[20:21], s[4:5], 3
	s_waitcnt vmcnt(0)
	v_mov_b32_e32 v1, s21
	v_add_co_u32_e32 v0, vcc, s20, v10
	v_addc_co_u32_e32 v1, vcc, v11, v1, vcc
	global_load_dwordx2 v[0:1], v[0:1], off
	s_and_b64 vcc, exec, s[16:17]
	s_cbranch_vccz .LBB149_97
; %bb.94:                               ;   in Loop: Header=BB149_93 Depth=3
	s_lshl_b32 s5, s4, 4
	s_add_i32 s5, s5, s8
	s_mov_b32 s20, s5
	s_waitcnt vmcnt(0)
	v_mov_b32_e32 v4, v0
	v_mov_b32_e32 v5, v0
	;; [unrolled: 1-line block ×6, first 2 shown]
	s_mov_b32 s21, 1
	s_mov_b32 s22, 0
	;; [unrolled: 1-line block ×3, first 2 shown]
.LBB149_95:                             ;   Parent Loop BB149_73 Depth=1
                                        ;     Parent Loop BB149_76 Depth=2
                                        ;       Parent Loop BB149_93 Depth=3
                                        ; =>      This Inner Loop Header: Depth=4
	buffer_load_dword v14, v3, s[0:3], 0 offen
	buffer_load_dword v16, v3, s[0:3], 0 offen offset:4
	buffer_load_dword v15, v3, s[0:3], 0 offen offset:8
	;; [unrolled: 1-line block ×3, first 2 shown]
	s_sub_i32 s36, s20, s21
	s_sub_i32 s37, s5, s22
	s_lshl_b32 s37, s37, 3
	s_lshl_b32 s36, s36, 3
	v_mov_b32_e32 v13, s37
	v_mov_b32_e32 v20, s36
	ds_read_b64 v[18:19], v13
	ds_read_b64 v[20:21], v20
	s_add_i32 s22, s22, 2
	s_add_i32 s21, s21, 2
	s_add_i32 s23, s23, -2
	s_waitcnt lgkmcnt(1)
	v_mov_b32_e32 v22, v18
	s_waitcnt lgkmcnt(0)
	v_mov_b32_e32 v23, v20
	v_mov_b32_e32 v20, v19
	v_pk_mul_f32 v[18:19], v[20:21], v[6:7]
	v_pk_mul_f32 v[20:21], v[20:21], v[4:5]
	v_pk_fma_f32 v[18:19], v[22:23], v[4:5], v[18:19] neg_lo:[0,0,1] neg_hi:[0,0,1]
	v_pk_fma_f32 v[20:21], v[22:23], v[6:7], v[20:21]
	s_cmp_lg_u32 s23, 0
	s_waitcnt vmcnt(1)
	v_pk_add_f32 v[14:15], v[14:15], v[18:19] neg_lo:[0,1] neg_hi:[0,1]
	s_waitcnt vmcnt(0)
	v_pk_add_f32 v[16:17], v[16:17], v[20:21] neg_lo:[0,1] neg_hi:[0,1]
	buffer_store_dword v14, v3, s[0:3], 0 offen
	buffer_store_dword v16, v3, s[0:3], 0 offen offset:4
	buffer_store_dword v15, v3, s[0:3], 0 offen offset:8
	;; [unrolled: 1-line block ×3, first 2 shown]
	v_add_u32_e32 v3, 16, v3
	s_cbranch_scc1 .LBB149_95
; %bb.96:                               ;   in Loop: Header=BB149_93 Depth=3
	s_mov_b64 s[20:21], s[18:19]
	s_mov_b32 s22, s29
	s_branch .LBB149_99
.LBB149_97:                             ;   in Loop: Header=BB149_93 Depth=3
	s_mov_b64 s[20:21], 0
                                        ; implicit-def: $vgpr2_vgpr3
	s_mov_b32 s22, s29
	s_cbranch_execz .LBB149_99
; %bb.98:                               ;   in Loop: Header=BB149_93 Depth=3
	s_waitcnt vmcnt(0)
	v_mov_b32_e32 v2, v1
	s_mov_b64 s[20:21], -1
	s_mov_b32 s22, 0
.LBB149_99:                             ;   in Loop: Header=BB149_93 Depth=3
	s_andn2_b64 vcc, exec, s[20:21]
	s_cbranch_vccnz .LBB149_92
; %bb.100:                              ;   in Loop: Header=BB149_93 Depth=3
	s_lshl_b32 s21, s22, 3
	s_waitcnt vmcnt(0)
	v_mov_b32_e32 v3, v1
	v_mov_b32_e32 v1, v0
	s_sub_i32 s5, s6, s21
	s_sub_i32 s20, s28, s22
	v_add_u32_e32 v4, s21, v12
.LBB149_101:                            ;   Parent Loop BB149_73 Depth=1
                                        ;     Parent Loop BB149_76 Depth=2
                                        ;       Parent Loop BB149_93 Depth=3
                                        ; =>      This Inner Loop Header: Depth=4
	buffer_load_dword v6, v4, s[0:3], 0 offen
	buffer_load_dword v7, v4, s[0:3], 0 offen offset:4
	v_mov_b32_e32 v5, s5
	ds_read_b64 v[14:15], v5
	s_add_i32 s5, s5, -8
	s_add_i32 s20, s20, -1
	s_cmp_eq_u32 s20, 0
	s_waitcnt lgkmcnt(0)
	v_pk_mul_f32 v[16:17], v[14:15], v[2:3]
	v_pk_fma_f32 v[18:19], v[14:15], v[0:1], v[16:17] op_sel:[0,0,1] op_sel_hi:[1,1,0] neg_lo:[0,0,1] neg_hi:[0,0,1]
	v_pk_fma_f32 v[14:15], v[14:15], v[0:1], v[16:17] op_sel:[0,0,1] op_sel_hi:[1,1,0]
	v_mov_b32_e32 v19, v15
	s_waitcnt vmcnt(0)
	v_pk_add_f32 v[6:7], v[6:7], v[18:19] neg_lo:[0,1] neg_hi:[0,1]
	buffer_store_dword v6, v4, s[0:3], 0 offen
	buffer_store_dword v7, v4, s[0:3], 0 offen offset:4
	v_add_u32_e32 v4, 8, v4
	s_cbranch_scc0 .LBB149_101
	s_branch .LBB149_92
.LBB149_102:
	s_endpgm
	.section	.rodata,"a",@progbits
	.p2align	6, 0x0
	.amdhsa_kernel _ZL30rocblas_trsm_small_left_deviceILi16ELi16ELb0E19rocblas_complex_numIfES1_PKS1_PS1_Ev13rocblas_fill_18rocblas_operation_17rocblas_diagonal_iiT3_T4_lilT5_lili
		.amdhsa_group_segment_fixed_size 2048
		.amdhsa_private_segment_fixed_size 144
		.amdhsa_kernarg_size 360
		.amdhsa_user_sgpr_count 8
		.amdhsa_user_sgpr_private_segment_buffer 1
		.amdhsa_user_sgpr_dispatch_ptr 0
		.amdhsa_user_sgpr_queue_ptr 0
		.amdhsa_user_sgpr_kernarg_segment_ptr 1
		.amdhsa_user_sgpr_dispatch_id 0
		.amdhsa_user_sgpr_flat_scratch_init 1
		.amdhsa_user_sgpr_kernarg_preload_length 0
		.amdhsa_user_sgpr_kernarg_preload_offset 0
		.amdhsa_user_sgpr_private_segment_size 0
		.amdhsa_uses_dynamic_stack 0
		.amdhsa_system_sgpr_private_segment_wavefront_offset 1
		.amdhsa_system_sgpr_workgroup_id_x 1
		.amdhsa_system_sgpr_workgroup_id_y 0
		.amdhsa_system_sgpr_workgroup_id_z 1
		.amdhsa_system_sgpr_workgroup_info 0
		.amdhsa_system_vgpr_workitem_id 0
		.amdhsa_next_free_vgpr 26
		.amdhsa_next_free_sgpr 46
		.amdhsa_accum_offset 28
		.amdhsa_reserve_vcc 1
		.amdhsa_reserve_flat_scratch 0
		.amdhsa_float_round_mode_32 0
		.amdhsa_float_round_mode_16_64 0
		.amdhsa_float_denorm_mode_32 3
		.amdhsa_float_denorm_mode_16_64 3
		.amdhsa_dx10_clamp 1
		.amdhsa_ieee_mode 1
		.amdhsa_fp16_overflow 0
		.amdhsa_tg_split 0
		.amdhsa_exception_fp_ieee_invalid_op 0
		.amdhsa_exception_fp_denorm_src 0
		.amdhsa_exception_fp_ieee_div_zero 0
		.amdhsa_exception_fp_ieee_overflow 0
		.amdhsa_exception_fp_ieee_underflow 0
		.amdhsa_exception_fp_ieee_inexact 0
		.amdhsa_exception_int_div_zero 0
	.end_amdhsa_kernel
	.section	.text._ZL30rocblas_trsm_small_left_deviceILi16ELi16ELb0E19rocblas_complex_numIfES1_PKS1_PS1_Ev13rocblas_fill_18rocblas_operation_17rocblas_diagonal_iiT3_T4_lilT5_lili,"axG",@progbits,_ZL30rocblas_trsm_small_left_deviceILi16ELi16ELb0E19rocblas_complex_numIfES1_PKS1_PS1_Ev13rocblas_fill_18rocblas_operation_17rocblas_diagonal_iiT3_T4_lilT5_lili,comdat
.Lfunc_end149:
	.size	_ZL30rocblas_trsm_small_left_deviceILi16ELi16ELb0E19rocblas_complex_numIfES1_PKS1_PS1_Ev13rocblas_fill_18rocblas_operation_17rocblas_diagonal_iiT3_T4_lilT5_lili, .Lfunc_end149-_ZL30rocblas_trsm_small_left_deviceILi16ELi16ELb0E19rocblas_complex_numIfES1_PKS1_PS1_Ev13rocblas_fill_18rocblas_operation_17rocblas_diagonal_iiT3_T4_lilT5_lili
                                        ; -- End function
	.section	.AMDGPU.csdata,"",@progbits
; Kernel info:
; codeLenInByte = 4332
; NumSgprs: 50
; NumVgprs: 26
; NumAgprs: 0
; TotalNumVgprs: 26
; ScratchSize: 144
; MemoryBound: 0
; FloatMode: 240
; IeeeMode: 1
; LDSByteSize: 2048 bytes/workgroup (compile time only)
; SGPRBlocks: 6
; VGPRBlocks: 3
; NumSGPRsForWavesPerEU: 50
; NumVGPRsForWavesPerEU: 26
; AccumOffset: 28
; Occupancy: 8
; WaveLimiterHint : 0
; COMPUTE_PGM_RSRC2:SCRATCH_EN: 1
; COMPUTE_PGM_RSRC2:USER_SGPR: 8
; COMPUTE_PGM_RSRC2:TRAP_HANDLER: 0
; COMPUTE_PGM_RSRC2:TGID_X_EN: 1
; COMPUTE_PGM_RSRC2:TGID_Y_EN: 0
; COMPUTE_PGM_RSRC2:TGID_Z_EN: 1
; COMPUTE_PGM_RSRC2:TIDIG_COMP_CNT: 0
; COMPUTE_PGM_RSRC3_GFX90A:ACCUM_OFFSET: 6
; COMPUTE_PGM_RSRC3_GFX90A:TG_SPLIT: 0
	.section	.text._ZL38rocblas_trsm_small_left_device_sharedBILi16ELi16ELb1E19rocblas_complex_numIfES1_PKS1_PS1_Ev13rocblas_fill_18rocblas_operation_17rocblas_diagonal_iiT3_T4_lilT5_lili,"axG",@progbits,_ZL38rocblas_trsm_small_left_device_sharedBILi16ELi16ELb1E19rocblas_complex_numIfES1_PKS1_PS1_Ev13rocblas_fill_18rocblas_operation_17rocblas_diagonal_iiT3_T4_lilT5_lili,comdat
	.globl	_ZL38rocblas_trsm_small_left_device_sharedBILi16ELi16ELb1E19rocblas_complex_numIfES1_PKS1_PS1_Ev13rocblas_fill_18rocblas_operation_17rocblas_diagonal_iiT3_T4_lilT5_lili ; -- Begin function _ZL38rocblas_trsm_small_left_device_sharedBILi16ELi16ELb1E19rocblas_complex_numIfES1_PKS1_PS1_Ev13rocblas_fill_18rocblas_operation_17rocblas_diagonal_iiT3_T4_lilT5_lili
	.p2align	8
	.type	_ZL38rocblas_trsm_small_left_device_sharedBILi16ELi16ELb1E19rocblas_complex_numIfES1_PKS1_PS1_Ev13rocblas_fill_18rocblas_operation_17rocblas_diagonal_iiT3_T4_lilT5_lili,@function
_ZL38rocblas_trsm_small_left_device_sharedBILi16ELi16ELb1E19rocblas_complex_numIfES1_PKS1_PS1_Ev13rocblas_fill_18rocblas_operation_17rocblas_diagonal_iiT3_T4_lilT5_lili: ; @_ZL38rocblas_trsm_small_left_device_sharedBILi16ELi16ELb1E19rocblas_complex_numIfES1_PKS1_PS1_Ev13rocblas_fill_18rocblas_operation_17rocblas_diagonal_iiT3_T4_lilT5_lili
; %bb.0:
	s_add_u32 s0, s0, s10
	s_load_dwordx4 s[20:23], s[4:5], 0x4
	s_load_dwordx2 s[30:31], s[4:5], 0x14
	s_load_dwordx4 s[16:19], s[4:5], 0x38
	s_load_dwordx2 s[24:25], s[4:5], 0x48
	s_load_dword s42, s[4:5], 0x68
	s_addc_u32 s1, s1, 0
	s_waitcnt lgkmcnt(0)
	s_min_i32 s33, s22, 16
	s_mov_b32 s43, 0
	s_add_i32 s53, s33, -1
	v_cmp_gt_i32_e32 vcc, s33, v0
	s_and_saveexec_b64 s[26:27], vcc
	s_cbranch_execz .LBB150_35
; %bb.1:
	s_load_dword s28, s[4:5], 0x30
	s_load_dwordx4 s[12:15], s[4:5], 0x20
	s_mul_i32 s6, s9, s17
	s_mul_hi_u32 s7, s9, s16
	s_mul_i32 s16, s9, s16
	s_waitcnt lgkmcnt(0)
	s_ashr_i32 s29, s28, 31
	s_cmpk_lg_i32 s20, 0x71
	s_cselect_b64 s[34:35], -1, 0
	s_add_i32 s17, s7, s6
	v_cndmask_b32_e64 v1, 0, 1, s[34:35]
	s_cmp_lt_u32 s53, 3
	v_cmp_ne_u32_e64 s[6:7], 1, v1
	s_cbranch_scc1 .LBB150_20
; %bb.2:
	s_lshl_b64 s[10:11], s[16:17], 3
	s_add_u32 s36, s12, s10
	s_addc_u32 s37, s13, s11
	s_lshl_b64 s[10:11], s[14:15], 3
	s_add_u32 s10, s36, s10
	s_addc_u32 s11, s37, s11
	v_lshlrev_b32_e32 v1, 3, v0
	v_mov_b32_e32 v3, s11
	v_add_co_u32_e32 v2, vcc, s10, v1
	s_mul_hi_i32 s10, s28, 24
	s_lshl_b64 s[36:37], s[28:29], 5
	s_lshl_b64 s[38:39], s[28:29], 4
	;; [unrolled: 1-line block ×3, first 2 shown]
	v_addc_co_u32_e32 v3, vcc, 0, v3, vcc
	s_and_b32 s43, s33, -4
	s_mul_i32 s44, s28, 24
	s_mov_b32 s45, 0
	v_mov_b32_e32 v8, s41
	v_mov_b32_e32 v9, s39
	;; [unrolled: 1-line block ×4, first 2 shown]
	s_branch .LBB150_4
.LBB150_3:                              ;   in Loop: Header=BB150_4 Depth=1
	global_load_dword v4, v[6:7], off
	s_add_i32 s45, s45, 4
	v_add_co_u32_e32 v2, vcc, s36, v2
	v_addc_co_u32_e32 v3, vcc, v3, v11, vcc
	s_cmp_eq_u32 s43, s45
	s_waitcnt vmcnt(0)
	ds_write_b64 v1, v[4:5] offset:384
	v_add_u32_e32 v1, 0x200, v1
	s_cbranch_scc1 .LBB150_20
.LBB150_4:                              ; =>This Inner Loop Header: Depth=1
	s_and_b64 vcc, exec, s[34:35]
	s_cbranch_vccz .LBB150_6
; %bb.5:                                ;   in Loop: Header=BB150_4 Depth=1
	global_load_dword v5, v[2:3], off offset:4
	s_cbranch_execz .LBB150_7
	s_branch .LBB150_8
.LBB150_6:                              ;   in Loop: Header=BB150_4 Depth=1
                                        ; implicit-def: $vgpr5
.LBB150_7:                              ;   in Loop: Header=BB150_4 Depth=1
	global_load_dword v4, v[2:3], off offset:4
	s_waitcnt vmcnt(0)
	v_xor_b32_e32 v5, 0x80000000, v4
.LBB150_8:                              ;   in Loop: Header=BB150_4 Depth=1
	global_load_dword v4, v[2:3], off
	v_add_co_u32_e64 v6, s[10:11], s40, v2
	s_and_b64 vcc, exec, s[6:7]
	v_addc_co_u32_e64 v7, s[10:11], v3, v8, s[10:11]
	s_waitcnt vmcnt(0)
	ds_write_b64 v1, v[4:5]
	s_cbranch_vccnz .LBB150_10
; %bb.9:                                ;   in Loop: Header=BB150_4 Depth=1
	global_load_dword v5, v[6:7], off offset:4
	s_cbranch_execz .LBB150_11
	s_branch .LBB150_12
.LBB150_10:                             ;   in Loop: Header=BB150_4 Depth=1
                                        ; implicit-def: $vgpr5
.LBB150_11:                             ;   in Loop: Header=BB150_4 Depth=1
	global_load_dword v4, v[6:7], off offset:4
	s_waitcnt vmcnt(0)
	v_xor_b32_e32 v5, 0x80000000, v4
.LBB150_12:                             ;   in Loop: Header=BB150_4 Depth=1
	global_load_dword v4, v[6:7], off
	v_add_co_u32_e64 v6, s[10:11], s38, v2
	s_and_b64 vcc, exec, s[6:7]
	v_addc_co_u32_e64 v7, s[10:11], v3, v9, s[10:11]
	s_waitcnt vmcnt(0)
	ds_write_b64 v1, v[4:5] offset:128
	s_cbranch_vccnz .LBB150_14
; %bb.13:                               ;   in Loop: Header=BB150_4 Depth=1
	global_load_dword v5, v[6:7], off offset:4
	s_cbranch_execz .LBB150_15
	s_branch .LBB150_16
.LBB150_14:                             ;   in Loop: Header=BB150_4 Depth=1
                                        ; implicit-def: $vgpr5
.LBB150_15:                             ;   in Loop: Header=BB150_4 Depth=1
	global_load_dword v4, v[6:7], off offset:4
	s_waitcnt vmcnt(0)
	v_xor_b32_e32 v5, 0x80000000, v4
.LBB150_16:                             ;   in Loop: Header=BB150_4 Depth=1
	global_load_dword v4, v[6:7], off
	v_add_co_u32_e64 v6, s[10:11], s44, v2
	s_and_b64 vcc, exec, s[6:7]
	v_addc_co_u32_e64 v7, s[10:11], v3, v10, s[10:11]
	s_waitcnt vmcnt(0)
	ds_write_b64 v1, v[4:5] offset:256
	s_cbranch_vccnz .LBB150_18
; %bb.17:                               ;   in Loop: Header=BB150_4 Depth=1
	global_load_dword v5, v[6:7], off offset:4
	s_cbranch_execnz .LBB150_3
	s_branch .LBB150_19
.LBB150_18:                             ;   in Loop: Header=BB150_4 Depth=1
                                        ; implicit-def: $vgpr5
.LBB150_19:                             ;   in Loop: Header=BB150_4 Depth=1
	global_load_dword v4, v[6:7], off offset:4
	s_waitcnt vmcnt(0)
	v_xor_b32_e32 v5, 0x80000000, v4
	s_branch .LBB150_3
.LBB150_20:
	s_and_b32 s34, s33, 3
	s_cmp_eq_u32 s34, 0
	s_cbranch_scc1 .LBB150_27
; %bb.21:
	s_lshl_b64 s[10:11], s[16:17], 3
	s_mul_i32 s16, s29, s43
	s_mul_hi_u32 s17, s28, s43
	s_add_i32 s17, s17, s16
	s_mul_i32 s16, s28, s43
	s_lshl_b64 s[16:17], s[16:17], 3
	s_add_u32 s16, s10, s16
	s_addc_u32 s17, s11, s17
	s_lshl_b64 s[10:11], s[14:15], 3
	s_add_u32 s10, s16, s10
	s_addc_u32 s11, s17, s11
	s_add_u32 s10, s12, s10
	v_lshlrev_b32_e32 v2, 3, v0
	s_addc_u32 s11, s13, s11
	v_lshl_or_b32 v1, s43, 7, v2
	v_mov_b32_e32 v3, s11
	v_add_co_u32_e32 v2, vcc, s10, v2
	v_addc_co_u32_e32 v3, vcc, 0, v3, vcc
	v_add_co_u32_e32 v2, vcc, 4, v2
	s_lshl_b64 s[10:11], s[28:29], 3
	v_addc_co_u32_e32 v3, vcc, 0, v3, vcc
	v_mov_b32_e32 v6, s11
	s_branch .LBB150_23
.LBB150_22:                             ;   in Loop: Header=BB150_23 Depth=1
	global_load_dword v4, v[2:3], off offset:-4
	s_add_i32 s34, s34, -1
	v_add_co_u32_e32 v2, vcc, s10, v2
	s_cmp_lg_u32 s34, 0
	v_addc_co_u32_e32 v3, vcc, v3, v6, vcc
	s_waitcnt vmcnt(0)
	ds_write_b64 v1, v[4:5]
	v_add_u32_e32 v1, 0x80, v1
	s_cbranch_scc0 .LBB150_27
.LBB150_23:                             ; =>This Inner Loop Header: Depth=1
	s_and_b64 vcc, exec, s[6:7]
	s_cbranch_vccnz .LBB150_25
; %bb.24:                               ;   in Loop: Header=BB150_23 Depth=1
	global_load_dword v5, v[2:3], off
	s_cbranch_execnz .LBB150_22
	s_branch .LBB150_26
.LBB150_25:                             ;   in Loop: Header=BB150_23 Depth=1
                                        ; implicit-def: $vgpr5
.LBB150_26:                             ;   in Loop: Header=BB150_23 Depth=1
	global_load_dword v4, v[2:3], off
	s_waitcnt vmcnt(0)
	v_xor_b32_e32 v5, 0x80000000, v4
	s_branch .LBB150_22
.LBB150_27:
	v_mul_u32_u24_e32 v1, 17, v0
	s_cmpk_lg_i32 s21, 0x84
	v_lshlrev_b32_e32 v1, 3, v1
	s_mov_b64 s[6:7], -1
	s_cbranch_scc0 .LBB150_33
; %bb.28:
	ds_read_b64 v[2:3], v1
	s_mov_b32 s6, 0
	s_waitcnt lgkmcnt(0)
	v_cmp_gt_f32_e32 vcc, 0, v3
	v_cndmask_b32_e64 v4, v3, -v3, vcc
	v_cmp_gt_f32_e32 vcc, 0, v2
	v_cndmask_b32_e64 v5, v2, -v2, vcc
	v_cmp_ngt_f32_e32 vcc, v5, v4
                                        ; implicit-def: $vgpr4_vgpr5
	s_and_saveexec_b64 s[10:11], vcc
	s_xor_b64 s[10:11], exec, s[10:11]
	s_cbranch_execz .LBB150_30
; %bb.29:
	v_div_scale_f32 v4, s[12:13], v3, v3, v2
	v_rcp_f32_e32 v5, v4
	v_div_scale_f32 v6, vcc, v2, v3, v2
	s_mov_b32 s7, -1.0
	v_fma_f32 v7, -v4, v5, 1.0
	v_fmac_f32_e32 v5, v7, v5
	v_mul_f32_e32 v7, v6, v5
	v_fma_f32 v8, -v4, v7, v6
	v_fmac_f32_e32 v7, v8, v5
	v_fma_f32 v4, -v4, v7, v6
	v_div_fmas_f32 v4, v4, v5, v7
	v_div_fixup_f32 v4, v4, v3, v2
	v_fmac_f32_e32 v3, v2, v4
	v_div_scale_f32 v2, s[12:13], v3, v3, 1.0
	v_rcp_f32_e32 v5, v2
	v_fma_f32 v6, -v2, v5, 1.0
	v_fmac_f32_e32 v5, v6, v5
	v_div_scale_f32 v6, vcc, 1.0, v3, 1.0
	v_mul_f32_e32 v7, v6, v5
	v_fma_f32 v8, -v2, v7, v6
	v_fmac_f32_e32 v7, v8, v5
	v_fma_f32 v2, -v2, v7, v6
	v_div_fmas_f32 v2, v2, v5, v7
	v_mul_f32_e32 v5, 0, v4
	v_div_fixup_f32 v2, v2, v3, 1.0
	v_pk_add_f32 v[4:5], v[4:5], s[6:7]
	v_pk_mul_f32 v[4:5], v[4:5], v[2:3] op_sel_hi:[1,0]
                                        ; implicit-def: $vgpr2_vgpr3
.LBB150_30:
	s_andn2_saveexec_b64 s[6:7], s[10:11]
	s_cbranch_execz .LBB150_32
; %bb.31:
	v_div_scale_f32 v4, s[10:11], v2, v2, v3
	v_rcp_f32_e32 v5, v4
	v_div_scale_f32 v6, vcc, v3, v2, v3
	v_fma_f32 v7, -v4, v5, 1.0
	v_fmac_f32_e32 v5, v7, v5
	v_mul_f32_e32 v7, v6, v5
	v_fma_f32 v8, -v4, v7, v6
	v_fmac_f32_e32 v7, v8, v5
	v_fma_f32 v4, -v4, v7, v6
	v_div_fmas_f32 v4, v4, v5, v7
	v_div_fixup_f32 v5, v4, v2, v3
	v_fmac_f32_e32 v2, v3, v5
	v_div_scale_f32 v3, s[10:11], v2, v2, 1.0
	v_rcp_f32_e32 v4, v3
	s_mov_b32 s10, 1.0
	s_mov_b32 s11, 0
	v_fma_f32 v6, -v3, v4, 1.0
	v_fmac_f32_e32 v4, v6, v4
	v_div_scale_f32 v6, vcc, 1.0, v2, 1.0
	v_mul_f32_e32 v7, v6, v4
	v_fma_f32 v8, -v3, v7, v6
	v_fmac_f32_e32 v7, v8, v4
	v_fma_f32 v3, -v3, v7, v6
	v_div_fmas_f32 v3, v3, v4, v7
	v_mul_f32_e32 v4, 0, v5
	v_pk_add_f32 v[6:7], v[4:5], s[10:11]
	v_pk_add_f32 v[4:5], v[4:5], s[10:11] neg_lo:[1,0] neg_hi:[1,0]
	v_div_fixup_f32 v2, v3, v2, 1.0
	v_mov_b32_e32 v7, v5
	v_pk_mul_f32 v[4:5], v[6:7], v[2:3] op_sel_hi:[1,0]
.LBB150_32:
	s_or_b64 exec, exec, s[6:7]
	s_mov_b64 s[6:7], 0
	ds_write_b64 v1, v[4:5]
.LBB150_33:
	s_and_b64 vcc, exec, s[6:7]
	s_cbranch_vccz .LBB150_35
; %bb.34:
	v_mov_b32_e32 v2, 1.0
	v_mov_b32_e32 v3, 0
	ds_write_b64 v1, v[2:3]
.LBB150_35:
	s_or_b64 exec, exec, s[26:27]
	s_load_dword s21, s[4:5], 0x50
	s_load_dwordx2 s[6:7], s[4:5], 0x58
	s_waitcnt lgkmcnt(0)
	s_ashr_i32 s52, s21, 31
	s_mul_i32 s5, s9, s7
	s_mul_hi_u32 s7, s9, s6
	s_mul_i32 s4, s9, s6
	s_add_i32 s5, s7, s5
	s_lshl_b64 s[16:17], s[4:5], 3
	s_add_u32 s4, s18, s16
	s_addc_u32 s5, s19, s17
	s_lshl_b64 s[24:25], s[24:25], 3
	s_add_u32 s6, s4, s24
	s_addc_u32 s7, s5, s25
	s_lshl_b32 s26, s8, 4
	s_add_i32 s42, s42, -1
	s_sub_i32 s4, s23, s26
	s_cmp_ge_u32 s8, s42
	s_cselect_b32 s8, s4, 16
	s_mul_hi_i32 s5, s21, s26
	s_mul_i32 s4, s21, s26
	s_ashr_i32 s27, s26, 31
	s_lshl_b64 s[4:5], s[4:5], 3
	s_add_u32 s23, s6, s4
	s_addc_u32 s54, s7, s5
	s_cmp_gt_i32 s22, 0
	v_cmp_gt_i32_e32 vcc, s8, v0
	s_cselect_b64 s[4:5], -1, 0
	s_mov_b32 s6, 0
	s_and_b64 s[28:29], vcc, s[4:5]
	s_and_saveexec_b64 s[34:35], s[28:29]
	s_cbranch_execz .LBB150_48
; %bb.36:
	s_cmp_lt_i32 s22, 2
	s_mov_b64 s[4:5], -1
	s_cbranch_scc1 .LBB150_45
; %bb.37:
	v_mad_i64_i32 v[2:3], s[4:5], s21, v0, 0
	s_add_i32 s5, s33, -2
	v_lshlrev_b64 v[2:3], 3, v[2:3]
	s_lshr_b32 s55, s5, 1
	v_mov_b32_e32 v4, s54
	v_add_co_u32_e32 v1, vcc, s23, v2
	s_mov_b32 s40, 1
	s_add_i32 s55, s55, 1
	s_mov_b32 s43, 0
	v_addc_co_u32_e32 v2, vcc, v4, v3, vcc
	s_mov_b32 s36, s30
	s_mov_b32 s37, s30
	;; [unrolled: 1-line block ×5, first 2 shown]
	s_cmp_lt_u32 s5, 6
	s_mov_b32 s5, s40
	s_cbranch_scc1 .LBB150_41
; %bb.38:
	s_and_b32 s56, s55, -4
	v_lshlrev_b32_e32 v3, 3, v0
	s_mov_b32 s42, s43
.LBB150_39:                             ; =>This Inner Loop Header: Depth=1
	s_lshl_b64 s[4:5], s[42:43], 3
	s_mov_b32 s41, s43
	s_add_i32 s44, s40, 2
	s_add_i32 s46, s42, 2
	s_mov_b32 s47, s43
	s_mov_b32 s45, s43
	s_add_i32 s48, s40, 4
	s_add_i32 s50, s42, 4
	s_mov_b32 s51, s43
	;; [unrolled: 4-line block ×3, first 2 shown]
	s_mov_b32 s59, s43
	v_mov_b32_e32 v5, s5
	v_add_co_u32_e32 v4, vcc, s4, v1
	s_lshl_b64 s[14:15], s[40:41], 3
	s_lshl_b64 s[6:7], s[46:47], 3
	s_lshl_b64 s[8:9], s[44:45], 3
	s_lshl_b64 s[10:11], s[50:51], 3
	s_lshl_b64 s[12:13], s[48:49], 3
	s_lshl_b64 s[62:63], s[60:61], 3
	s_lshl_b64 s[64:65], s[58:59], 3
	v_addc_co_u32_e32 v5, vcc, v2, v5, vcc
	v_mov_b32_e32 v7, s15
	v_mov_b32_e32 v9, s7
	v_add_co_u32_e32 v6, vcc, s6, v1
	v_mov_b32_e32 v11, s9
	v_add_co_u32_e64 v8, s[4:5], s8, v1
	v_mov_b32_e32 v13, s11
	v_add_co_u32_e64 v10, s[6:7], s10, v1
	;; [unrolled: 2-line block ×5, first 2 shown]
	v_add_co_u32_e64 v18, s[14:15], s14, v1
	v_addc_co_u32_e64 v19, s[14:15], v2, v7, s[14:15]
	v_addc_co_u32_e32 v7, vcc, v2, v9, vcc
	v_addc_co_u32_e64 v9, vcc, v2, v11, s[4:5]
	v_addc_co_u32_e64 v11, vcc, v2, v13, s[6:7]
	;; [unrolled: 1-line block ×5, first 2 shown]
	global_load_dwordx2 v[20:21], v[4:5], off
	global_load_dwordx2 v[22:23], v[18:19], off
	;; [unrolled: 1-line block ×8, first 2 shown]
	v_lshl_or_b32 v36, s42, 7, v3
	v_lshl_or_b32 v37, s40, 7, v3
	s_add_i32 s42, s42, 8
	s_add_i32 s56, s56, -4
	s_add_i32 s40, s40, 8
	s_cmp_lg_u32 s56, 0
	v_lshl_or_b32 v38, s46, 7, v3
	v_lshl_or_b32 v39, s44, 7, v3
	;; [unrolled: 1-line block ×6, first 2 shown]
	s_waitcnt vmcnt(7)
	v_mov_b32_e32 v4, v20
	s_waitcnt vmcnt(6)
	v_mov_b32_e32 v5, v22
	v_mov_b32_e32 v22, v21
	s_waitcnt vmcnt(4)
	v_mov_b32_e32 v7, v26
	;; [unrolled: 3-line block ×4, first 2 shown]
	v_mov_b32_e32 v34, v33
	v_pk_mul_f32 v[12:13], s[38:39], v[22:23]
	v_pk_mul_f32 v[14:15], s[36:37], v[22:23]
	v_mov_b32_e32 v6, v24
	v_mov_b32_e32 v8, v28
	;; [unrolled: 1-line block ×3, first 2 shown]
	v_pk_mul_f32 v[16:17], s[38:39], v[26:27]
	v_pk_mul_f32 v[18:19], s[36:37], v[26:27]
	;; [unrolled: 1-line block ×6, first 2 shown]
	v_pk_fma_f32 v[12:13], s[36:37], v[4:5], v[12:13] neg_lo:[0,0,1] neg_hi:[0,0,1]
	v_pk_fma_f32 v[4:5], s[38:39], v[4:5], v[14:15]
	v_pk_fma_f32 v[14:15], s[36:37], v[6:7], v[16:17] neg_lo:[0,0,1] neg_hi:[0,0,1]
	v_pk_fma_f32 v[6:7], s[38:39], v[6:7], v[18:19]
	;; [unrolled: 2-line block ×4, first 2 shown]
	v_mov_b32_e32 v20, v12
	v_mov_b32_e32 v21, v4
	;; [unrolled: 1-line block ×12, first 2 shown]
	ds_write_b64 v36, v[20:21] offset:2048
	ds_write_b64 v37, v[4:5] offset:2048
	ds_write_b64 v38, v[12:13] offset:2048
	ds_write_b64 v39, v[6:7] offset:2048
	ds_write_b64 v40, v[14:15] offset:2048
	ds_write_b64 v41, v[8:9] offset:2048
	ds_write_b64 v42, v[16:17] offset:2048
	ds_write_b64 v43, v[10:11] offset:2048
	s_cbranch_scc1 .LBB150_39
; %bb.40:
	s_mov_b32 s43, s40
	s_mov_b64 s[4:5], s[42:43]
.LBB150_41:
	s_and_b32 s6, s55, 3
	s_cmp_eq_u32 s6, 0
	s_mov_b32 s7, 0
	s_cbranch_scc1 .LBB150_44
; %bb.42:
	s_sub_i32 s6, 0, s6
	v_mov_b32_e32 v3, s6
	v_lshlrev_b32_e32 v4, 3, v0
.LBB150_43:                             ; =>This Inner Loop Header: Depth=1
	s_mov_b32 s6, s4
	s_lshl_b64 s[8:9], s[6:7], 3
	s_mov_b32 s6, s5
	v_mov_b32_e32 v5, s9
	v_add_co_u32_e32 v6, vcc, s8, v1
	s_lshl_b64 s[10:11], s[6:7], 3
	v_addc_co_u32_e32 v7, vcc, v2, v5, vcc
	v_mov_b32_e32 v5, s11
	v_add_co_u32_e32 v8, vcc, s10, v1
	v_addc_co_u32_e32 v9, vcc, v2, v5, vcc
	global_load_dwordx2 v[10:11], v[6:7], off
	global_load_dwordx2 v[12:13], v[8:9], off
	v_add_co_u32_e32 v3, vcc, 1, v3
	v_lshl_or_b32 v5, s4, 7, v4
	v_lshl_or_b32 v14, s5, 7, v4
	s_add_i32 s4, s4, 2
	s_add_i32 s5, s5, 2
	s_andn2_b64 vcc, exec, vcc
	s_waitcnt vmcnt(1)
	v_mov_b32_e32 v6, v10
	s_waitcnt vmcnt(0)
	v_mov_b32_e32 v7, v12
	v_mov_b32_e32 v12, v11
	v_pk_mul_f32 v[8:9], s[38:39], v[12:13]
	v_pk_mul_f32 v[10:11], s[36:37], v[12:13]
	v_pk_fma_f32 v[8:9], s[36:37], v[6:7], v[8:9] neg_lo:[0,0,1] neg_hi:[0,0,1]
	v_pk_fma_f32 v[6:7], s[38:39], v[6:7], v[10:11]
	v_mov_b32_e32 v10, v8
	v_mov_b32_e32 v11, v6
	;; [unrolled: 1-line block ×3, first 2 shown]
	ds_write_b64 v5, v[10:11] offset:2048
	ds_write_b64 v14, v[6:7] offset:2048
	s_cbranch_vccnz .LBB150_43
.LBB150_44:
	s_and_b32 s6, s33, 30
	s_cmp_lg_u32 s33, s6
	s_cselect_b64 s[4:5], -1, 0
.LBB150_45:
	s_and_b64 vcc, exec, s[4:5]
	s_cbranch_vccz .LBB150_48
; %bb.46:
	s_sub_i32 s4, s33, s6
	s_lshl_b64 s[8:9], s[26:27], 3
	s_lshl_b32 s5, s6, 3
	v_lshlrev_b32_e32 v2, 3, v0
	s_add_u32 s5, s18, s5
	v_lshl_or_b32 v1, s6, 7, v2
	s_addc_u32 s6, s19, 0
	s_add_u32 s5, s5, s24
	s_addc_u32 s7, s6, s25
	s_add_u32 s6, s5, s16
	v_mov_b32_e32 v3, s9
	v_add_co_u32_e32 v4, vcc, s8, v2
	s_addc_u32 s7, s7, s17
	v_addc_co_u32_e32 v5, vcc, 0, v3, vcc
	v_pk_mov_b32 v[2:3], s[6:7], s[6:7] op_sel:[0,1]
	v_mad_u64_u32 v[2:3], s[6:7], v4, s21, v[2:3]
	v_mul_lo_u32 v4, v4, s52
	v_mul_lo_u32 v5, v5, s21
	v_add3_u32 v3, v5, v3, v4
	v_add_co_u32_e32 v2, vcc, 4, v2
	v_add_u32_e32 v1, 0x800, v1
	v_addc_co_u32_e32 v3, vcc, 0, v3, vcc
.LBB150_47:                             ; =>This Inner Loop Header: Depth=1
	global_load_dwordx2 v[4:5], v[2:3], off offset:-4
	s_add_i32 s4, s4, -1
	v_add_co_u32_e32 v2, vcc, 8, v2
	v_addc_co_u32_e32 v3, vcc, 0, v3, vcc
	s_cmp_lg_u32 s4, 0
	s_waitcnt vmcnt(0)
	v_mul_f32_e32 v6, s31, v5
	v_mul_f32_e32 v7, s30, v5
	v_fma_f32 v6, s30, v4, -v6
	v_fmac_f32_e32 v7, s31, v4
	ds_write_b64 v1, v[6:7]
	v_add_u32_e32 v1, 0x80, v1
	s_cbranch_scc1 .LBB150_47
.LBB150_48:
	s_or_b64 exec, exec, s[34:35]
	s_cmpk_eq_i32 s20, 0x6f
	s_mov_b64 s[4:5], -1
	s_waitcnt lgkmcnt(0)
	; wave barrier
	s_waitcnt lgkmcnt(0)
	s_cbranch_scc1 .LBB150_77
; %bb.49:
	v_mov_b32_e32 v1, 0x800
	s_lshl_b32 s14, s33, 3
	s_mov_b32 s5, 0
	v_lshl_or_b32 v1, v0, 3, v1
	s_add_i32 s14, s14, -8
	v_lshlrev_b32_e32 v10, 3, v0
	v_mov_b32_e32 v11, 0
	s_mov_b32 s4, s5
	s_mov_b32 s15, s53
	s_branch .LBB150_51
.LBB150_50:                             ;   in Loop: Header=BB150_51 Depth=1
	s_cmp_lt_i32 s15, 0
	s_cselect_b64 s[6:7], -1, 0
	s_add_i32 s4, s4, 1
	s_cmp_eq_u32 s4, 3
	s_cselect_b64 s[8:9], -1, 0
	s_or_b64 s[6:7], s[6:7], s[8:9]
	s_andn2_b64 vcc, exec, s[6:7]
	s_cbranch_vccz .LBB150_76
.LBB150_51:                             ; =>This Loop Header: Depth=1
                                        ;     Child Loop BB150_54 Depth 2
                                        ;       Child Loop BB150_55 Depth 3
                                        ;       Child Loop BB150_59 Depth 3
                                        ;         Child Loop BB150_61 Depth 4
                                        ;         Child Loop BB150_67 Depth 4
                                        ;       Child Loop BB150_70 Depth 3
                                        ;         Child Loop BB150_72 Depth 4
	s_lshl_b64 s[6:7], s[4:5], 2
	s_getpc_b64 s[8:9]
	s_add_u32 s8, s8, __const._ZL38rocblas_trsm_small_left_device_sharedBILi16ELi16ELb1E19rocblas_complex_numIfES1_PKS1_PS1_Ev13rocblas_fill_18rocblas_operation_17rocblas_diagonal_iiT3_T4_lilT5_lili.step_sizes@rel32@lo+4
	s_addc_u32 s9, s9, __const._ZL38rocblas_trsm_small_left_device_sharedBILi16ELi16ELb1E19rocblas_complex_numIfES1_PKS1_PS1_Ev13rocblas_fill_18rocblas_operation_17rocblas_diagonal_iiT3_T4_lilT5_lili.step_sizes@rel32@hi+12
	s_add_u32 s6, s6, s8
	s_addc_u32 s7, s7, s9
	s_load_dword s20, s[6:7], 0x0
	s_waitcnt lgkmcnt(0)
	s_add_i32 s30, s20, -1
	s_cmp_lt_i32 s15, s30
	s_cbranch_scc1 .LBB150_50
; %bb.52:                               ;   in Loop: Header=BB150_51 Depth=1
	s_max_i32 s31, s20, 1
	s_cmp_lg_u32 s4, 2
	s_cselect_b64 s[6:7], -1, 0
	s_and_b32 s34, s31, 0x7ffffffe
	s_cmp_lg_u32 s31, s34
	s_cselect_b64 s[8:9], -1, 0
	s_lshl_b32 s10, s15, 7
	s_lshl_b32 s11, s20, 7
	v_add_u32_e32 v12, s10, v1
	s_sub_i32 s35, 0, s11
	s_add_i32 s36, s14, s10
	s_mul_i32 s37, s15, 0x88
	s_mul_i32 s38, s20, 0xffffff78
	s_branch .LBB150_54
.LBB150_53:                             ;   in Loop: Header=BB150_54 Depth=2
	s_sub_i32 s15, s15, s20
	s_add_i32 s36, s36, s35
	s_add_i32 s37, s37, s38
	s_cmp_lt_i32 s15, s30
	v_add_u32_e32 v12, s35, v12
	s_cbranch_scc1 .LBB150_50
.LBB150_54:                             ;   Parent Loop BB150_51 Depth=1
                                        ; =>  This Loop Header: Depth=2
                                        ;       Child Loop BB150_55 Depth 3
                                        ;       Child Loop BB150_59 Depth 3
                                        ;         Child Loop BB150_61 Depth 4
                                        ;         Child Loop BB150_67 Depth 4
                                        ;       Child Loop BB150_70 Depth 3
                                        ;         Child Loop BB150_72 Depth 4
	v_mov_b32_e32 v2, 0
	v_mov_b32_e32 v3, v12
	s_mov_b32 s10, s31
.LBB150_55:                             ;   Parent Loop BB150_51 Depth=1
                                        ;     Parent Loop BB150_54 Depth=2
                                        ; =>    This Inner Loop Header: Depth=3
	ds_read_b64 v[4:5], v3
	s_add_i32 s10, s10, -1
	v_add_u32_e32 v3, 0xffffff80, v3
	s_cmp_eq_u32 s10, 0
	s_waitcnt lgkmcnt(0)
	buffer_store_dword v5, v2, s[0:3], 0 offen offset:4
	buffer_store_dword v4, v2, s[0:3], 0 offen
	v_add_u32_e32 v2, 8, v2
	s_cbranch_scc0 .LBB150_55
; %bb.56:                               ;   in Loop: Header=BB150_54 Depth=2
	s_cmp_le_i32 s53, s15
	s_cbranch_scc1 .LBB150_68
; %bb.57:                               ;   in Loop: Header=BB150_54 Depth=2
	s_mov_b32 s39, s15
	s_mov_b32 s40, s36
	;; [unrolled: 1-line block ×3, first 2 shown]
	s_branch .LBB150_59
.LBB150_58:                             ;   in Loop: Header=BB150_59 Depth=3
	s_add_i32 s41, s41, -1
	s_add_i32 s40, s40, -8
	s_cmp_le_i32 s41, s15
	s_cbranch_scc1 .LBB150_68
.LBB150_59:                             ;   Parent Loop BB150_51 Depth=1
                                        ;     Parent Loop BB150_54 Depth=2
                                        ; =>    This Loop Header: Depth=3
                                        ;         Child Loop BB150_61 Depth 4
                                        ;         Child Loop BB150_67 Depth 4
	s_waitcnt lgkmcnt(0)
	v_lshl_or_b32 v2, s41, 7, v10
	ds_read_b64 v[2:3], v2 offset:2048
	s_and_b64 vcc, exec, s[6:7]
	s_cbranch_vccz .LBB150_63
; %bb.60:                               ;   in Loop: Header=BB150_59 Depth=3
	s_mov_b32 s10, s41
	s_waitcnt lgkmcnt(0)
	v_mov_b32_e32 v6, v2
	v_mov_b32_e32 v7, v2
	;; [unrolled: 1-line block ×6, first 2 shown]
	s_mov_b32 s11, 1
	s_mov_b32 s12, 0
	;; [unrolled: 1-line block ×3, first 2 shown]
.LBB150_61:                             ;   Parent Loop BB150_51 Depth=1
                                        ;     Parent Loop BB150_54 Depth=2
                                        ;       Parent Loop BB150_59 Depth=3
                                        ; =>      This Inner Loop Header: Depth=4
	buffer_load_dword v14, v5, s[0:3], 0 offen
	buffer_load_dword v16, v5, s[0:3], 0 offen offset:4
	buffer_load_dword v15, v5, s[0:3], 0 offen offset:8
	;; [unrolled: 1-line block ×3, first 2 shown]
	s_sub_i32 s42, s39, s11
	s_sub_i32 s43, s15, s12
	s_lshl_b32 s43, s43, 4
	s_lshl_b32 s42, s42, 4
	s_add_i32 s42, s42, s10
	s_add_i32 s43, s43, s41
	s_lshl_b32 s43, s43, 3
	s_lshl_b32 s42, s42, 3
	v_mov_b32_e32 v13, s43
	v_mov_b32_e32 v20, s42
	ds_read_b64 v[18:19], v13
	ds_read_b64 v[20:21], v20
	s_add_i32 s12, s12, 2
	s_add_i32 s11, s11, 2
	s_add_i32 s13, s13, -2
	s_waitcnt lgkmcnt(1)
	v_mov_b32_e32 v22, v18
	s_waitcnt lgkmcnt(0)
	v_mov_b32_e32 v23, v20
	v_mov_b32_e32 v20, v19
	v_pk_mul_f32 v[18:19], v[20:21], v[8:9]
	v_pk_mul_f32 v[20:21], v[20:21], v[6:7]
	v_pk_fma_f32 v[18:19], v[22:23], v[6:7], v[18:19] neg_lo:[0,0,1] neg_hi:[0,0,1]
	v_pk_fma_f32 v[20:21], v[22:23], v[8:9], v[20:21]
	s_cmp_lg_u32 s13, 0
	s_waitcnt vmcnt(1)
	v_pk_add_f32 v[14:15], v[14:15], v[18:19] neg_lo:[0,1] neg_hi:[0,1]
	s_waitcnt vmcnt(0)
	v_pk_add_f32 v[16:17], v[16:17], v[20:21] neg_lo:[0,1] neg_hi:[0,1]
	buffer_store_dword v14, v5, s[0:3], 0 offen
	buffer_store_dword v16, v5, s[0:3], 0 offen offset:4
	buffer_store_dword v15, v5, s[0:3], 0 offen offset:8
	;; [unrolled: 1-line block ×3, first 2 shown]
	v_add_u32_e32 v5, 16, v5
	s_cbranch_scc1 .LBB150_61
; %bb.62:                               ;   in Loop: Header=BB150_59 Depth=3
	s_mov_b64 s[10:11], s[8:9]
	s_mov_b32 s12, s34
	s_branch .LBB150_65
.LBB150_63:                             ;   in Loop: Header=BB150_59 Depth=3
	s_mov_b64 s[10:11], 0
                                        ; implicit-def: $vgpr4_vgpr5
	s_mov_b32 s12, s34
	s_cbranch_execz .LBB150_65
; %bb.64:                               ;   in Loop: Header=BB150_59 Depth=3
	s_waitcnt lgkmcnt(0)
	v_mov_b32_e32 v4, v3
	s_mov_b64 s[10:11], -1
	s_mov_b32 s12, 0
.LBB150_65:                             ;   in Loop: Header=BB150_59 Depth=3
	s_andn2_b64 vcc, exec, s[10:11]
	s_cbranch_vccnz .LBB150_58
; %bb.66:                               ;   in Loop: Header=BB150_59 Depth=3
	s_sub_i32 s10, s31, s12
	s_lshl_b32 s11, s12, 7
	s_lshl_b32 s12, s12, 3
	s_waitcnt lgkmcnt(0)
	v_mov_b32_e32 v5, v3
	v_mov_b32_e32 v3, v2
	s_sub_i32 s11, s40, s11
	v_add_u32_e32 v6, s12, v11
.LBB150_67:                             ;   Parent Loop BB150_51 Depth=1
                                        ;     Parent Loop BB150_54 Depth=2
                                        ;       Parent Loop BB150_59 Depth=3
                                        ; =>      This Inner Loop Header: Depth=4
	buffer_load_dword v8, v6, s[0:3], 0 offen
	buffer_load_dword v9, v6, s[0:3], 0 offen offset:4
	v_mov_b32_e32 v7, s11
	ds_read_b64 v[14:15], v7
	s_add_i32 s10, s10, -1
	s_addk_i32 s11, 0xff80
	s_cmp_eq_u32 s10, 0
	s_waitcnt lgkmcnt(0)
	v_pk_mul_f32 v[16:17], v[14:15], v[4:5]
	v_pk_fma_f32 v[18:19], v[14:15], v[2:3], v[16:17] op_sel:[0,0,1] op_sel_hi:[1,1,0] neg_lo:[0,0,1] neg_hi:[0,0,1]
	v_pk_fma_f32 v[14:15], v[14:15], v[2:3], v[16:17] op_sel:[0,0,1] op_sel_hi:[1,1,0]
	v_mov_b32_e32 v19, v15
	s_waitcnt vmcnt(0)
	v_pk_add_f32 v[8:9], v[8:9], v[18:19] neg_lo:[0,1] neg_hi:[0,1]
	buffer_store_dword v8, v6, s[0:3], 0 offen
	buffer_store_dword v9, v6, s[0:3], 0 offen offset:4
	v_add_u32_e32 v6, 8, v6
	s_cbranch_scc0 .LBB150_67
	s_branch .LBB150_58
.LBB150_68:                             ;   in Loop: Header=BB150_54 Depth=2
	s_lshl_b32 s12, s15, 4
	s_mov_b32 s13, 0
	s_mov_b32 s39, s37
	s_branch .LBB150_70
.LBB150_69:                             ;   in Loop: Header=BB150_70 Depth=3
	s_mul_i32 s10, s41, 0x88
	v_mov_b32_e32 v4, s10
	ds_read_b64 v[4:5], v4
	s_lshl_b32 s10, s13, 3
	s_add_i32 s13, s13, 1
	s_addk_i32 s39, 0xff80
	v_add_u32_e32 v8, s10, v11
	s_waitcnt vmcnt(0) lgkmcnt(0)
	v_mul_f32_e32 v6, v5, v3
	v_mul_f32_e32 v7, v4, v3
	v_fma_f32 v6, v4, v2, -v6
	v_fmac_f32_e32 v7, v5, v2
	v_add_lshl_u32 v2, s40, v0, 3
	s_cmp_eq_u32 s13, s31
	buffer_store_dword v6, v8, s[0:3], 0 offen
	buffer_store_dword v7, v8, s[0:3], 0 offen offset:4
	ds_write_b64 v2, v[6:7] offset:2048
	s_cbranch_scc1 .LBB150_53
.LBB150_70:                             ;   Parent Loop BB150_51 Depth=1
                                        ;     Parent Loop BB150_54 Depth=2
                                        ; =>    This Loop Header: Depth=3
                                        ;         Child Loop BB150_72 Depth 4
	s_cmp_lg_u32 s13, 0
	s_cbranch_scc0 .LBB150_74
; %bb.71:                               ;   in Loop: Header=BB150_70 Depth=3
	s_lshl_b32 s10, s13, 3
	v_add_u32_e32 v4, s10, v11
	s_waitcnt lgkmcnt(0)
	buffer_load_dword v2, v4, s[0:3], 0 offen
	buffer_load_dword v3, v4, s[0:3], 0 offen offset:4
	v_mov_b32_e32 v5, 0
	s_mov_b32 s10, 0
	s_mov_b32 s11, s39
.LBB150_72:                             ;   Parent Loop BB150_51 Depth=1
                                        ;     Parent Loop BB150_54 Depth=2
                                        ;       Parent Loop BB150_70 Depth=3
                                        ; =>      This Inner Loop Header: Depth=4
	buffer_load_dword v7, v5, s[0:3], 0 offen offset:4
	buffer_load_dword v6, v5, s[0:3], 0 offen
	v_mov_b32_e32 v8, s11
	ds_read_b64 v[8:9], v8
	s_add_i32 s10, s10, 1
	s_add_i32 s11, s11, -8
	v_add_u32_e32 v5, 8, v5
	s_cmp_ge_u32 s10, s13
	s_waitcnt vmcnt(1)
	v_mov_b32_e32 v14, v7
	s_waitcnt lgkmcnt(0)
	v_pk_mul_f32 v[14:15], v[8:9], v[14:15] op_sel_hi:[1,0]
	s_waitcnt vmcnt(0)
	v_pk_fma_f32 v[16:17], v[8:9], v[6:7], v[14:15] op_sel:[0,0,1] op_sel_hi:[1,1,0] neg_lo:[0,0,1] neg_hi:[0,0,1]
	v_pk_fma_f32 v[6:7], v[8:9], v[6:7], v[14:15] op_sel:[0,0,1] op_sel_hi:[1,0,0]
	v_mov_b32_e32 v17, v7
	v_pk_add_f32 v[2:3], v[2:3], v[16:17] neg_lo:[0,1] neg_hi:[0,1]
	buffer_store_dword v2, v4, s[0:3], 0 offen
	buffer_store_dword v3, v4, s[0:3], 0 offen offset:4
	s_cbranch_scc0 .LBB150_72
; %bb.73:                               ;   in Loop: Header=BB150_70 Depth=3
	s_sub_i32 s41, s15, s13
	s_lshl_b32 s40, s41, 4
	s_branch .LBB150_69
.LBB150_74:                             ;   in Loop: Header=BB150_70 Depth=3
                                        ; implicit-def: $vgpr2
                                        ; implicit-def: $sgpr41
                                        ; implicit-def: $sgpr40
	s_cbranch_execz .LBB150_69
; %bb.75:                               ;   in Loop: Header=BB150_70 Depth=3
	s_waitcnt lgkmcnt(0)
	buffer_load_dword v2, off, s[0:3], 0
	buffer_load_dword v3, off, s[0:3], 0 offset:4
	s_mov_b32 s40, s12
	s_mov_b32 s41, s15
	s_branch .LBB150_69
.LBB150_76:
	s_mov_b64 s[4:5], 0
.LBB150_77:
	s_and_b64 vcc, exec, s[4:5]
	s_cbranch_vccz .LBB150_105
; %bb.78:
	v_mov_b32_e32 v1, 0x800
	s_mov_b32 s5, 0
	v_lshl_or_b32 v1, v0, 3, v1
	v_mov_b32_e32 v10, 0
	v_lshlrev_b32_e32 v11, 3, v0
	s_mov_b32 s4, s5
	s_mov_b32 s14, s5
	s_branch .LBB150_80
.LBB150_79:                             ;   in Loop: Header=BB150_80 Depth=1
	s_cmp_ge_i32 s14, s33
	s_cselect_b64 s[6:7], -1, 0
	s_add_i32 s4, s4, 1
	s_cmp_eq_u32 s4, 3
	s_cselect_b64 s[8:9], -1, 0
	s_or_b64 s[6:7], s[6:7], s[8:9]
	s_and_b64 vcc, exec, s[6:7]
	s_cbranch_vccnz .LBB150_105
.LBB150_80:                             ; =>This Loop Header: Depth=1
                                        ;     Child Loop BB150_83 Depth 2
                                        ;       Child Loop BB150_84 Depth 3
                                        ;       Child Loop BB150_88 Depth 3
                                        ;         Child Loop BB150_90 Depth 4
                                        ;         Child Loop BB150_96 Depth 4
                                        ;       Child Loop BB150_99 Depth 3
                                        ;         Child Loop BB150_101 Depth 4
	s_lshl_b64 s[6:7], s[4:5], 2
	s_getpc_b64 s[8:9]
	s_add_u32 s8, s8, __const._ZL38rocblas_trsm_small_left_device_sharedBILi16ELi16ELb1E19rocblas_complex_numIfES1_PKS1_PS1_Ev13rocblas_fill_18rocblas_operation_17rocblas_diagonal_iiT3_T4_lilT5_lili.step_sizes@rel32@lo+4
	s_addc_u32 s9, s9, __const._ZL38rocblas_trsm_small_left_device_sharedBILi16ELi16ELb1E19rocblas_complex_numIfES1_PKS1_PS1_Ev13rocblas_fill_18rocblas_operation_17rocblas_diagonal_iiT3_T4_lilT5_lili.step_sizes@rel32@hi+12
	s_add_u32 s6, s6, s8
	s_addc_u32 s7, s7, s9
	s_load_dword s15, s[6:7], 0x0
	s_waitcnt lgkmcnt(0)
	s_add_i32 s20, s15, -1
	s_add_i32 s6, s20, s14
	s_cmp_ge_i32 s6, s33
	s_cbranch_scc1 .LBB150_79
; %bb.81:                               ;   in Loop: Header=BB150_80 Depth=1
	s_max_i32 s30, s15, 1
	s_cmp_lg_u32 s4, 2
	s_cselect_b64 s[6:7], -1, 0
	s_and_b32 s31, s30, 0x7ffffffe
	s_cmp_lg_u32 s30, s31
	s_cselect_b64 s[8:9], -1, 0
	v_lshl_add_u32 v12, s14, 7, v1
	s_lshl_b32 s34, s15, 7
	s_mul_i32 s35, s14, 0x88
	s_mul_i32 s36, s15, 0x88
	s_branch .LBB150_83
.LBB150_82:                             ;   in Loop: Header=BB150_83 Depth=2
	s_add_i32 s14, s14, s15
	s_add_i32 s10, s20, s14
	;; [unrolled: 1-line block ×3, first 2 shown]
	s_cmp_ge_i32 s10, s33
	v_add_u32_e32 v12, s34, v12
	s_cbranch_scc1 .LBB150_79
.LBB150_83:                             ;   Parent Loop BB150_80 Depth=1
                                        ; =>  This Loop Header: Depth=2
                                        ;       Child Loop BB150_84 Depth 3
                                        ;       Child Loop BB150_88 Depth 3
                                        ;         Child Loop BB150_90 Depth 4
                                        ;         Child Loop BB150_96 Depth 4
                                        ;       Child Loop BB150_99 Depth 3
                                        ;         Child Loop BB150_101 Depth 4
	v_mov_b32_e32 v2, 0
	v_mov_b32_e32 v3, v12
	s_mov_b32 s10, s30
.LBB150_84:                             ;   Parent Loop BB150_80 Depth=1
                                        ;     Parent Loop BB150_83 Depth=2
                                        ; =>    This Inner Loop Header: Depth=3
	ds_read_b64 v[4:5], v3
	s_add_i32 s10, s10, -1
	v_add_u32_e32 v3, 0x80, v3
	s_cmp_eq_u32 s10, 0
	s_waitcnt lgkmcnt(0)
	buffer_store_dword v5, v2, s[0:3], 0 offen offset:4
	buffer_store_dword v4, v2, s[0:3], 0 offen
	v_add_u32_e32 v2, 8, v2
	s_cbranch_scc0 .LBB150_84
; %bb.85:                               ;   in Loop: Header=BB150_83 Depth=2
	s_cmp_lt_i32 s14, 1
	s_cbranch_scc1 .LBB150_97
; %bb.86:                               ;   in Loop: Header=BB150_83 Depth=2
	s_mov_b32 s37, 0
	s_mov_b32 s38, s14
	s_branch .LBB150_88
.LBB150_87:                             ;   in Loop: Header=BB150_88 Depth=3
	s_add_i32 s37, s37, 1
	s_add_i32 s38, s38, 16
	s_cmp_ge_i32 s37, s14
	s_cbranch_scc1 .LBB150_97
.LBB150_88:                             ;   Parent Loop BB150_80 Depth=1
                                        ;     Parent Loop BB150_83 Depth=2
                                        ; =>    This Loop Header: Depth=3
                                        ;         Child Loop BB150_90 Depth 4
                                        ;         Child Loop BB150_96 Depth 4
	s_lshl_b32 s10, s37, 4
	s_waitcnt lgkmcnt(0)
	v_or_b32_e32 v2, s10, v0
	v_lshlrev_b32_e32 v2, 3, v2
	ds_read_b64 v[2:3], v2 offset:2048
	s_and_b64 vcc, exec, s[6:7]
	s_cbranch_vccz .LBB150_92
; %bb.89:                               ;   in Loop: Header=BB150_88 Depth=3
	s_add_i32 s10, s10, s14
	s_mov_b32 s11, s10
	s_waitcnt lgkmcnt(0)
	v_mov_b32_e32 v6, v2
	v_mov_b32_e32 v7, v2
	;; [unrolled: 1-line block ×6, first 2 shown]
	s_mov_b32 s12, 1
	s_mov_b32 s13, 0
	;; [unrolled: 1-line block ×3, first 2 shown]
.LBB150_90:                             ;   Parent Loop BB150_80 Depth=1
                                        ;     Parent Loop BB150_83 Depth=2
                                        ;       Parent Loop BB150_88 Depth=3
                                        ; =>      This Inner Loop Header: Depth=4
	buffer_load_dword v14, v5, s[0:3], 0 offen
	buffer_load_dword v16, v5, s[0:3], 0 offen offset:4
	buffer_load_dword v15, v5, s[0:3], 0 offen offset:8
	;; [unrolled: 1-line block ×3, first 2 shown]
	s_add_i32 s40, s11, s12
	s_add_i32 s41, s10, s13
	s_lshl_b32 s41, s41, 3
	s_lshl_b32 s40, s40, 3
	v_mov_b32_e32 v13, s41
	v_mov_b32_e32 v20, s40
	ds_read_b64 v[18:19], v13
	ds_read_b64 v[20:21], v20
	s_add_i32 s13, s13, 2
	s_add_i32 s12, s12, 2
	s_add_i32 s39, s39, -2
	s_waitcnt lgkmcnt(1)
	v_mov_b32_e32 v22, v18
	s_waitcnt lgkmcnt(0)
	v_mov_b32_e32 v23, v20
	v_mov_b32_e32 v20, v19
	v_pk_mul_f32 v[18:19], v[20:21], v[8:9]
	v_pk_mul_f32 v[20:21], v[20:21], v[6:7]
	v_pk_fma_f32 v[18:19], v[22:23], v[6:7], v[18:19] neg_lo:[0,0,1] neg_hi:[0,0,1]
	v_pk_fma_f32 v[20:21], v[22:23], v[8:9], v[20:21]
	s_cmp_lg_u32 s39, 0
	s_waitcnt vmcnt(1)
	v_pk_add_f32 v[14:15], v[14:15], v[18:19] neg_lo:[0,1] neg_hi:[0,1]
	s_waitcnt vmcnt(0)
	v_pk_add_f32 v[16:17], v[16:17], v[20:21] neg_lo:[0,1] neg_hi:[0,1]
	buffer_store_dword v14, v5, s[0:3], 0 offen
	buffer_store_dword v16, v5, s[0:3], 0 offen offset:4
	buffer_store_dword v15, v5, s[0:3], 0 offen offset:8
	buffer_store_dword v17, v5, s[0:3], 0 offen offset:12
	v_add_u32_e32 v5, 16, v5
	s_cbranch_scc1 .LBB150_90
; %bb.91:                               ;   in Loop: Header=BB150_88 Depth=3
	s_mov_b64 s[10:11], s[8:9]
	s_mov_b32 s12, s31
	s_branch .LBB150_94
.LBB150_92:                             ;   in Loop: Header=BB150_88 Depth=3
	s_mov_b64 s[10:11], 0
                                        ; implicit-def: $vgpr4_vgpr5
	s_mov_b32 s12, s31
	s_cbranch_execz .LBB150_94
; %bb.93:                               ;   in Loop: Header=BB150_88 Depth=3
	s_waitcnt lgkmcnt(0)
	v_mov_b32_e32 v4, v3
	s_mov_b64 s[10:11], -1
	s_mov_b32 s12, 0
.LBB150_94:                             ;   in Loop: Header=BB150_88 Depth=3
	s_andn2_b64 vcc, exec, s[10:11]
	s_cbranch_vccnz .LBB150_87
; %bb.95:                               ;   in Loop: Header=BB150_88 Depth=3
	s_sub_i32 s10, s30, s12
	s_add_i32 s11, s12, s38
	s_lshl_b32 s12, s12, 3
	s_waitcnt lgkmcnt(0)
	v_mov_b32_e32 v5, v3
	v_mov_b32_e32 v3, v2
	s_lshl_b32 s11, s11, 3
	v_add_u32_e32 v6, s12, v10
.LBB150_96:                             ;   Parent Loop BB150_80 Depth=1
                                        ;     Parent Loop BB150_83 Depth=2
                                        ;       Parent Loop BB150_88 Depth=3
                                        ; =>      This Inner Loop Header: Depth=4
	buffer_load_dword v8, v6, s[0:3], 0 offen
	buffer_load_dword v9, v6, s[0:3], 0 offen offset:4
	v_mov_b32_e32 v7, s11
	ds_read_b64 v[14:15], v7
	s_add_i32 s10, s10, -1
	s_add_i32 s11, s11, 8
	s_cmp_eq_u32 s10, 0
	s_waitcnt lgkmcnt(0)
	v_pk_mul_f32 v[16:17], v[14:15], v[4:5]
	v_pk_fma_f32 v[18:19], v[14:15], v[2:3], v[16:17] op_sel:[0,0,1] op_sel_hi:[1,1,0] neg_lo:[0,0,1] neg_hi:[0,0,1]
	v_pk_fma_f32 v[14:15], v[14:15], v[2:3], v[16:17] op_sel:[0,0,1] op_sel_hi:[1,1,0]
	v_mov_b32_e32 v19, v15
	s_waitcnt vmcnt(0)
	v_pk_add_f32 v[8:9], v[8:9], v[18:19] neg_lo:[0,1] neg_hi:[0,1]
	buffer_store_dword v8, v6, s[0:3], 0 offen
	buffer_store_dword v9, v6, s[0:3], 0 offen offset:4
	v_add_u32_e32 v6, 8, v6
	s_cbranch_scc0 .LBB150_96
	s_branch .LBB150_87
.LBB150_97:                             ;   in Loop: Header=BB150_83 Depth=2
	s_mov_b32 s12, 0
	s_mov_b32 s13, s35
	s_branch .LBB150_99
.LBB150_98:                             ;   in Loop: Header=BB150_99 Depth=3
	s_mul_i32 s10, s37, 0x88
	v_mov_b32_e32 v4, s10
	ds_read_b64 v[4:5], v4
	s_lshl_b32 s10, s12, 3
	s_add_i32 s12, s12, 1
	s_add_i32 s13, s13, 8
	v_add_u32_e32 v8, s10, v10
	s_waitcnt vmcnt(0) lgkmcnt(0)
	v_mul_f32_e32 v6, v5, v3
	v_mul_f32_e32 v7, v4, v3
	v_fma_f32 v6, v4, v2, -v6
	v_fmac_f32_e32 v7, v5, v2
	v_lshl_or_b32 v2, s37, 7, v11
	s_cmp_eq_u32 s12, s30
	buffer_store_dword v6, v8, s[0:3], 0 offen
	buffer_store_dword v7, v8, s[0:3], 0 offen offset:4
	ds_write_b64 v2, v[6:7] offset:2048
	s_cbranch_scc1 .LBB150_82
.LBB150_99:                             ;   Parent Loop BB150_80 Depth=1
                                        ;     Parent Loop BB150_83 Depth=2
                                        ; =>    This Loop Header: Depth=3
                                        ;         Child Loop BB150_101 Depth 4
	s_cmp_lg_u32 s12, 0
	s_cbranch_scc0 .LBB150_103
; %bb.100:                              ;   in Loop: Header=BB150_99 Depth=3
	s_lshl_b32 s10, s12, 3
	v_add_u32_e32 v4, s10, v10
	s_waitcnt lgkmcnt(0)
	buffer_load_dword v2, v4, s[0:3], 0 offen
	buffer_load_dword v3, v4, s[0:3], 0 offen offset:4
	v_mov_b32_e32 v5, 0
	s_mov_b32 s10, 0
	s_mov_b32 s11, s13
.LBB150_101:                            ;   Parent Loop BB150_80 Depth=1
                                        ;     Parent Loop BB150_83 Depth=2
                                        ;       Parent Loop BB150_99 Depth=3
                                        ; =>      This Inner Loop Header: Depth=4
	buffer_load_dword v7, v5, s[0:3], 0 offen offset:4
	buffer_load_dword v6, v5, s[0:3], 0 offen
	v_mov_b32_e32 v8, s11
	ds_read_b64 v[8:9], v8
	s_add_i32 s10, s10, 1
	s_addk_i32 s11, 0x80
	v_add_u32_e32 v5, 8, v5
	s_cmp_ge_u32 s10, s12
	s_waitcnt vmcnt(1)
	v_mov_b32_e32 v14, v7
	s_waitcnt lgkmcnt(0)
	v_pk_mul_f32 v[14:15], v[8:9], v[14:15] op_sel_hi:[1,0]
	s_waitcnt vmcnt(0)
	v_pk_fma_f32 v[16:17], v[8:9], v[6:7], v[14:15] op_sel:[0,0,1] op_sel_hi:[1,1,0] neg_lo:[0,0,1] neg_hi:[0,0,1]
	v_pk_fma_f32 v[6:7], v[8:9], v[6:7], v[14:15] op_sel:[0,0,1] op_sel_hi:[1,0,0]
	v_mov_b32_e32 v17, v7
	v_pk_add_f32 v[2:3], v[2:3], v[16:17] neg_lo:[0,1] neg_hi:[0,1]
	buffer_store_dword v2, v4, s[0:3], 0 offen
	buffer_store_dword v3, v4, s[0:3], 0 offen offset:4
	s_cbranch_scc0 .LBB150_101
; %bb.102:                              ;   in Loop: Header=BB150_99 Depth=3
	s_add_i32 s37, s12, s14
	s_branch .LBB150_98
.LBB150_103:                            ;   in Loop: Header=BB150_99 Depth=3
                                        ; implicit-def: $vgpr2
                                        ; implicit-def: $sgpr37
	s_cbranch_execz .LBB150_98
; %bb.104:                              ;   in Loop: Header=BB150_99 Depth=3
	s_waitcnt lgkmcnt(0)
	buffer_load_dword v2, off, s[0:3], 0
	buffer_load_dword v3, off, s[0:3], 0 offset:4
	s_mov_b32 s37, s14
	s_branch .LBB150_98
.LBB150_105:
	s_waitcnt lgkmcnt(0)
	; wave barrier
	s_waitcnt lgkmcnt(0)
	s_and_saveexec_b64 s[4:5], s[28:29]
	s_cbranch_execz .LBB150_112
; %bb.106:
	s_cmp_lt_i32 s22, 8
	s_mov_b32 s4, 0
	s_cbranch_scc1 .LBB150_109
; %bb.107:
	v_mad_i64_i32 v[2:3], s[4:5], s21, v0, 0
	v_lshlrev_b64 v[2:3], 3, v[2:3]
	v_mov_b32_e32 v4, s54
	v_add_co_u32_e32 v1, vcc, s23, v2
	v_addc_co_u32_e32 v2, vcc, v4, v3, vcc
	v_mov_b32_e32 v3, 0x800
	s_lshl_b32 s4, s33, 3
	v_lshl_or_b32 v3, v0, 3, v3
	s_and_b32 s5, s4, 0xc0
	s_mov_b32 s4, 0
	s_mov_b64 s[6:7], 0
.LBB150_108:                            ; =>This Inner Loop Header: Depth=1
	ds_read2_b64 v[4:7], v3 offset1:16
	ds_read2_b64 v[8:11], v3 offset0:32 offset1:48
	ds_read2_b64 v[12:15], v3 offset0:64 offset1:80
	;; [unrolled: 1-line block ×3, first 2 shown]
	s_add_i32 s4, s4, 8
	v_add_co_u32_e32 v20, vcc, s6, v1
	s_add_u32 s6, s6, 64
	v_mov_b32_e32 v21, s7
	s_addc_u32 s7, s7, 0
	v_add_u32_e32 v3, 0x400, v3
	v_addc_co_u32_e32 v21, vcc, v2, v21, vcc
	s_cmp_lg_u32 s5, s6
	s_waitcnt lgkmcnt(3)
	global_store_dwordx4 v[20:21], v[4:7], off
	s_waitcnt lgkmcnt(2)
	global_store_dwordx4 v[20:21], v[8:11], off offset:16
	s_waitcnt lgkmcnt(1)
	global_store_dwordx4 v[20:21], v[12:15], off offset:32
	;; [unrolled: 2-line block ×3, first 2 shown]
	s_cbranch_scc1 .LBB150_108
.LBB150_109:
	s_and_b32 s6, s33, 7
	s_cmp_eq_u32 s6, 0
	s_mov_b32 s5, 0
	s_cbranch_scc1 .LBB150_112
; %bb.110:
	s_lshl_b64 s[8:9], s[26:27], 3
	v_lshlrev_b32_e32 v2, 3, v0
	v_mov_b32_e32 v0, s9
	v_add_co_u32_e32 v3, vcc, s8, v2
	s_lshl_b64 s[8:9], s[4:5], 3
	s_add_u32 s5, s18, s8
	s_addc_u32 s7, s19, s9
	s_add_u32 s5, s5, s24
	s_addc_u32 s7, s7, s25
	;; [unrolled: 2-line block ×3, first 2 shown]
	v_addc_co_u32_e32 v4, vcc, 0, v0, vcc
	v_pk_mov_b32 v[0:1], s[8:9], s[8:9] op_sel:[0,1]
	v_mad_u64_u32 v[0:1], s[8:9], v3, s21, v[0:1]
	v_mul_lo_u32 v3, v3, s52
	v_mul_lo_u32 v4, v4, s21
	v_lshl_or_b32 v2, s4, 7, v2
	v_add3_u32 v1, v4, v1, v3
	v_add_u32_e32 v2, 0x800, v2
.LBB150_111:                            ; =>This Inner Loop Header: Depth=1
	ds_read_b64 v[4:5], v2
	s_add_i32 s6, s6, -1
	v_add_u32_e32 v2, 0x80, v2
	s_cmp_lg_u32 s6, 0
	s_waitcnt lgkmcnt(0)
	global_store_dwordx2 v[0:1], v[4:5], off
	v_add_co_u32_e32 v0, vcc, 8, v0
	v_addc_co_u32_e32 v1, vcc, 0, v1, vcc
	s_cbranch_scc1 .LBB150_111
.LBB150_112:
	s_endpgm
	.section	.rodata,"a",@progbits
	.p2align	6, 0x0
	.amdhsa_kernel _ZL38rocblas_trsm_small_left_device_sharedBILi16ELi16ELb1E19rocblas_complex_numIfES1_PKS1_PS1_Ev13rocblas_fill_18rocblas_operation_17rocblas_diagonal_iiT3_T4_lilT5_lili
		.amdhsa_group_segment_fixed_size 4096
		.amdhsa_private_segment_fixed_size 144
		.amdhsa_kernarg_size 360
		.amdhsa_user_sgpr_count 8
		.amdhsa_user_sgpr_private_segment_buffer 1
		.amdhsa_user_sgpr_dispatch_ptr 0
		.amdhsa_user_sgpr_queue_ptr 0
		.amdhsa_user_sgpr_kernarg_segment_ptr 1
		.amdhsa_user_sgpr_dispatch_id 0
		.amdhsa_user_sgpr_flat_scratch_init 1
		.amdhsa_user_sgpr_kernarg_preload_length 0
		.amdhsa_user_sgpr_kernarg_preload_offset 0
		.amdhsa_user_sgpr_private_segment_size 0
		.amdhsa_uses_dynamic_stack 0
		.amdhsa_system_sgpr_private_segment_wavefront_offset 1
		.amdhsa_system_sgpr_workgroup_id_x 1
		.amdhsa_system_sgpr_workgroup_id_y 0
		.amdhsa_system_sgpr_workgroup_id_z 1
		.amdhsa_system_sgpr_workgroup_info 0
		.amdhsa_system_vgpr_workitem_id 0
		.amdhsa_next_free_vgpr 44
		.amdhsa_next_free_sgpr 66
		.amdhsa_accum_offset 44
		.amdhsa_reserve_vcc 1
		.amdhsa_reserve_flat_scratch 0
		.amdhsa_float_round_mode_32 0
		.amdhsa_float_round_mode_16_64 0
		.amdhsa_float_denorm_mode_32 3
		.amdhsa_float_denorm_mode_16_64 3
		.amdhsa_dx10_clamp 1
		.amdhsa_ieee_mode 1
		.amdhsa_fp16_overflow 0
		.amdhsa_tg_split 0
		.amdhsa_exception_fp_ieee_invalid_op 0
		.amdhsa_exception_fp_denorm_src 0
		.amdhsa_exception_fp_ieee_div_zero 0
		.amdhsa_exception_fp_ieee_overflow 0
		.amdhsa_exception_fp_ieee_underflow 0
		.amdhsa_exception_fp_ieee_inexact 0
		.amdhsa_exception_int_div_zero 0
	.end_amdhsa_kernel
	.section	.text._ZL38rocblas_trsm_small_left_device_sharedBILi16ELi16ELb1E19rocblas_complex_numIfES1_PKS1_PS1_Ev13rocblas_fill_18rocblas_operation_17rocblas_diagonal_iiT3_T4_lilT5_lili,"axG",@progbits,_ZL38rocblas_trsm_small_left_device_sharedBILi16ELi16ELb1E19rocblas_complex_numIfES1_PKS1_PS1_Ev13rocblas_fill_18rocblas_operation_17rocblas_diagonal_iiT3_T4_lilT5_lili,comdat
.Lfunc_end150:
	.size	_ZL38rocblas_trsm_small_left_device_sharedBILi16ELi16ELb1E19rocblas_complex_numIfES1_PKS1_PS1_Ev13rocblas_fill_18rocblas_operation_17rocblas_diagonal_iiT3_T4_lilT5_lili, .Lfunc_end150-_ZL38rocblas_trsm_small_left_device_sharedBILi16ELi16ELb1E19rocblas_complex_numIfES1_PKS1_PS1_Ev13rocblas_fill_18rocblas_operation_17rocblas_diagonal_iiT3_T4_lilT5_lili
                                        ; -- End function
	.section	.AMDGPU.csdata,"",@progbits
; Kernel info:
; codeLenInByte = 5272
; NumSgprs: 70
; NumVgprs: 44
; NumAgprs: 0
; TotalNumVgprs: 44
; ScratchSize: 144
; MemoryBound: 0
; FloatMode: 240
; IeeeMode: 1
; LDSByteSize: 4096 bytes/workgroup (compile time only)
; SGPRBlocks: 8
; VGPRBlocks: 5
; NumSGPRsForWavesPerEU: 70
; NumVGPRsForWavesPerEU: 44
; AccumOffset: 44
; Occupancy: 4
; WaveLimiterHint : 0
; COMPUTE_PGM_RSRC2:SCRATCH_EN: 1
; COMPUTE_PGM_RSRC2:USER_SGPR: 8
; COMPUTE_PGM_RSRC2:TRAP_HANDLER: 0
; COMPUTE_PGM_RSRC2:TGID_X_EN: 1
; COMPUTE_PGM_RSRC2:TGID_Y_EN: 0
; COMPUTE_PGM_RSRC2:TGID_Z_EN: 1
; COMPUTE_PGM_RSRC2:TIDIG_COMP_CNT: 0
; COMPUTE_PGM_RSRC3_GFX90A:ACCUM_OFFSET: 10
; COMPUTE_PGM_RSRC3_GFX90A:TG_SPLIT: 0
	.section	.text._ZL30rocblas_trsm_small_left_deviceILi16ELi16ELb1E19rocblas_complex_numIfES1_PKS1_PS1_Ev13rocblas_fill_18rocblas_operation_17rocblas_diagonal_iiT3_T4_lilT5_lili,"axG",@progbits,_ZL30rocblas_trsm_small_left_deviceILi16ELi16ELb1E19rocblas_complex_numIfES1_PKS1_PS1_Ev13rocblas_fill_18rocblas_operation_17rocblas_diagonal_iiT3_T4_lilT5_lili,comdat
	.globl	_ZL30rocblas_trsm_small_left_deviceILi16ELi16ELb1E19rocblas_complex_numIfES1_PKS1_PS1_Ev13rocblas_fill_18rocblas_operation_17rocblas_diagonal_iiT3_T4_lilT5_lili ; -- Begin function _ZL30rocblas_trsm_small_left_deviceILi16ELi16ELb1E19rocblas_complex_numIfES1_PKS1_PS1_Ev13rocblas_fill_18rocblas_operation_17rocblas_diagonal_iiT3_T4_lilT5_lili
	.p2align	8
	.type	_ZL30rocblas_trsm_small_left_deviceILi16ELi16ELb1E19rocblas_complex_numIfES1_PKS1_PS1_Ev13rocblas_fill_18rocblas_operation_17rocblas_diagonal_iiT3_T4_lilT5_lili,@function
_ZL30rocblas_trsm_small_left_deviceILi16ELi16ELb1E19rocblas_complex_numIfES1_PKS1_PS1_Ev13rocblas_fill_18rocblas_operation_17rocblas_diagonal_iiT3_T4_lilT5_lili: ; @_ZL30rocblas_trsm_small_left_deviceILi16ELi16ELb1E19rocblas_complex_numIfES1_PKS1_PS1_Ev13rocblas_fill_18rocblas_operation_17rocblas_diagonal_iiT3_T4_lilT5_lili
; %bb.0:
	s_add_u32 s0, s0, s10
	s_load_dwordx4 s[16:19], s[4:5], 0x4
	s_load_dwordx2 s[24:25], s[4:5], 0x14
	s_load_dwordx4 s[12:15], s[4:5], 0x38
	s_load_dwordx2 s[26:27], s[4:5], 0x48
	s_load_dword s43, s[4:5], 0x68
	s_addc_u32 s1, s1, 0
	s_waitcnt lgkmcnt(0)
	s_min_i32 s33, s18, 16
	s_mov_b32 s44, 0
	s_add_i32 s42, s33, -1
	v_cmp_gt_i32_e32 vcc, s33, v0
	s_and_saveexec_b64 s[28:29], vcc
	s_cbranch_execz .LBB151_35
; %bb.1:
	s_load_dword s30, s[4:5], 0x30
	s_load_dwordx4 s[20:23], s[4:5], 0x20
	s_mul_i32 s6, s9, s13
	s_mul_hi_u32 s7, s9, s12
	s_mul_i32 s12, s9, s12
	s_waitcnt lgkmcnt(0)
	s_ashr_i32 s31, s30, 31
	s_cmpk_lg_i32 s16, 0x71
	s_cselect_b64 s[34:35], -1, 0
	s_add_i32 s13, s7, s6
	v_cndmask_b32_e64 v2, 0, 1, s[34:35]
	s_cmp_lt_u32 s42, 3
	v_lshlrev_b32_e32 v1, 3, v0
	v_cmp_ne_u32_e64 s[6:7], 1, v2
	s_cbranch_scc1 .LBB151_20
; %bb.2:
	s_lshl_b64 s[10:11], s[12:13], 3
	s_add_u32 s18, s20, s10
	s_addc_u32 s36, s21, s11
	s_lshl_b64 s[10:11], s[22:23], 3
	s_add_u32 s10, s18, s10
	s_addc_u32 s11, s36, s11
	v_mov_b32_e32 v3, s11
	v_add_co_u32_e32 v2, vcc, s10, v1
	s_mul_hi_i32 s10, s30, 24
	s_lshl_b64 s[36:37], s[30:31], 5
	s_lshl_b64 s[38:39], s[30:31], 4
	;; [unrolled: 1-line block ×3, first 2 shown]
	v_addc_co_u32_e32 v3, vcc, 0, v3, vcc
	s_and_b32 s44, s33, -4
	s_mul_i32 s18, s30, 24
	s_mov_b32 s45, 0
	v_mov_b32_e32 v8, s41
	v_mov_b32_e32 v9, s39
	;; [unrolled: 1-line block ×5, first 2 shown]
	s_branch .LBB151_4
.LBB151_3:                              ;   in Loop: Header=BB151_4 Depth=1
	global_load_dword v4, v[6:7], off
	s_add_i32 s45, s45, 4
	v_add_co_u32_e32 v2, vcc, s36, v2
	v_addc_co_u32_e32 v3, vcc, v3, v11, vcc
	s_cmp_eq_u32 s44, s45
	s_waitcnt vmcnt(0)
	ds_write_b64 v12, v[4:5] offset:384
	v_add_u32_e32 v12, 0x200, v12
	s_cbranch_scc1 .LBB151_20
.LBB151_4:                              ; =>This Inner Loop Header: Depth=1
	s_and_b64 vcc, exec, s[34:35]
	s_cbranch_vccz .LBB151_6
; %bb.5:                                ;   in Loop: Header=BB151_4 Depth=1
	global_load_dword v5, v[2:3], off offset:4
	s_cbranch_execz .LBB151_7
	s_branch .LBB151_8
.LBB151_6:                              ;   in Loop: Header=BB151_4 Depth=1
                                        ; implicit-def: $vgpr5
.LBB151_7:                              ;   in Loop: Header=BB151_4 Depth=1
	global_load_dword v4, v[2:3], off offset:4
	s_waitcnt vmcnt(0)
	v_xor_b32_e32 v5, 0x80000000, v4
.LBB151_8:                              ;   in Loop: Header=BB151_4 Depth=1
	global_load_dword v4, v[2:3], off
	v_add_co_u32_e64 v6, s[10:11], s40, v2
	s_and_b64 vcc, exec, s[6:7]
	v_addc_co_u32_e64 v7, s[10:11], v3, v8, s[10:11]
	s_waitcnt vmcnt(0)
	ds_write_b64 v12, v[4:5]
	s_cbranch_vccnz .LBB151_10
; %bb.9:                                ;   in Loop: Header=BB151_4 Depth=1
	global_load_dword v5, v[6:7], off offset:4
	s_cbranch_execz .LBB151_11
	s_branch .LBB151_12
.LBB151_10:                             ;   in Loop: Header=BB151_4 Depth=1
                                        ; implicit-def: $vgpr5
.LBB151_11:                             ;   in Loop: Header=BB151_4 Depth=1
	global_load_dword v4, v[6:7], off offset:4
	s_waitcnt vmcnt(0)
	v_xor_b32_e32 v5, 0x80000000, v4
.LBB151_12:                             ;   in Loop: Header=BB151_4 Depth=1
	global_load_dword v4, v[6:7], off
	v_add_co_u32_e64 v6, s[10:11], s38, v2
	s_and_b64 vcc, exec, s[6:7]
	v_addc_co_u32_e64 v7, s[10:11], v3, v9, s[10:11]
	s_waitcnt vmcnt(0)
	ds_write_b64 v12, v[4:5] offset:128
	s_cbranch_vccnz .LBB151_14
; %bb.13:                               ;   in Loop: Header=BB151_4 Depth=1
	global_load_dword v5, v[6:7], off offset:4
	s_cbranch_execz .LBB151_15
	s_branch .LBB151_16
.LBB151_14:                             ;   in Loop: Header=BB151_4 Depth=1
                                        ; implicit-def: $vgpr5
.LBB151_15:                             ;   in Loop: Header=BB151_4 Depth=1
	global_load_dword v4, v[6:7], off offset:4
	s_waitcnt vmcnt(0)
	v_xor_b32_e32 v5, 0x80000000, v4
.LBB151_16:                             ;   in Loop: Header=BB151_4 Depth=1
	global_load_dword v4, v[6:7], off
	v_add_co_u32_e64 v6, s[10:11], s18, v2
	s_and_b64 vcc, exec, s[6:7]
	v_addc_co_u32_e64 v7, s[10:11], v3, v10, s[10:11]
	s_waitcnt vmcnt(0)
	ds_write_b64 v12, v[4:5] offset:256
	s_cbranch_vccnz .LBB151_18
; %bb.17:                               ;   in Loop: Header=BB151_4 Depth=1
	global_load_dword v5, v[6:7], off offset:4
	s_cbranch_execnz .LBB151_3
	s_branch .LBB151_19
.LBB151_18:                             ;   in Loop: Header=BB151_4 Depth=1
                                        ; implicit-def: $vgpr5
.LBB151_19:                             ;   in Loop: Header=BB151_4 Depth=1
	global_load_dword v4, v[6:7], off offset:4
	s_waitcnt vmcnt(0)
	v_xor_b32_e32 v5, 0x80000000, v4
	s_branch .LBB151_3
.LBB151_20:
	s_and_b32 s18, s33, 3
	s_cmp_eq_u32 s18, 0
	s_cbranch_scc1 .LBB151_27
; %bb.21:
	s_lshl_b64 s[10:11], s[12:13], 3
	s_mul_i32 s12, s31, s44
	s_mul_hi_u32 s13, s30, s44
	s_add_i32 s13, s13, s12
	s_mul_i32 s12, s30, s44
	s_lshl_b64 s[12:13], s[12:13], 3
	s_add_u32 s12, s10, s12
	s_addc_u32 s13, s11, s13
	s_lshl_b64 s[10:11], s[22:23], 3
	s_add_u32 s10, s12, s10
	s_addc_u32 s11, s13, s11
	s_add_u32 s10, s20, s10
	s_addc_u32 s11, s21, s11
	v_lshl_or_b32 v6, s44, 7, v1
	v_mov_b32_e32 v2, s11
	v_add_co_u32_e32 v1, vcc, s10, v1
	v_addc_co_u32_e32 v3, vcc, 0, v2, vcc
	v_add_co_u32_e32 v2, vcc, 4, v1
	s_lshl_b64 s[10:11], s[30:31], 3
	v_addc_co_u32_e32 v3, vcc, 0, v3, vcc
	v_mov_b32_e32 v1, s11
	s_branch .LBB151_23
.LBB151_22:                             ;   in Loop: Header=BB151_23 Depth=1
	global_load_dword v4, v[2:3], off offset:-4
	s_add_i32 s18, s18, -1
	v_add_co_u32_e32 v2, vcc, s10, v2
	s_cmp_lg_u32 s18, 0
	v_addc_co_u32_e32 v3, vcc, v3, v1, vcc
	s_waitcnt vmcnt(0)
	ds_write_b64 v6, v[4:5]
	v_add_u32_e32 v6, 0x80, v6
	s_cbranch_scc0 .LBB151_27
.LBB151_23:                             ; =>This Inner Loop Header: Depth=1
	s_and_b64 vcc, exec, s[6:7]
	s_cbranch_vccnz .LBB151_25
; %bb.24:                               ;   in Loop: Header=BB151_23 Depth=1
	global_load_dword v5, v[2:3], off
	s_cbranch_execnz .LBB151_22
	s_branch .LBB151_26
.LBB151_25:                             ;   in Loop: Header=BB151_23 Depth=1
                                        ; implicit-def: $vgpr5
.LBB151_26:                             ;   in Loop: Header=BB151_23 Depth=1
	global_load_dword v4, v[2:3], off
	s_waitcnt vmcnt(0)
	v_xor_b32_e32 v5, 0x80000000, v4
	s_branch .LBB151_22
.LBB151_27:
	v_mul_u32_u24_e32 v1, 17, v0
	s_cmpk_lg_i32 s17, 0x84
	v_lshlrev_b32_e32 v1, 3, v1
	s_mov_b64 s[6:7], -1
	s_cbranch_scc0 .LBB151_33
; %bb.28:
	ds_read_b64 v[2:3], v1
	s_mov_b32 s6, 0
	s_waitcnt lgkmcnt(0)
	v_cmp_gt_f32_e32 vcc, 0, v3
	v_cndmask_b32_e64 v4, v3, -v3, vcc
	v_cmp_gt_f32_e32 vcc, 0, v2
	v_cndmask_b32_e64 v5, v2, -v2, vcc
	v_cmp_ngt_f32_e32 vcc, v5, v4
                                        ; implicit-def: $vgpr4_vgpr5
	s_and_saveexec_b64 s[10:11], vcc
	s_xor_b64 s[10:11], exec, s[10:11]
	s_cbranch_execz .LBB151_30
; %bb.29:
	v_div_scale_f32 v4, s[12:13], v3, v3, v2
	v_rcp_f32_e32 v5, v4
	v_div_scale_f32 v6, vcc, v2, v3, v2
	s_mov_b32 s7, -1.0
	v_fma_f32 v7, -v4, v5, 1.0
	v_fmac_f32_e32 v5, v7, v5
	v_mul_f32_e32 v7, v6, v5
	v_fma_f32 v8, -v4, v7, v6
	v_fmac_f32_e32 v7, v8, v5
	v_fma_f32 v4, -v4, v7, v6
	v_div_fmas_f32 v4, v4, v5, v7
	v_div_fixup_f32 v4, v4, v3, v2
	v_fmac_f32_e32 v3, v2, v4
	v_div_scale_f32 v2, s[12:13], v3, v3, 1.0
	v_rcp_f32_e32 v5, v2
	v_fma_f32 v6, -v2, v5, 1.0
	v_fmac_f32_e32 v5, v6, v5
	v_div_scale_f32 v6, vcc, 1.0, v3, 1.0
	v_mul_f32_e32 v7, v6, v5
	v_fma_f32 v8, -v2, v7, v6
	v_fmac_f32_e32 v7, v8, v5
	v_fma_f32 v2, -v2, v7, v6
	v_div_fmas_f32 v2, v2, v5, v7
	v_mul_f32_e32 v5, 0, v4
	v_div_fixup_f32 v2, v2, v3, 1.0
	v_pk_add_f32 v[4:5], v[4:5], s[6:7]
	v_pk_mul_f32 v[4:5], v[4:5], v[2:3] op_sel_hi:[1,0]
                                        ; implicit-def: $vgpr2_vgpr3
.LBB151_30:
	s_andn2_saveexec_b64 s[6:7], s[10:11]
	s_cbranch_execz .LBB151_32
; %bb.31:
	v_div_scale_f32 v4, s[10:11], v2, v2, v3
	v_rcp_f32_e32 v5, v4
	v_div_scale_f32 v6, vcc, v3, v2, v3
	v_fma_f32 v7, -v4, v5, 1.0
	v_fmac_f32_e32 v5, v7, v5
	v_mul_f32_e32 v7, v6, v5
	v_fma_f32 v8, -v4, v7, v6
	v_fmac_f32_e32 v7, v8, v5
	v_fma_f32 v4, -v4, v7, v6
	v_div_fmas_f32 v4, v4, v5, v7
	v_div_fixup_f32 v5, v4, v2, v3
	v_fmac_f32_e32 v2, v3, v5
	v_div_scale_f32 v3, s[10:11], v2, v2, 1.0
	v_rcp_f32_e32 v4, v3
	s_mov_b32 s10, 1.0
	s_mov_b32 s11, 0
	v_fma_f32 v6, -v3, v4, 1.0
	v_fmac_f32_e32 v4, v6, v4
	v_div_scale_f32 v6, vcc, 1.0, v2, 1.0
	v_mul_f32_e32 v7, v6, v4
	v_fma_f32 v8, -v3, v7, v6
	v_fmac_f32_e32 v7, v8, v4
	v_fma_f32 v3, -v3, v7, v6
	v_div_fmas_f32 v3, v3, v4, v7
	v_mul_f32_e32 v4, 0, v5
	v_pk_add_f32 v[6:7], v[4:5], s[10:11]
	v_pk_add_f32 v[4:5], v[4:5], s[10:11] neg_lo:[1,0] neg_hi:[1,0]
	v_div_fixup_f32 v2, v3, v2, 1.0
	v_mov_b32_e32 v7, v5
	v_pk_mul_f32 v[4:5], v[6:7], v[2:3] op_sel_hi:[1,0]
.LBB151_32:
	s_or_b64 exec, exec, s[6:7]
	s_mov_b64 s[6:7], 0
	ds_write_b64 v1, v[4:5]
.LBB151_33:
	s_and_b64 vcc, exec, s[6:7]
	s_cbranch_vccz .LBB151_35
; %bb.34:
	v_mov_b32_e32 v2, 1.0
	v_mov_b32_e32 v3, 0
	ds_write_b64 v1, v[2:3]
.LBB151_35:
	s_or_b64 exec, exec, s[28:29]
	s_lshl_b32 s10, s8, 4
	s_add_i32 s43, s43, -1
	s_sub_i32 s6, s19, s10
	s_cmp_ge_u32 s8, s43
	s_cselect_b32 s6, s6, 16
	v_cmp_gt_i32_e32 vcc, s6, v0
	s_waitcnt lgkmcnt(0)
	; wave barrier
	s_waitcnt lgkmcnt(0)
	s_and_saveexec_b64 s[6:7], vcc
	s_cbranch_execz .LBB151_103
; %bb.36:
	s_load_dwordx2 s[6:7], s[4:5], 0x58
	s_load_dword s11, s[4:5], 0x50
	v_add_u32_e32 v0, s10, v0
	s_waitcnt lgkmcnt(0)
	s_mul_i32 s5, s9, s7
	s_mul_hi_u32 s7, s9, s6
	s_mul_i32 s4, s9, s6
	s_add_i32 s5, s7, s5
	s_lshl_b64 s[6:7], s[4:5], 3
	s_add_u32 s4, s14, s6
	s_addc_u32 s5, s15, s7
	s_lshl_b64 s[8:9], s[26:27], 3
	s_add_u32 s12, s4, s8
	s_addc_u32 s13, s5, s9
	v_mad_i64_i32 v[0:1], s[4:5], s11, v0, 0
	v_lshlrev_b64 v[0:1], 3, v[0:1]
	v_mov_b32_e32 v2, s13
	v_add_co_u32_e32 v10, vcc, s12, v0
	v_addc_co_u32_e32 v11, vcc, v2, v1, vcc
	s_cmpk_eq_i32 s16, 0x6f
	s_mov_b64 s[4:5], -1
	s_cbranch_scc1 .LBB151_70
; %bb.37:
	s_add_u32 s4, s14, s8
	s_addc_u32 s5, s15, s9
	s_add_u32 s4, s4, s6
	s_addc_u32 s5, s5, s7
	v_mov_b32_e32 v2, s5
	v_add_co_u32_e32 v3, vcc, s4, v0
	v_addc_co_u32_e32 v2, vcc, v2, v1, vcc
	v_add_co_u32_e32 v12, vcc, 4, v3
	s_lshl_b32 s34, s33, 3
	s_mov_b32 s17, 0
	s_mov_b32 s10, s24
	;; [unrolled: 1-line block ×5, first 2 shown]
	v_addc_co_u32_e32 v13, vcc, 0, v2, vcc
	s_add_i32 s34, s34, -8
	v_mov_b32_e32 v14, 0
	s_mov_b32 s18, s17
	s_mov_b32 s20, s42
	s_branch .LBB151_39
.LBB151_38:                             ;   in Loop: Header=BB151_39 Depth=1
	s_cmp_lt_i32 s20, 0
	s_cselect_b64 s[4:5], -1, 0
	s_add_i32 s18, s18, 1
	s_cmp_eq_u32 s18, 3
	s_cselect_b64 s[22:23], -1, 0
	s_or_b64 s[4:5], s[4:5], s[22:23]
	s_andn2_b64 vcc, exec, s[4:5]
	s_cbranch_vccz .LBB151_69
.LBB151_39:                             ; =>This Loop Header: Depth=1
                                        ;     Child Loop BB151_42 Depth 2
                                        ;       Child Loop BB151_44 Depth 3
                                        ;       Child Loop BB151_48 Depth 3
	;; [unrolled: 1-line block ×3, first 2 shown]
                                        ;         Child Loop BB151_54 Depth 4
                                        ;         Child Loop BB151_60 Depth 4
                                        ;       Child Loop BB151_63 Depth 3
                                        ;         Child Loop BB151_65 Depth 4
	s_mov_b32 s19, s17
	s_lshl_b64 s[4:5], s[18:19], 2
	s_getpc_b64 s[22:23]
	s_add_u32 s22, s22, __const._ZL30rocblas_trsm_small_left_deviceILi16ELi16ELb1E19rocblas_complex_numIfES1_PKS1_PS1_Ev13rocblas_fill_18rocblas_operation_17rocblas_diagonal_iiT3_T4_lilT5_lili.step_sizes@rel32@lo+4
	s_addc_u32 s23, s23, __const._ZL30rocblas_trsm_small_left_deviceILi16ELi16ELb1E19rocblas_complex_numIfES1_PKS1_PS1_Ev13rocblas_fill_18rocblas_operation_17rocblas_diagonal_iiT3_T4_lilT5_lili.step_sizes@rel32@hi+12
	s_add_u32 s4, s4, s22
	s_addc_u32 s5, s5, s23
	s_load_dword s19, s[4:5], 0x0
	s_waitcnt lgkmcnt(0)
	s_add_i32 s35, s19, -1
	s_cmp_lt_i32 s20, s35
	s_cbranch_scc1 .LBB151_38
; %bb.40:                               ;   in Loop: Header=BB151_39 Depth=1
	s_max_i32 s36, s19, 1
	s_cmp_lg_u32 s18, 2
	s_cselect_b64 s[22:23], -1, 0
	s_and_b32 s37, s36, 0x7ffffffe
	s_cmp_lg_u32 s36, s37
	s_cselect_b64 s[26:27], -1, 0
	s_lshl_b32 s4, s20, 7
	s_add_i32 s38, s34, s4
	s_lshl_b32 s4, s19, 7
	s_sub_i32 s39, 0, s4
	s_mul_i32 s40, s20, 0x88
	s_mul_i32 s41, s19, 0xffffff78
	s_branch .LBB151_42
.LBB151_41:                             ;   in Loop: Header=BB151_42 Depth=2
	s_sub_i32 s20, s20, s19
	s_add_i32 s38, s38, s39
	s_add_i32 s40, s40, s41
	s_cmp_lt_i32 s20, s35
	s_cbranch_scc1 .LBB151_38
.LBB151_42:                             ;   Parent Loop BB151_39 Depth=1
                                        ; =>  This Loop Header: Depth=2
                                        ;       Child Loop BB151_44 Depth 3
                                        ;       Child Loop BB151_48 Depth 3
	;; [unrolled: 1-line block ×3, first 2 shown]
                                        ;         Child Loop BB151_54 Depth 4
                                        ;         Child Loop BB151_60 Depth 4
                                        ;       Child Loop BB151_63 Depth 3
                                        ;         Child Loop BB151_65 Depth 4
	s_and_b64 vcc, exec, s[22:23]
	s_cbranch_vccz .LBB151_46
; %bb.43:                               ;   in Loop: Header=BB151_42 Depth=2
	v_mov_b32_e32 v2, 0
	s_mov_b32 s21, s20
	s_mov_b32 s28, 1
	;; [unrolled: 1-line block ×4, first 2 shown]
.LBB151_44:                             ;   Parent Loop BB151_39 Depth=1
                                        ;     Parent Loop BB151_42 Depth=2
                                        ; =>    This Inner Loop Header: Depth=3
	s_sub_i32 s4, s20, s29
	s_sub_i32 s44, s21, s28
	s_ashr_i32 s5, s4, 31
	s_ashr_i32 s45, s44, 31
	s_lshl_b64 s[4:5], s[4:5], 3
	s_lshl_b64 s[44:45], s[44:45], 3
	v_mov_b32_e32 v3, s5
	v_add_co_u32_e64 v6, s[4:5], s4, v10
	v_mov_b32_e32 v5, s45
	v_add_co_u32_e32 v4, vcc, s44, v10
	v_addc_co_u32_e64 v7, s[4:5], v11, v3, s[4:5]
	v_addc_co_u32_e32 v5, vcc, v11, v5, vcc
	global_load_dwordx2 v[8:9], v[6:7], off
	global_load_dwordx2 v[16:17], v[4:5], off
	s_add_i32 s29, s29, 2
	s_add_i32 s28, s28, 2
	s_add_i32 s30, s30, -2
	s_mov_b32 s16, s37
	s_mov_b64 s[4:5], s[26:27]
	s_cmp_lg_u32 s30, 0
	s_waitcnt vmcnt(1)
	v_mov_b32_e32 v4, v8
	s_waitcnt vmcnt(0)
	v_mov_b32_e32 v5, v16
	v_mov_b32_e32 v16, v9
	v_pk_mul_f32 v[6:7], v[16:17], s[12:13]
	v_pk_mul_f32 v[8:9], v[16:17], s[10:11]
	v_pk_fma_f32 v[6:7], v[4:5], s[10:11], v[6:7] neg_lo:[0,0,1] neg_hi:[0,0,1]
	v_pk_fma_f32 v[4:5], v[4:5], s[12:13], v[8:9]
	buffer_store_dword v4, v2, s[0:3], 0 offen offset:4
	buffer_store_dword v6, v2, s[0:3], 0 offen
	buffer_store_dword v5, v2, s[0:3], 0 offen offset:12
	buffer_store_dword v7, v2, s[0:3], 0 offen offset:8
	v_add_u32_e32 v2, 16, v2
	s_cbranch_scc1 .LBB151_44
; %bb.45:                               ;   in Loop: Header=BB151_42 Depth=2
	s_ashr_i32 s21, s20, 31
	s_and_b64 vcc, exec, s[4:5]
	s_cbranch_vccnz .LBB151_47
	s_branch .LBB151_49
.LBB151_46:                             ;   in Loop: Header=BB151_42 Depth=2
	s_mov_b32 s16, 0
	s_ashr_i32 s21, s20, 31
	s_cbranch_execz .LBB151_49
.LBB151_47:                             ;   in Loop: Header=BB151_42 Depth=2
	s_lshl_b64 s[28:29], s[20:21], 3
	s_sub_i32 s4, s36, s16
	s_lshl_b64 s[30:31], s[16:17], 3
	s_sub_u32 s5, s28, s30
	s_subb_u32 s28, s29, s31
	v_mov_b32_e32 v3, s28
	v_add_co_u32_e32 v2, vcc, s5, v12
	s_lshl_b32 s5, s16, 3
	v_addc_co_u32_e32 v3, vcc, v13, v3, vcc
	v_add_u32_e32 v4, s5, v14
.LBB151_48:                             ;   Parent Loop BB151_39 Depth=1
                                        ;     Parent Loop BB151_42 Depth=2
                                        ; =>    This Inner Loop Header: Depth=3
	global_load_dwordx2 v[6:7], v[2:3], off offset:-4
	s_add_i32 s4, s4, -1
	v_add_co_u32_e32 v2, vcc, -8, v2
	v_addc_co_u32_e32 v3, vcc, -1, v3, vcc
	s_cmp_eq_u32 s4, 0
	s_waitcnt vmcnt(0)
	v_mul_f32_e32 v5, s25, v7
	v_mul_f32_e32 v7, s24, v7
	v_fma_f32 v5, v6, s24, -v5
	v_fmac_f32_e32 v7, s25, v6
	buffer_store_dword v5, v4, s[0:3], 0 offen
	buffer_store_dword v7, v4, s[0:3], 0 offen offset:4
	v_add_u32_e32 v4, 8, v4
	s_cbranch_scc0 .LBB151_48
.LBB151_49:                             ;   in Loop: Header=BB151_42 Depth=2
	s_cmp_le_i32 s42, s20
	s_cbranch_scc1 .LBB151_61
; %bb.50:                               ;   in Loop: Header=BB151_42 Depth=2
	s_mov_b32 s16, s20
	s_mov_b32 s43, s20
	;; [unrolled: 1-line block ×4, first 2 shown]
	s_branch .LBB151_52
.LBB151_51:                             ;   in Loop: Header=BB151_52 Depth=3
	s_add_i32 s4, s4, -1
	s_add_i32 s44, s44, -8
	s_cmp_le_i32 s4, s20
	s_cbranch_scc1 .LBB151_61
.LBB151_52:                             ;   Parent Loop BB151_39 Depth=1
                                        ;     Parent Loop BB151_42 Depth=2
                                        ; =>    This Loop Header: Depth=3
                                        ;         Child Loop BB151_54 Depth 4
                                        ;         Child Loop BB151_60 Depth 4
	s_ashr_i32 s5, s4, 31
	s_lshl_b64 s[28:29], s[4:5], 3
	s_waitcnt vmcnt(0)
	v_mov_b32_e32 v3, s29
	v_add_co_u32_e32 v2, vcc, s28, v10
	v_addc_co_u32_e32 v3, vcc, v11, v3, vcc
	global_load_dwordx2 v[2:3], v[2:3], off
	s_and_b64 vcc, exec, s[22:23]
	s_cbranch_vccz .LBB151_56
; %bb.53:                               ;   in Loop: Header=BB151_52 Depth=3
	s_mov_b32 s5, s4
	s_waitcnt vmcnt(0)
	v_mov_b32_e32 v6, v2
	v_mov_b32_e32 v7, v2
	;; [unrolled: 1-line block ×6, first 2 shown]
	s_mov_b32 s28, 1
	s_mov_b32 s29, 0
	;; [unrolled: 1-line block ×3, first 2 shown]
.LBB151_54:                             ;   Parent Loop BB151_39 Depth=1
                                        ;     Parent Loop BB151_42 Depth=2
                                        ;       Parent Loop BB151_52 Depth=3
                                        ; =>      This Inner Loop Header: Depth=4
	buffer_load_dword v16, v5, s[0:3], 0 offen
	buffer_load_dword v18, v5, s[0:3], 0 offen offset:4
	buffer_load_dword v17, v5, s[0:3], 0 offen offset:8
	;; [unrolled: 1-line block ×3, first 2 shown]
	s_sub_i32 s31, s43, s28
	s_sub_i32 s45, s16, s29
	s_lshl_b32 s45, s45, 4
	s_lshl_b32 s31, s31, 4
	s_add_i32 s31, s31, s5
	s_add_i32 s45, s45, s4
	s_lshl_b32 s45, s45, 3
	s_lshl_b32 s31, s31, 3
	v_mov_b32_e32 v15, s45
	v_mov_b32_e32 v22, s31
	ds_read_b64 v[20:21], v15
	ds_read_b64 v[22:23], v22
	s_add_i32 s29, s29, 2
	s_add_i32 s28, s28, 2
	s_add_i32 s30, s30, -2
	s_waitcnt lgkmcnt(1)
	v_mov_b32_e32 v24, v20
	s_waitcnt lgkmcnt(0)
	v_mov_b32_e32 v25, v22
	v_mov_b32_e32 v22, v21
	v_pk_mul_f32 v[20:21], v[22:23], v[8:9]
	v_pk_mul_f32 v[22:23], v[22:23], v[6:7]
	v_pk_fma_f32 v[20:21], v[24:25], v[6:7], v[20:21] neg_lo:[0,0,1] neg_hi:[0,0,1]
	v_pk_fma_f32 v[22:23], v[24:25], v[8:9], v[22:23]
	s_cmp_lg_u32 s30, 0
	s_waitcnt vmcnt(1)
	v_pk_add_f32 v[16:17], v[16:17], v[20:21] neg_lo:[0,1] neg_hi:[0,1]
	s_waitcnt vmcnt(0)
	v_pk_add_f32 v[18:19], v[18:19], v[22:23] neg_lo:[0,1] neg_hi:[0,1]
	buffer_store_dword v16, v5, s[0:3], 0 offen
	buffer_store_dword v18, v5, s[0:3], 0 offen offset:4
	buffer_store_dword v17, v5, s[0:3], 0 offen offset:8
	;; [unrolled: 1-line block ×3, first 2 shown]
	v_add_u32_e32 v5, 16, v5
	s_cbranch_scc1 .LBB151_54
; %bb.55:                               ;   in Loop: Header=BB151_52 Depth=3
	s_mov_b64 s[28:29], s[26:27]
	s_mov_b32 s30, s37
	s_branch .LBB151_58
.LBB151_56:                             ;   in Loop: Header=BB151_52 Depth=3
	s_mov_b64 s[28:29], 0
                                        ; implicit-def: $vgpr4_vgpr5
	s_mov_b32 s30, s37
	s_cbranch_execz .LBB151_58
; %bb.57:                               ;   in Loop: Header=BB151_52 Depth=3
	s_waitcnt vmcnt(0)
	v_mov_b32_e32 v4, v3
	s_mov_b64 s[28:29], -1
	s_mov_b32 s30, 0
.LBB151_58:                             ;   in Loop: Header=BB151_52 Depth=3
	s_andn2_b64 vcc, exec, s[28:29]
	s_cbranch_vccnz .LBB151_51
; %bb.59:                               ;   in Loop: Header=BB151_52 Depth=3
	s_lshl_b32 s28, s30, 7
	s_lshl_b32 s29, s30, 3
	s_waitcnt vmcnt(0)
	v_mov_b32_e32 v5, v3
	v_mov_b32_e32 v3, v2
	s_sub_i32 s5, s36, s30
	s_sub_i32 s28, s44, s28
	v_add_u32_e32 v6, s29, v14
.LBB151_60:                             ;   Parent Loop BB151_39 Depth=1
                                        ;     Parent Loop BB151_42 Depth=2
                                        ;       Parent Loop BB151_52 Depth=3
                                        ; =>      This Inner Loop Header: Depth=4
	buffer_load_dword v8, v6, s[0:3], 0 offen
	buffer_load_dword v9, v6, s[0:3], 0 offen offset:4
	v_mov_b32_e32 v7, s28
	ds_read_b64 v[16:17], v7
	s_add_i32 s5, s5, -1
	s_addk_i32 s28, 0xff80
	s_cmp_eq_u32 s5, 0
	s_waitcnt lgkmcnt(0)
	v_pk_mul_f32 v[18:19], v[16:17], v[4:5]
	v_pk_fma_f32 v[20:21], v[16:17], v[2:3], v[18:19] op_sel:[0,0,1] op_sel_hi:[1,1,0] neg_lo:[0,0,1] neg_hi:[0,0,1]
	v_pk_fma_f32 v[16:17], v[16:17], v[2:3], v[18:19] op_sel:[0,0,1] op_sel_hi:[1,1,0]
	v_mov_b32_e32 v21, v17
	s_waitcnt vmcnt(0)
	v_pk_add_f32 v[8:9], v[8:9], v[20:21] neg_lo:[0,1] neg_hi:[0,1]
	buffer_store_dword v8, v6, s[0:3], 0 offen
	buffer_store_dword v9, v6, s[0:3], 0 offen offset:4
	v_add_u32_e32 v6, 8, v6
	s_cbranch_scc0 .LBB151_60
	s_branch .LBB151_51
.LBB151_61:                             ;   in Loop: Header=BB151_42 Depth=2
	s_mov_b32 s16, 0
	s_mov_b32 s43, s40
	s_branch .LBB151_63
.LBB151_62:                             ;   in Loop: Header=BB151_63 Depth=3
	s_mulk_i32 s28, 0x88
	v_mov_b32_e32 v4, s28
	ds_read_b64 v[4:5], v4
	s_lshl_b64 s[4:5], s[4:5], 3
	s_lshl_b32 s28, s16, 3
	s_add_i32 s16, s16, 1
	s_addk_i32 s43, 0xff80
	s_waitcnt vmcnt(0) lgkmcnt(0)
	v_mul_f32_e32 v6, v5, v3
	v_mul_f32_e32 v7, v4, v3
	v_fma_f32 v6, v4, v2, -v6
	v_fmac_f32_e32 v7, v5, v2
	v_mov_b32_e32 v3, s5
	v_add_co_u32_e32 v2, vcc, s4, v10
	v_add_u32_e32 v8, s28, v14
	v_addc_co_u32_e32 v3, vcc, v11, v3, vcc
	s_cmp_eq_u32 s16, s36
	buffer_store_dword v6, v8, s[0:3], 0 offen
	buffer_store_dword v7, v8, s[0:3], 0 offen offset:4
	global_store_dwordx2 v[2:3], v[6:7], off
	s_cbranch_scc1 .LBB151_41
.LBB151_63:                             ;   Parent Loop BB151_39 Depth=1
                                        ;     Parent Loop BB151_42 Depth=2
                                        ; =>    This Loop Header: Depth=3
                                        ;         Child Loop BB151_65 Depth 4
	s_cmp_lg_u32 s16, 0
	s_cbranch_scc0 .LBB151_67
; %bb.64:                               ;   in Loop: Header=BB151_63 Depth=3
	s_lshl_b32 s4, s16, 3
	v_add_u32_e32 v4, s4, v14
	buffer_load_dword v2, v4, s[0:3], 0 offen
	buffer_load_dword v3, v4, s[0:3], 0 offen offset:4
	v_mov_b32_e32 v5, 0
	s_mov_b32 s4, 0
	s_mov_b32 s5, s43
.LBB151_65:                             ;   Parent Loop BB151_39 Depth=1
                                        ;     Parent Loop BB151_42 Depth=2
                                        ;       Parent Loop BB151_63 Depth=3
                                        ; =>      This Inner Loop Header: Depth=4
	buffer_load_dword v7, v5, s[0:3], 0 offen offset:4
	buffer_load_dword v6, v5, s[0:3], 0 offen
	v_mov_b32_e32 v8, s5
	ds_read_b64 v[8:9], v8
	s_add_i32 s4, s4, 1
	s_add_i32 s5, s5, -8
	v_add_u32_e32 v5, 8, v5
	s_cmp_ge_u32 s4, s16
	s_waitcnt vmcnt(1)
	v_mov_b32_e32 v16, v7
	s_waitcnt lgkmcnt(0)
	v_pk_mul_f32 v[16:17], v[8:9], v[16:17] op_sel_hi:[1,0]
	s_waitcnt vmcnt(0)
	v_pk_fma_f32 v[18:19], v[8:9], v[6:7], v[16:17] op_sel:[0,0,1] op_sel_hi:[1,1,0] neg_lo:[0,0,1] neg_hi:[0,0,1]
	v_pk_fma_f32 v[6:7], v[8:9], v[6:7], v[16:17] op_sel:[0,0,1] op_sel_hi:[1,0,0]
	v_mov_b32_e32 v19, v7
	v_pk_add_f32 v[2:3], v[2:3], v[18:19] neg_lo:[0,1] neg_hi:[0,1]
	buffer_store_dword v2, v4, s[0:3], 0 offen
	buffer_store_dword v3, v4, s[0:3], 0 offen offset:4
	s_cbranch_scc0 .LBB151_65
; %bb.66:                               ;   in Loop: Header=BB151_63 Depth=3
	s_sub_i32 s28, s20, s16
	s_ashr_i32 s29, s28, 31
	s_mov_b64 s[4:5], s[28:29]
	s_branch .LBB151_62
.LBB151_67:                             ;   in Loop: Header=BB151_63 Depth=3
                                        ; implicit-def: $vgpr2
                                        ; implicit-def: $sgpr28
                                        ; implicit-def: $sgpr4_sgpr5
	s_cbranch_execz .LBB151_62
; %bb.68:                               ;   in Loop: Header=BB151_63 Depth=3
	buffer_load_dword v2, off, s[0:3], 0
	buffer_load_dword v3, off, s[0:3], 0 offset:4
	s_mov_b64 s[4:5], s[20:21]
	s_mov_b32 s28, s20
	s_branch .LBB151_62
.LBB151_69:
	s_mov_b64 s[4:5], 0
.LBB151_70:
	s_and_b64 vcc, exec, s[4:5]
	s_cbranch_vccz .LBB151_103
; %bb.71:
	s_add_u32 s4, s14, s8
	s_addc_u32 s5, s15, s9
	s_add_u32 s4, s4, s6
	s_addc_u32 s5, s5, s7
	v_mov_b32_e32 v2, s5
	v_add_co_u32_e32 v0, vcc, s4, v0
	v_addc_co_u32_e32 v1, vcc, v2, v1, vcc
	v_add_co_u32_e32 v8, vcc, 4, v0
	s_mov_b32 s7, 0
	s_mov_b32 s10, s24
	;; [unrolled: 1-line block ×5, first 2 shown]
	v_addc_co_u32_e32 v9, vcc, 0, v1, vcc
	v_mov_b32_e32 v12, 0
	s_mov_b32 s20, s7
	s_mov_b32 s8, s7
	s_branch .LBB151_73
.LBB151_72:                             ;   in Loop: Header=BB151_73 Depth=1
	s_cmp_ge_i32 s20, s33
	s_cselect_b64 s[4:5], -1, 0
	s_add_i32 s8, s8, 1
	s_cmp_eq_u32 s8, 3
	s_cselect_b64 s[14:15], -1, 0
	s_or_b64 s[4:5], s[4:5], s[14:15]
	s_and_b64 vcc, exec, s[4:5]
	s_cbranch_vccnz .LBB151_103
.LBB151_73:                             ; =>This Loop Header: Depth=1
                                        ;     Child Loop BB151_76 Depth 2
                                        ;       Child Loop BB151_78 Depth 3
                                        ;       Child Loop BB151_82 Depth 3
	;; [unrolled: 1-line block ×3, first 2 shown]
                                        ;         Child Loop BB151_88 Depth 4
                                        ;         Child Loop BB151_94 Depth 4
                                        ;       Child Loop BB151_97 Depth 3
                                        ;         Child Loop BB151_99 Depth 4
	s_mov_b32 s9, s7
	s_lshl_b64 s[4:5], s[8:9], 2
	s_getpc_b64 s[14:15]
	s_add_u32 s14, s14, __const._ZL30rocblas_trsm_small_left_deviceILi16ELi16ELb1E19rocblas_complex_numIfES1_PKS1_PS1_Ev13rocblas_fill_18rocblas_operation_17rocblas_diagonal_iiT3_T4_lilT5_lili.step_sizes@rel32@lo+4
	s_addc_u32 s15, s15, __const._ZL30rocblas_trsm_small_left_deviceILi16ELi16ELb1E19rocblas_complex_numIfES1_PKS1_PS1_Ev13rocblas_fill_18rocblas_operation_17rocblas_diagonal_iiT3_T4_lilT5_lili.step_sizes@rel32@hi+12
	s_add_u32 s4, s4, s14
	s_addc_u32 s5, s5, s15
	s_load_dword s9, s[4:5], 0x0
	s_waitcnt lgkmcnt(0)
	s_add_i32 s21, s9, -1
	s_add_i32 s4, s21, s20
	s_cmp_ge_i32 s4, s33
	s_cbranch_scc1 .LBB151_72
; %bb.74:                               ;   in Loop: Header=BB151_73 Depth=1
	s_max_i32 s22, s9, 1
	s_cmp_lg_u32 s8, 2
	s_cselect_b64 s[14:15], -1, 0
	s_and_b32 s23, s22, 0x7ffffffe
	s_cmp_lg_u32 s22, s23
	s_cselect_b64 s[16:17], -1, 0
	s_ashr_i32 s26, s20, 31
	s_ashr_i32 s27, s9, 31
	s_mul_i32 s28, s20, 0x88
	s_mul_i32 s29, s9, 0x88
	s_branch .LBB151_76
.LBB151_75:                             ;   in Loop: Header=BB151_76 Depth=2
	s_add_u32 s20, s20, s9
	s_addc_u32 s26, s26, s27
	s_add_i32 s4, s21, s20
	s_add_i32 s28, s28, s29
	s_cmp_ge_i32 s4, s33
	s_cbranch_scc1 .LBB151_72
.LBB151_76:                             ;   Parent Loop BB151_73 Depth=1
                                        ; =>  This Loop Header: Depth=2
                                        ;       Child Loop BB151_78 Depth 3
                                        ;       Child Loop BB151_82 Depth 3
                                        ;       Child Loop BB151_86 Depth 3
                                        ;         Child Loop BB151_88 Depth 4
                                        ;         Child Loop BB151_94 Depth 4
                                        ;       Child Loop BB151_97 Depth 3
                                        ;         Child Loop BB151_99 Depth 4
	s_and_b64 vcc, exec, s[14:15]
	s_cbranch_vccz .LBB151_80
; %bb.77:                               ;   in Loop: Header=BB151_76 Depth=2
	v_mov_b32_e32 v0, 0
	s_mov_b32 s6, s20
	s_mov_b32 s18, s20
	s_mov_b32 s19, 1
	s_mov_b32 s30, 0
	s_mov_b32 s31, s23
.LBB151_78:                             ;   Parent Loop BB151_73 Depth=1
                                        ;     Parent Loop BB151_76 Depth=2
                                        ; =>    This Inner Loop Header: Depth=3
	s_add_i32 s4, s30, s6
	s_add_i32 s34, s19, s18
	s_ashr_i32 s5, s4, 31
	s_ashr_i32 s35, s34, 31
	s_lshl_b64 s[4:5], s[4:5], 3
	s_lshl_b64 s[34:35], s[34:35], 3
	v_mov_b32_e32 v1, s5
	v_add_co_u32_e64 v4, s[4:5], s4, v10
	v_mov_b32_e32 v3, s35
	v_add_co_u32_e32 v2, vcc, s34, v10
	v_addc_co_u32_e64 v5, s[4:5], v11, v1, s[4:5]
	v_addc_co_u32_e32 v3, vcc, v11, v3, vcc
	global_load_dwordx2 v[6:7], v[4:5], off
	global_load_dwordx2 v[14:15], v[2:3], off
	s_add_i32 s30, s30, 2
	s_add_i32 s19, s19, 2
	s_add_i32 s31, s31, -2
	s_mov_b32 s34, s23
	s_mov_b64 s[4:5], s[16:17]
	s_cmp_lg_u32 s31, 0
	s_waitcnt vmcnt(1)
	v_mov_b32_e32 v2, v6
	s_waitcnt vmcnt(0)
	v_mov_b32_e32 v3, v14
	v_mov_b32_e32 v14, v7
	v_pk_mul_f32 v[4:5], v[14:15], s[12:13]
	v_pk_mul_f32 v[6:7], v[14:15], s[10:11]
	v_pk_fma_f32 v[4:5], v[2:3], s[10:11], v[4:5] neg_lo:[0,0,1] neg_hi:[0,0,1]
	v_pk_fma_f32 v[2:3], v[2:3], s[12:13], v[6:7]
	buffer_store_dword v2, v0, s[0:3], 0 offen offset:4
	buffer_store_dword v4, v0, s[0:3], 0 offen
	buffer_store_dword v3, v0, s[0:3], 0 offen offset:12
	buffer_store_dword v5, v0, s[0:3], 0 offen offset:8
	v_add_u32_e32 v0, 16, v0
	s_cbranch_scc1 .LBB151_78
; %bb.79:                               ;   in Loop: Header=BB151_76 Depth=2
	s_and_b64 vcc, exec, s[4:5]
	s_cbranch_vccnz .LBB151_81
	s_branch .LBB151_83
.LBB151_80:                             ;   in Loop: Header=BB151_76 Depth=2
	s_mov_b32 s34, 0
	s_cbranch_execz .LBB151_83
.LBB151_81:                             ;   in Loop: Header=BB151_76 Depth=2
	s_sub_i32 s4, s22, s34
	s_add_u32 s18, s20, s34
	s_addc_u32 s19, s26, 0
	s_lshl_b64 s[18:19], s[18:19], 3
	v_mov_b32_e32 v1, s19
	v_add_co_u32_e32 v0, vcc, s18, v8
	s_lshl_b32 s5, s34, 3
	v_addc_co_u32_e32 v1, vcc, v9, v1, vcc
	v_add_u32_e32 v2, s5, v12
.LBB151_82:                             ;   Parent Loop BB151_73 Depth=1
                                        ;     Parent Loop BB151_76 Depth=2
                                        ; =>    This Inner Loop Header: Depth=3
	global_load_dwordx2 v[4:5], v[0:1], off offset:-4
	s_add_i32 s4, s4, -1
	v_add_co_u32_e32 v0, vcc, 8, v0
	v_addc_co_u32_e32 v1, vcc, 0, v1, vcc
	s_cmp_eq_u32 s4, 0
	s_waitcnt vmcnt(0)
	v_mul_f32_e32 v3, s25, v5
	v_mul_f32_e32 v5, s24, v5
	v_fma_f32 v3, v4, s24, -v3
	v_fmac_f32_e32 v5, s25, v4
	buffer_store_dword v3, v2, s[0:3], 0 offen
	buffer_store_dword v5, v2, s[0:3], 0 offen offset:4
	v_add_u32_e32 v2, 8, v2
	s_cbranch_scc0 .LBB151_82
.LBB151_83:                             ;   in Loop: Header=BB151_76 Depth=2
	s_cmp_lt_i32 s20, 1
	s_cbranch_scc1 .LBB151_95
; %bb.84:                               ;   in Loop: Header=BB151_76 Depth=2
	s_mov_b32 s6, 0
	s_mov_b32 s30, s20
	s_branch .LBB151_86
.LBB151_85:                             ;   in Loop: Header=BB151_86 Depth=3
	s_add_i32 s6, s6, 1
	s_add_i32 s30, s30, 16
	s_cmp_ge_i32 s6, s20
	s_cbranch_scc1 .LBB151_95
.LBB151_86:                             ;   Parent Loop BB151_73 Depth=1
                                        ;     Parent Loop BB151_76 Depth=2
                                        ; =>    This Loop Header: Depth=3
                                        ;         Child Loop BB151_88 Depth 4
                                        ;         Child Loop BB151_94 Depth 4
	s_lshl_b64 s[4:5], s[6:7], 3
	s_waitcnt vmcnt(0)
	v_mov_b32_e32 v1, s5
	v_add_co_u32_e32 v0, vcc, s4, v10
	v_addc_co_u32_e32 v1, vcc, v11, v1, vcc
	global_load_dwordx2 v[0:1], v[0:1], off
	s_and_b64 vcc, exec, s[14:15]
	s_cbranch_vccz .LBB151_90
; %bb.87:                               ;   in Loop: Header=BB151_86 Depth=3
	s_lshl_b32 s4, s6, 4
	s_add_i32 s4, s4, s20
	s_mov_b32 s5, s4
	s_waitcnt vmcnt(0)
	v_mov_b32_e32 v4, v0
	v_mov_b32_e32 v5, v0
	;; [unrolled: 1-line block ×6, first 2 shown]
	s_mov_b32 s18, 1
	s_mov_b32 s19, 0
	;; [unrolled: 1-line block ×3, first 2 shown]
.LBB151_88:                             ;   Parent Loop BB151_73 Depth=1
                                        ;     Parent Loop BB151_76 Depth=2
                                        ;       Parent Loop BB151_86 Depth=3
                                        ; =>      This Inner Loop Header: Depth=4
	buffer_load_dword v14, v3, s[0:3], 0 offen
	buffer_load_dword v16, v3, s[0:3], 0 offen offset:4
	buffer_load_dword v15, v3, s[0:3], 0 offen offset:8
	;; [unrolled: 1-line block ×3, first 2 shown]
	s_add_i32 s34, s5, s18
	s_add_i32 s35, s4, s19
	s_lshl_b32 s35, s35, 3
	s_lshl_b32 s34, s34, 3
	v_mov_b32_e32 v13, s35
	v_mov_b32_e32 v20, s34
	ds_read_b64 v[18:19], v13
	ds_read_b64 v[20:21], v20
	s_add_i32 s19, s19, 2
	s_add_i32 s18, s18, 2
	s_add_i32 s31, s31, -2
	s_waitcnt lgkmcnt(1)
	v_mov_b32_e32 v22, v18
	s_waitcnt lgkmcnt(0)
	v_mov_b32_e32 v23, v20
	v_mov_b32_e32 v20, v19
	v_pk_mul_f32 v[18:19], v[20:21], v[6:7]
	v_pk_mul_f32 v[20:21], v[20:21], v[4:5]
	v_pk_fma_f32 v[18:19], v[22:23], v[4:5], v[18:19] neg_lo:[0,0,1] neg_hi:[0,0,1]
	v_pk_fma_f32 v[20:21], v[22:23], v[6:7], v[20:21]
	s_cmp_lg_u32 s31, 0
	s_waitcnt vmcnt(1)
	v_pk_add_f32 v[14:15], v[14:15], v[18:19] neg_lo:[0,1] neg_hi:[0,1]
	s_waitcnt vmcnt(0)
	v_pk_add_f32 v[16:17], v[16:17], v[20:21] neg_lo:[0,1] neg_hi:[0,1]
	buffer_store_dword v14, v3, s[0:3], 0 offen
	buffer_store_dword v16, v3, s[0:3], 0 offen offset:4
	buffer_store_dword v15, v3, s[0:3], 0 offen offset:8
	;; [unrolled: 1-line block ×3, first 2 shown]
	v_add_u32_e32 v3, 16, v3
	s_cbranch_scc1 .LBB151_88
; %bb.89:                               ;   in Loop: Header=BB151_86 Depth=3
	s_mov_b64 s[4:5], s[16:17]
	s_mov_b32 s18, s23
	s_branch .LBB151_92
.LBB151_90:                             ;   in Loop: Header=BB151_86 Depth=3
	s_mov_b64 s[4:5], 0
                                        ; implicit-def: $vgpr2_vgpr3
	s_mov_b32 s18, s23
	s_cbranch_execz .LBB151_92
; %bb.91:                               ;   in Loop: Header=BB151_86 Depth=3
	s_waitcnt vmcnt(0)
	v_mov_b32_e32 v2, v1
	s_mov_b64 s[4:5], -1
	s_mov_b32 s18, 0
.LBB151_92:                             ;   in Loop: Header=BB151_86 Depth=3
	s_andn2_b64 vcc, exec, s[4:5]
	s_cbranch_vccnz .LBB151_85
; %bb.93:                               ;   in Loop: Header=BB151_86 Depth=3
	s_sub_i32 s4, s22, s18
	s_add_i32 s5, s18, s30
	s_lshl_b32 s18, s18, 3
	s_waitcnt vmcnt(0)
	v_mov_b32_e32 v3, v1
	v_mov_b32_e32 v1, v0
	s_lshl_b32 s5, s5, 3
	v_add_u32_e32 v4, s18, v12
.LBB151_94:                             ;   Parent Loop BB151_73 Depth=1
                                        ;     Parent Loop BB151_76 Depth=2
                                        ;       Parent Loop BB151_86 Depth=3
                                        ; =>      This Inner Loop Header: Depth=4
	buffer_load_dword v6, v4, s[0:3], 0 offen
	buffer_load_dword v7, v4, s[0:3], 0 offen offset:4
	v_mov_b32_e32 v5, s5
	ds_read_b64 v[14:15], v5
	s_add_i32 s4, s4, -1
	s_add_i32 s5, s5, 8
	s_cmp_eq_u32 s4, 0
	s_waitcnt lgkmcnt(0)
	v_pk_mul_f32 v[16:17], v[14:15], v[2:3]
	v_pk_fma_f32 v[18:19], v[14:15], v[0:1], v[16:17] op_sel:[0,0,1] op_sel_hi:[1,1,0] neg_lo:[0,0,1] neg_hi:[0,0,1]
	v_pk_fma_f32 v[14:15], v[14:15], v[0:1], v[16:17] op_sel:[0,0,1] op_sel_hi:[1,1,0]
	v_mov_b32_e32 v19, v15
	s_waitcnt vmcnt(0)
	v_pk_add_f32 v[6:7], v[6:7], v[18:19] neg_lo:[0,1] neg_hi:[0,1]
	buffer_store_dword v6, v4, s[0:3], 0 offen
	buffer_store_dword v7, v4, s[0:3], 0 offen offset:4
	v_add_u32_e32 v4, 8, v4
	s_cbranch_scc0 .LBB151_94
	s_branch .LBB151_85
.LBB151_95:                             ;   in Loop: Header=BB151_76 Depth=2
	s_mov_b32 s6, 0
	s_mov_b32 s30, s28
	s_branch .LBB151_97
.LBB151_96:                             ;   in Loop: Header=BB151_97 Depth=3
	s_mul_i32 s5, s4, 0x88
	v_mov_b32_e32 v2, s5
	ds_read_b64 v[2:3], v2
	s_lshl_b32 s5, s6, 3
	v_add_u32_e32 v6, s5, v12
	s_ashr_i32 s5, s4, 31
	s_lshl_b64 s[4:5], s[4:5], 3
	s_waitcnt vmcnt(0) lgkmcnt(0)
	v_mul_f32_e32 v4, v3, v1
	v_mul_f32_e32 v5, v2, v1
	v_fma_f32 v4, v2, v0, -v4
	v_fmac_f32_e32 v5, v3, v0
	v_mov_b32_e32 v1, s5
	v_add_co_u32_e32 v0, vcc, s4, v10
	s_add_i32 s6, s6, 1
	s_add_i32 s30, s30, 8
	v_addc_co_u32_e32 v1, vcc, v11, v1, vcc
	s_cmp_eq_u32 s6, s22
	buffer_store_dword v4, v6, s[0:3], 0 offen
	buffer_store_dword v5, v6, s[0:3], 0 offen offset:4
	global_store_dwordx2 v[0:1], v[4:5], off
	s_cbranch_scc1 .LBB151_75
.LBB151_97:                             ;   Parent Loop BB151_73 Depth=1
                                        ;     Parent Loop BB151_76 Depth=2
                                        ; =>    This Loop Header: Depth=3
                                        ;         Child Loop BB151_99 Depth 4
	s_cmp_lg_u32 s6, 0
	s_cbranch_scc0 .LBB151_101
; %bb.98:                               ;   in Loop: Header=BB151_97 Depth=3
	s_lshl_b32 s4, s6, 3
	v_add_u32_e32 v2, s4, v12
	buffer_load_dword v0, v2, s[0:3], 0 offen
	buffer_load_dword v1, v2, s[0:3], 0 offen offset:4
	v_mov_b32_e32 v3, 0
	s_mov_b32 s4, 0
	s_mov_b32 s5, s30
.LBB151_99:                             ;   Parent Loop BB151_73 Depth=1
                                        ;     Parent Loop BB151_76 Depth=2
                                        ;       Parent Loop BB151_97 Depth=3
                                        ; =>      This Inner Loop Header: Depth=4
	buffer_load_dword v5, v3, s[0:3], 0 offen offset:4
	buffer_load_dword v4, v3, s[0:3], 0 offen
	v_mov_b32_e32 v6, s5
	ds_read_b64 v[6:7], v6
	s_add_i32 s4, s4, 1
	s_addk_i32 s5, 0x80
	v_add_u32_e32 v3, 8, v3
	s_cmp_ge_u32 s4, s6
	s_waitcnt vmcnt(1)
	v_mov_b32_e32 v14, v5
	s_waitcnt lgkmcnt(0)
	v_pk_mul_f32 v[14:15], v[6:7], v[14:15] op_sel_hi:[1,0]
	s_waitcnt vmcnt(0)
	v_pk_fma_f32 v[16:17], v[6:7], v[4:5], v[14:15] op_sel:[0,0,1] op_sel_hi:[1,1,0] neg_lo:[0,0,1] neg_hi:[0,0,1]
	v_pk_fma_f32 v[4:5], v[6:7], v[4:5], v[14:15] op_sel:[0,0,1] op_sel_hi:[1,0,0]
	v_mov_b32_e32 v17, v5
	v_pk_add_f32 v[0:1], v[0:1], v[16:17] neg_lo:[0,1] neg_hi:[0,1]
	buffer_store_dword v0, v2, s[0:3], 0 offen
	buffer_store_dword v1, v2, s[0:3], 0 offen offset:4
	s_cbranch_scc0 .LBB151_99
; %bb.100:                              ;   in Loop: Header=BB151_97 Depth=3
	s_add_i32 s4, s6, s20
	s_branch .LBB151_96
.LBB151_101:                            ;   in Loop: Header=BB151_97 Depth=3
                                        ; implicit-def: $vgpr0
                                        ; implicit-def: $sgpr4
	s_cbranch_execz .LBB151_96
; %bb.102:                              ;   in Loop: Header=BB151_97 Depth=3
	buffer_load_dword v0, off, s[0:3], 0
	buffer_load_dword v1, off, s[0:3], 0 offset:4
	s_mov_b32 s4, s20
	s_branch .LBB151_96
.LBB151_103:
	s_endpgm
	.section	.rodata,"a",@progbits
	.p2align	6, 0x0
	.amdhsa_kernel _ZL30rocblas_trsm_small_left_deviceILi16ELi16ELb1E19rocblas_complex_numIfES1_PKS1_PS1_Ev13rocblas_fill_18rocblas_operation_17rocblas_diagonal_iiT3_T4_lilT5_lili
		.amdhsa_group_segment_fixed_size 2048
		.amdhsa_private_segment_fixed_size 144
		.amdhsa_kernarg_size 360
		.amdhsa_user_sgpr_count 8
		.amdhsa_user_sgpr_private_segment_buffer 1
		.amdhsa_user_sgpr_dispatch_ptr 0
		.amdhsa_user_sgpr_queue_ptr 0
		.amdhsa_user_sgpr_kernarg_segment_ptr 1
		.amdhsa_user_sgpr_dispatch_id 0
		.amdhsa_user_sgpr_flat_scratch_init 1
		.amdhsa_user_sgpr_kernarg_preload_length 0
		.amdhsa_user_sgpr_kernarg_preload_offset 0
		.amdhsa_user_sgpr_private_segment_size 0
		.amdhsa_uses_dynamic_stack 0
		.amdhsa_system_sgpr_private_segment_wavefront_offset 1
		.amdhsa_system_sgpr_workgroup_id_x 1
		.amdhsa_system_sgpr_workgroup_id_y 0
		.amdhsa_system_sgpr_workgroup_id_z 1
		.amdhsa_system_sgpr_workgroup_info 0
		.amdhsa_system_vgpr_workitem_id 0
		.amdhsa_next_free_vgpr 26
		.amdhsa_next_free_sgpr 46
		.amdhsa_accum_offset 28
		.amdhsa_reserve_vcc 1
		.amdhsa_reserve_flat_scratch 0
		.amdhsa_float_round_mode_32 0
		.amdhsa_float_round_mode_16_64 0
		.amdhsa_float_denorm_mode_32 3
		.amdhsa_float_denorm_mode_16_64 3
		.amdhsa_dx10_clamp 1
		.amdhsa_ieee_mode 1
		.amdhsa_fp16_overflow 0
		.amdhsa_tg_split 0
		.amdhsa_exception_fp_ieee_invalid_op 0
		.amdhsa_exception_fp_denorm_src 0
		.amdhsa_exception_fp_ieee_div_zero 0
		.amdhsa_exception_fp_ieee_overflow 0
		.amdhsa_exception_fp_ieee_underflow 0
		.amdhsa_exception_fp_ieee_inexact 0
		.amdhsa_exception_int_div_zero 0
	.end_amdhsa_kernel
	.section	.text._ZL30rocblas_trsm_small_left_deviceILi16ELi16ELb1E19rocblas_complex_numIfES1_PKS1_PS1_Ev13rocblas_fill_18rocblas_operation_17rocblas_diagonal_iiT3_T4_lilT5_lili,"axG",@progbits,_ZL30rocblas_trsm_small_left_deviceILi16ELi16ELb1E19rocblas_complex_numIfES1_PKS1_PS1_Ev13rocblas_fill_18rocblas_operation_17rocblas_diagonal_iiT3_T4_lilT5_lili,comdat
.Lfunc_end151:
	.size	_ZL30rocblas_trsm_small_left_deviceILi16ELi16ELb1E19rocblas_complex_numIfES1_PKS1_PS1_Ev13rocblas_fill_18rocblas_operation_17rocblas_diagonal_iiT3_T4_lilT5_lili, .Lfunc_end151-_ZL30rocblas_trsm_small_left_deviceILi16ELi16ELb1E19rocblas_complex_numIfES1_PKS1_PS1_Ev13rocblas_fill_18rocblas_operation_17rocblas_diagonal_iiT3_T4_lilT5_lili
                                        ; -- End function
	.section	.AMDGPU.csdata,"",@progbits
; Kernel info:
; codeLenInByte = 4336
; NumSgprs: 50
; NumVgprs: 26
; NumAgprs: 0
; TotalNumVgprs: 26
; ScratchSize: 144
; MemoryBound: 0
; FloatMode: 240
; IeeeMode: 1
; LDSByteSize: 2048 bytes/workgroup (compile time only)
; SGPRBlocks: 6
; VGPRBlocks: 3
; NumSGPRsForWavesPerEU: 50
; NumVGPRsForWavesPerEU: 26
; AccumOffset: 28
; Occupancy: 8
; WaveLimiterHint : 0
; COMPUTE_PGM_RSRC2:SCRATCH_EN: 1
; COMPUTE_PGM_RSRC2:USER_SGPR: 8
; COMPUTE_PGM_RSRC2:TRAP_HANDLER: 0
; COMPUTE_PGM_RSRC2:TGID_X_EN: 1
; COMPUTE_PGM_RSRC2:TGID_Y_EN: 0
; COMPUTE_PGM_RSRC2:TGID_Z_EN: 1
; COMPUTE_PGM_RSRC2:TIDIG_COMP_CNT: 0
; COMPUTE_PGM_RSRC3_GFX90A:ACCUM_OFFSET: 6
; COMPUTE_PGM_RSRC3_GFX90A:TG_SPLIT: 0
	.section	.text._ZL31rocblas_trsm_small_right_deviceI19rocblas_complex_numIfES1_PKS1_PS1_Li16EEv13rocblas_fill_18rocblas_operation_17rocblas_diagonal_iiT0_T1_lilT2_lili,"axG",@progbits,_ZL31rocblas_trsm_small_right_deviceI19rocblas_complex_numIfES1_PKS1_PS1_Li16EEv13rocblas_fill_18rocblas_operation_17rocblas_diagonal_iiT0_T1_lilT2_lili,comdat
	.globl	_ZL31rocblas_trsm_small_right_deviceI19rocblas_complex_numIfES1_PKS1_PS1_Li16EEv13rocblas_fill_18rocblas_operation_17rocblas_diagonal_iiT0_T1_lilT2_lili ; -- Begin function _ZL31rocblas_trsm_small_right_deviceI19rocblas_complex_numIfES1_PKS1_PS1_Li16EEv13rocblas_fill_18rocblas_operation_17rocblas_diagonal_iiT0_T1_lilT2_lili
	.p2align	8
	.type	_ZL31rocblas_trsm_small_right_deviceI19rocblas_complex_numIfES1_PKS1_PS1_Li16EEv13rocblas_fill_18rocblas_operation_17rocblas_diagonal_iiT0_T1_lilT2_lili,@function
_ZL31rocblas_trsm_small_right_deviceI19rocblas_complex_numIfES1_PKS1_PS1_Li16EEv13rocblas_fill_18rocblas_operation_17rocblas_diagonal_iiT0_T1_lilT2_lili: ; @_ZL31rocblas_trsm_small_right_deviceI19rocblas_complex_numIfES1_PKS1_PS1_Li16EEv13rocblas_fill_18rocblas_operation_17rocblas_diagonal_iiT0_T1_lilT2_lili
; %bb.0:
	s_load_dwordx8 s[12:19], s[4:5], 0x0
	s_load_dwordx4 s[20:23], s[4:5], 0x38
	s_load_dwordx2 s[26:27], s[4:5], 0x48
	s_waitcnt lgkmcnt(0)
	s_load_dword s19, s[4:5], 0x68
	s_mov_b32 s40, 0
	s_min_i32 s33, s16, 16
	s_add_i32 s50, s33, -1
	v_cmp_gt_i32_e32 vcc, s33, v0
	s_and_saveexec_b64 s[24:25], vcc
	s_cbranch_execz .LBB152_29
; %bb.1:
	s_load_dword s28, s[4:5], 0x30
	s_load_dwordx4 s[8:11], s[4:5], 0x20
	s_mul_i32 s0, s7, s21
	s_mul_hi_u32 s1, s7, s20
	s_mul_i32 s20, s7, s20
	s_waitcnt lgkmcnt(0)
	s_ashr_i32 s29, s28, 31
	s_cmpk_lg_i32 s13, 0x71
	s_cselect_b64 s[30:31], -1, 0
	s_add_i32 s21, s1, s0
	v_cndmask_b32_e64 v1, 0, 1, s[30:31]
	s_cmp_lt_u32 s50, 3
	v_cmp_ne_u32_e64 s[0:1], 1, v1
	s_cbranch_scc1 .LBB152_20
; %bb.2:
	s_lshl_b64 s[2:3], s[20:21], 3
	s_add_u32 s34, s8, s2
	s_addc_u32 s35, s9, s3
	s_lshl_b64 s[2:3], s[10:11], 3
	s_add_u32 s2, s34, s2
	s_addc_u32 s3, s35, s3
	v_lshlrev_b32_e32 v1, 3, v0
	v_mov_b32_e32 v3, s3
	v_add_co_u32_e32 v2, vcc, s2, v1
	s_mul_hi_i32 s2, s28, 24
	s_lshl_b64 s[34:35], s[28:29], 5
	s_lshl_b64 s[36:37], s[28:29], 4
	;; [unrolled: 1-line block ×3, first 2 shown]
	v_addc_co_u32_e32 v3, vcc, 0, v3, vcc
	s_and_b32 s40, s33, -4
	s_mul_i32 s41, s28, 24
	s_mov_b32 s42, 0
	v_mov_b32_e32 v8, s39
	v_mov_b32_e32 v9, s37
	;; [unrolled: 1-line block ×4, first 2 shown]
	s_branch .LBB152_4
.LBB152_3:                              ;   in Loop: Header=BB152_4 Depth=1
	global_load_dword v4, v[6:7], off
	s_add_i32 s42, s42, 4
	v_add_co_u32_e32 v2, vcc, s34, v2
	v_addc_co_u32_e32 v3, vcc, v3, v11, vcc
	s_cmp_eq_u32 s40, s42
	s_waitcnt vmcnt(0)
	ds_write_b64 v1, v[4:5] offset:384
	v_add_u32_e32 v1, 0x200, v1
	s_cbranch_scc1 .LBB152_20
.LBB152_4:                              ; =>This Inner Loop Header: Depth=1
	s_and_b64 vcc, exec, s[30:31]
	s_cbranch_vccz .LBB152_6
; %bb.5:                                ;   in Loop: Header=BB152_4 Depth=1
	global_load_dword v5, v[2:3], off offset:4
	s_cbranch_execz .LBB152_7
	s_branch .LBB152_8
.LBB152_6:                              ;   in Loop: Header=BB152_4 Depth=1
                                        ; implicit-def: $vgpr5
.LBB152_7:                              ;   in Loop: Header=BB152_4 Depth=1
	global_load_dword v4, v[2:3], off offset:4
	s_waitcnt vmcnt(0)
	v_xor_b32_e32 v5, 0x80000000, v4
.LBB152_8:                              ;   in Loop: Header=BB152_4 Depth=1
	global_load_dword v4, v[2:3], off
	v_add_co_u32_e64 v6, s[2:3], s38, v2
	s_and_b64 vcc, exec, s[0:1]
	v_addc_co_u32_e64 v7, s[2:3], v3, v8, s[2:3]
	s_waitcnt vmcnt(0)
	ds_write_b64 v1, v[4:5]
	s_cbranch_vccnz .LBB152_10
; %bb.9:                                ;   in Loop: Header=BB152_4 Depth=1
	global_load_dword v5, v[6:7], off offset:4
	s_cbranch_execz .LBB152_11
	s_branch .LBB152_12
.LBB152_10:                             ;   in Loop: Header=BB152_4 Depth=1
                                        ; implicit-def: $vgpr5
.LBB152_11:                             ;   in Loop: Header=BB152_4 Depth=1
	global_load_dword v4, v[6:7], off offset:4
	s_waitcnt vmcnt(0)
	v_xor_b32_e32 v5, 0x80000000, v4
.LBB152_12:                             ;   in Loop: Header=BB152_4 Depth=1
	global_load_dword v4, v[6:7], off
	v_add_co_u32_e64 v6, s[2:3], s36, v2
	s_and_b64 vcc, exec, s[0:1]
	v_addc_co_u32_e64 v7, s[2:3], v3, v9, s[2:3]
	s_waitcnt vmcnt(0)
	ds_write_b64 v1, v[4:5] offset:128
	s_cbranch_vccnz .LBB152_14
; %bb.13:                               ;   in Loop: Header=BB152_4 Depth=1
	global_load_dword v5, v[6:7], off offset:4
	s_cbranch_execz .LBB152_15
	s_branch .LBB152_16
.LBB152_14:                             ;   in Loop: Header=BB152_4 Depth=1
                                        ; implicit-def: $vgpr5
.LBB152_15:                             ;   in Loop: Header=BB152_4 Depth=1
	global_load_dword v4, v[6:7], off offset:4
	s_waitcnt vmcnt(0)
	v_xor_b32_e32 v5, 0x80000000, v4
.LBB152_16:                             ;   in Loop: Header=BB152_4 Depth=1
	global_load_dword v4, v[6:7], off
	v_add_co_u32_e64 v6, s[2:3], s41, v2
	s_and_b64 vcc, exec, s[0:1]
	v_addc_co_u32_e64 v7, s[2:3], v3, v10, s[2:3]
	s_waitcnt vmcnt(0)
	ds_write_b64 v1, v[4:5] offset:256
	s_cbranch_vccnz .LBB152_18
; %bb.17:                               ;   in Loop: Header=BB152_4 Depth=1
	global_load_dword v5, v[6:7], off offset:4
	s_cbranch_execnz .LBB152_3
	s_branch .LBB152_19
.LBB152_18:                             ;   in Loop: Header=BB152_4 Depth=1
                                        ; implicit-def: $vgpr5
.LBB152_19:                             ;   in Loop: Header=BB152_4 Depth=1
	global_load_dword v4, v[6:7], off offset:4
	s_waitcnt vmcnt(0)
	v_xor_b32_e32 v5, 0x80000000, v4
	s_branch .LBB152_3
.LBB152_20:
	s_and_b32 s30, s33, 3
	s_cmp_eq_u32 s30, 0
	s_cbranch_scc1 .LBB152_27
; %bb.21:
	s_lshl_b64 s[2:3], s[20:21], 3
	s_mul_i32 s20, s29, s40
	s_mul_hi_u32 s21, s28, s40
	s_add_i32 s21, s21, s20
	s_mul_i32 s20, s28, s40
	s_lshl_b64 s[20:21], s[20:21], 3
	s_add_u32 s20, s2, s20
	s_addc_u32 s21, s3, s21
	s_lshl_b64 s[2:3], s[10:11], 3
	s_add_u32 s2, s20, s2
	s_addc_u32 s3, s21, s3
	s_add_u32 s2, s8, s2
	v_lshlrev_b32_e32 v2, 3, v0
	s_addc_u32 s3, s9, s3
	v_lshl_or_b32 v1, s40, 7, v2
	v_mov_b32_e32 v3, s3
	v_add_co_u32_e32 v2, vcc, s2, v2
	v_addc_co_u32_e32 v3, vcc, 0, v3, vcc
	v_add_co_u32_e32 v2, vcc, 4, v2
	s_lshl_b64 s[2:3], s[28:29], 3
	v_addc_co_u32_e32 v3, vcc, 0, v3, vcc
	v_mov_b32_e32 v6, s3
	s_branch .LBB152_23
.LBB152_22:                             ;   in Loop: Header=BB152_23 Depth=1
	global_load_dword v4, v[2:3], off offset:-4
	s_add_i32 s30, s30, -1
	v_add_co_u32_e32 v2, vcc, s2, v2
	s_cmp_lg_u32 s30, 0
	v_addc_co_u32_e32 v3, vcc, v3, v6, vcc
	s_waitcnt vmcnt(0)
	ds_write_b64 v1, v[4:5]
	v_add_u32_e32 v1, 0x80, v1
	s_cbranch_scc0 .LBB152_27
.LBB152_23:                             ; =>This Inner Loop Header: Depth=1
	s_and_b64 vcc, exec, s[0:1]
	s_cbranch_vccnz .LBB152_25
; %bb.24:                               ;   in Loop: Header=BB152_23 Depth=1
	global_load_dword v5, v[2:3], off
	s_cbranch_execnz .LBB152_22
	s_branch .LBB152_26
.LBB152_25:                             ;   in Loop: Header=BB152_23 Depth=1
                                        ; implicit-def: $vgpr5
.LBB152_26:                             ;   in Loop: Header=BB152_23 Depth=1
	global_load_dword v4, v[2:3], off
	s_waitcnt vmcnt(0)
	v_xor_b32_e32 v5, 0x80000000, v4
	s_branch .LBB152_22
.LBB152_27:
	s_cmpk_eq_i32 s14, 0x84
	s_cbranch_scc0 .LBB152_29
; %bb.28:
	v_mul_u32_u24_e32 v1, 17, v0
	v_lshlrev_b32_e32 v1, 3, v1
	v_mov_b32_e32 v2, 1.0
	v_mov_b32_e32 v3, 0
	ds_write_b64 v1, v[2:3]
.LBB152_29:
	s_or_b64 exec, exec, s[24:25]
	s_load_dwordx2 s[0:1], s[4:5], 0x58
	s_load_dword s14, s[4:5], 0x50
	s_waitcnt lgkmcnt(0)
	s_mul_i32 s1, s7, s1
	s_mul_hi_u32 s2, s7, s0
	s_mul_i32 s0, s7, s0
	s_add_i32 s1, s2, s1
	s_lshl_b64 s[24:25], s[0:1], 3
	s_add_u32 s0, s22, s24
	s_addc_u32 s1, s23, s25
	s_lshl_b64 s[20:21], s[26:27], 3
	s_add_u32 s0, s0, s20
	s_addc_u32 s1, s1, s21
	s_lshl_b32 s2, s6, 4
	s_add_i32 s19, s19, -1
	s_sub_i32 s2, s15, s2
	s_cmp_ge_u32 s6, s19
	s_cselect_b32 s2, s2, 16
	s_ashr_i32 s7, s6, 31
	s_lshl_b64 s[26:27], s[6:7], 7
	s_add_u32 s48, s0, s26
	s_addc_u32 s49, s1, s27
	s_cmp_gt_i32 s16, 0
	v_cmp_gt_i32_e32 vcc, s2, v0
	s_cselect_b64 s[2:3], -1, 0
	s_mov_b32 s0, 0
	s_and_b64 s[28:29], vcc, s[2:3]
	s_and_saveexec_b64 s[30:31], s[28:29]
	s_cbranch_execz .LBB152_41
; %bb.30:
	s_cmp_lt_u32 s16, 2
	s_cselect_b64 s[4:5], -1, 0
	s_cmp_lg_u32 s14, 1
	s_cselect_b64 s[6:7], -1, 0
	s_or_b64 s[4:5], s[4:5], s[6:7]
	s_mov_b32 s1, 1
	s_mov_b64 s[2:3], -1
	s_and_b64 vcc, exec, s[4:5]
	s_cbranch_vccnz .LBB152_38
; %bb.31:
	s_add_i32 s0, s16, -2
	v_lshlrev_b32_e32 v1, 3, v0
	s_lshr_b32 s15, s0, 1
	v_mov_b32_e32 v3, s49
	v_add_co_u32_e32 v2, vcc, s48, v1
	s_add_i32 s15, s15, 1
	s_mov_b32 s37, 0
	v_addc_co_u32_e32 v3, vcc, 0, v3, vcc
	s_mov_b32 s34, s17
	s_mov_b32 s35, s17
	;; [unrolled: 1-line block ×3, first 2 shown]
	s_cmp_lt_u32 s0, 6
	s_mov_b32 s0, s37
	s_cbranch_scc1 .LBB152_35
; %bb.32:
	s_and_b32 s51, s15, -4
	s_mov_b32 s38, 1
	s_mov_b32 s36, s37
.LBB152_33:                             ; =>This Inner Loop Header: Depth=1
	s_lshl_b64 s[0:1], s[36:37], 3
	s_mov_b32 s39, s37
	s_add_i32 s40, s38, 2
	s_add_i32 s42, s36, 2
	s_mov_b32 s43, s37
	s_mov_b32 s41, s37
	s_add_i32 s44, s38, 4
	s_add_i32 s46, s36, 4
	s_mov_b32 s47, s37
	;; [unrolled: 4-line block ×3, first 2 shown]
	s_mov_b32 s53, s37
	v_mov_b32_e32 v5, s1
	v_add_co_u32_e32 v4, vcc, s0, v2
	s_lshl_b64 s[10:11], s[38:39], 3
	s_lshl_b64 s[2:3], s[42:43], 3
	;; [unrolled: 1-line block ×7, first 2 shown]
	v_addc_co_u32_e32 v5, vcc, v3, v5, vcc
	v_mov_b32_e32 v7, s11
	v_mov_b32_e32 v9, s3
	v_add_co_u32_e32 v6, vcc, s2, v2
	v_mov_b32_e32 v11, s5
	v_add_co_u32_e64 v8, s[0:1], s4, v2
	v_mov_b32_e32 v13, s7
	v_add_co_u32_e64 v10, s[2:3], s6, v2
	;; [unrolled: 2-line block ×5, first 2 shown]
	v_add_co_u32_e64 v18, s[10:11], s10, v2
	v_addc_co_u32_e64 v19, s[10:11], v3, v7, s[10:11]
	v_addc_co_u32_e32 v7, vcc, v3, v9, vcc
	v_addc_co_u32_e64 v9, vcc, v3, v11, s[0:1]
	v_addc_co_u32_e64 v11, vcc, v3, v13, s[2:3]
	;; [unrolled: 1-line block ×5, first 2 shown]
	global_load_dwordx2 v[20:21], v[4:5], off
	global_load_dwordx2 v[22:23], v[18:19], off
	;; [unrolled: 1-line block ×8, first 2 shown]
	v_lshl_or_b32 v36, s36, 7, v1
	v_lshl_or_b32 v37, s38, 7, v1
	s_add_i32 s36, s36, 8
	s_add_i32 s51, s51, -4
	s_add_i32 s38, s38, 8
	s_cmp_lg_u32 s51, 0
	v_lshl_or_b32 v38, s42, 7, v1
	v_lshl_or_b32 v39, s40, 7, v1
	;; [unrolled: 1-line block ×6, first 2 shown]
	s_waitcnt vmcnt(7)
	v_mov_b32_e32 v4, v20
	s_waitcnt vmcnt(6)
	v_mov_b32_e32 v5, v22
	v_mov_b32_e32 v22, v21
	s_waitcnt vmcnt(4)
	v_mov_b32_e32 v7, v26
	;; [unrolled: 3-line block ×4, first 2 shown]
	v_mov_b32_e32 v34, v33
	v_pk_mul_f32 v[12:13], s[18:19], v[22:23]
	v_pk_mul_f32 v[14:15], s[34:35], v[22:23]
	v_mov_b32_e32 v6, v24
	v_mov_b32_e32 v8, v28
	;; [unrolled: 1-line block ×3, first 2 shown]
	v_pk_mul_f32 v[16:17], s[18:19], v[26:27]
	v_pk_mul_f32 v[18:19], s[34:35], v[26:27]
	;; [unrolled: 1-line block ×6, first 2 shown]
	v_pk_fma_f32 v[12:13], s[34:35], v[4:5], v[12:13] neg_lo:[0,0,1] neg_hi:[0,0,1]
	v_pk_fma_f32 v[4:5], s[18:19], v[4:5], v[14:15]
	v_pk_fma_f32 v[14:15], s[34:35], v[6:7], v[16:17] neg_lo:[0,0,1] neg_hi:[0,0,1]
	v_pk_fma_f32 v[6:7], s[18:19], v[6:7], v[18:19]
	;; [unrolled: 2-line block ×4, first 2 shown]
	v_mov_b32_e32 v20, v12
	v_mov_b32_e32 v21, v4
	;; [unrolled: 1-line block ×12, first 2 shown]
	ds_write_b64 v36, v[20:21] offset:2048
	ds_write_b64 v37, v[4:5] offset:2048
	;; [unrolled: 1-line block ×8, first 2 shown]
	s_cbranch_scc1 .LBB152_33
; %bb.34:
	s_mov_b32 s37, s38
	s_mov_b64 s[0:1], s[36:37]
.LBB152_35:
	s_and_b32 s4, s15, 3
	s_cmp_eq_u32 s4, 0
	s_mov_b32 s3, 0
	s_cbranch_scc1 .LBB152_37
.LBB152_36:                             ; =>This Inner Loop Header: Depth=1
	s_mov_b32 s2, s0
	s_lshl_b64 s[6:7], s[2:3], 3
	s_mov_b32 s2, s1
	v_mov_b32_e32 v5, s7
	v_add_co_u32_e32 v4, vcc, s6, v2
	s_lshl_b64 s[8:9], s[2:3], 3
	v_addc_co_u32_e32 v5, vcc, v3, v5, vcc
	v_mov_b32_e32 v7, s9
	v_add_co_u32_e32 v6, vcc, s8, v2
	v_addc_co_u32_e32 v7, vcc, v3, v7, vcc
	global_load_dwordx2 v[8:9], v[4:5], off
	global_load_dwordx2 v[10:11], v[6:7], off
	v_lshl_or_b32 v12, s0, 7, v1
	v_lshl_or_b32 v13, s1, 7, v1
	s_add_i32 s0, s0, 2
	s_add_i32 s4, s4, -1
	s_add_i32 s1, s1, 2
	s_cmp_lg_u32 s4, 0
	s_waitcnt vmcnt(1)
	v_mov_b32_e32 v4, v8
	s_waitcnt vmcnt(0)
	v_mov_b32_e32 v5, v10
	v_mov_b32_e32 v10, v9
	v_pk_mul_f32 v[6:7], s[18:19], v[10:11]
	v_pk_mul_f32 v[8:9], s[34:35], v[10:11]
	v_pk_fma_f32 v[6:7], s[34:35], v[4:5], v[6:7] neg_lo:[0,0,1] neg_hi:[0,0,1]
	v_pk_fma_f32 v[4:5], s[18:19], v[4:5], v[8:9]
	v_mov_b32_e32 v8, v6
	v_mov_b32_e32 v9, v4
	v_mov_b32_e32 v4, v7
	ds_write_b64 v12, v[8:9] offset:2048
	ds_write_b64 v13, v[4:5] offset:2048
	s_cbranch_scc1 .LBB152_36
.LBB152_37:
	s_and_b32 s0, s16, 0x7ffffffe
	s_cmp_lg_u32 s0, s16
	s_cselect_b64 s[2:3], -1, 0
.LBB152_38:
	s_and_b64 vcc, exec, s[2:3]
	s_cbranch_vccz .LBB152_41
; %bb.39:
	v_lshlrev_b32_e32 v2, 3, v0
	v_lshl_or_b32 v1, s0, 7, v2
	s_sub_i32 s2, s16, s0
	s_mul_hi_i32 s1, s14, s0
	s_mul_i32 s0, s14, s0
	s_ashr_i32 s15, s14, 31
	s_lshl_b64 s[0:1], s[0:1], 3
	s_add_u32 s0, s24, s0
	s_addc_u32 s1, s25, s1
	s_add_u32 s0, s0, s26
	s_addc_u32 s1, s1, s27
	;; [unrolled: 2-line block ×4, first 2 shown]
	v_mov_b32_e32 v3, s1
	v_add_co_u32_e32 v2, vcc, s0, v2
	v_addc_co_u32_e32 v3, vcc, 0, v3, vcc
	v_add_co_u32_e32 v2, vcc, 4, v2
	s_lshl_b64 s[0:1], s[14:15], 3
	v_add_u32_e32 v1, 0x800, v1
	v_addc_co_u32_e32 v3, vcc, 0, v3, vcc
	v_mov_b32_e32 v4, s1
.LBB152_40:                             ; =>This Inner Loop Header: Depth=1
	global_load_dwordx2 v[6:7], v[2:3], off offset:-4
	s_add_i32 s2, s2, -1
	v_add_co_u32_e32 v2, vcc, s0, v2
	v_addc_co_u32_e32 v3, vcc, v3, v4, vcc
	s_cmp_lg_u32 s2, 0
	s_waitcnt vmcnt(0)
	v_mul_f32_e32 v5, s18, v7
	v_mul_f32_e32 v9, s17, v7
	v_fma_f32 v8, s17, v6, -v5
	v_fmac_f32_e32 v9, s18, v6
	ds_write_b64 v1, v[8:9]
	v_add_u32_e32 v1, 0x80, v1
	s_cbranch_scc1 .LBB152_40
.LBB152_41:
	s_or_b64 exec, exec, s[30:31]
	s_cmpk_eq_i32 s13, 0x6f
	s_cselect_b64 s[0:1], -1, 0
	s_cmpk_eq_i32 s12, 0x79
	s_cselect_b64 s[4:5], -1, 0
	s_cmpk_lg_i32 s12, 0x79
	s_cselect_b64 s[2:3], -1, 0
	s_and_b64 s[4:5], s[4:5], s[0:1]
	s_andn2_b64 vcc, exec, s[4:5]
	s_mov_b64 s[4:5], -1
	s_waitcnt lgkmcnt(0)
	; wave barrier
	s_waitcnt lgkmcnt(0)
	s_cbranch_vccz .LBB152_149
; %bb.42:
	s_cmpk_lg_i32 s12, 0x7a
	s_cselect_b64 s[6:7], -1, 0
	s_xor_b64 s[0:1], s[0:1], -1
	s_or_b64 s[6:7], s[6:7], s[0:1]
	s_cmp_gt_i32 s16, 3
	s_cselect_b64 s[0:1], -1, 0
	s_and_b64 vcc, exec, s[6:7]
	s_cbranch_vccz .LBB152_116
; %bb.43:
	s_andn2_b64 vcc, exec, s[2:3]
	s_mov_b64 s[2:3], -1
	s_cbranch_vccnz .LBB152_83
; %bb.44:
	s_andn2_b64 vcc, exec, s[0:1]
	s_mov_b32 s6, 0
	s_cbranch_vccnz .LBB152_67
; %bb.45:
	v_mov_b32_e32 v1, 0x800
	v_lshl_or_b32 v1, v0, 3, v1
	s_mov_b32 s4, 0
	s_mov_b32 s5, 0
.LBB152_46:                             ; =>This Loop Header: Depth=1
                                        ;     Child Loop BB152_48 Depth 2
	s_lshl_b32 s3, s5, 4
	v_or_b32_e32 v2, s3, v0
	s_or_b32 s7, s3, 16
	v_lshlrev_b32_e32 v4, 3, v2
	v_or_b32_e32 v2, s7, v0
	s_or_b32 s6, s3, 32
	s_lshl_b32 s2, s5, 7
	v_lshlrev_b32_e32 v5, 3, v2
	v_or_b32_e32 v2, s6, v0
	v_lshlrev_b32_e32 v12, 3, v2
	v_lshl_or_b32 v13, v0, 3, s2
	ds_read_b64 v[2:3], v4 offset:2048
	ds_read_b64 v[10:11], v5 offset:2048
	ds_read_b64 v[8:9], v12 offset:2048
	ds_read_b64 v[6:7], v13 offset:2432
	s_cmp_eq_u32 s5, 0
	s_cbranch_scc1 .LBB152_49
; %bb.47:                               ;   in Loop: Header=BB152_46 Depth=1
	s_mov_b32 s2, 0
	v_mov_b32_e32 v14, v1
	s_mov_b32 s3, s4
.LBB152_48:                             ;   Parent Loop BB152_46 Depth=1
                                        ; =>  This Inner Loop Header: Depth=2
	ds_read2_b64 v[16:19], v14 offset1:16
	v_mov_b32_e32 v15, s3
	ds_read_b128 v[20:23], v15
	ds_read_b128 v[24:27], v15 offset:16
	ds_read_b128 v[28:31], v15 offset:128
	;; [unrolled: 1-line block ×3, first 2 shown]
	s_add_i32 s2, s2, 2
	s_addk_i32 s3, 0x100
	s_waitcnt lgkmcnt(3)
	v_mul_f32_e32 v15, v21, v17
	v_mul_f32_e32 v36, v20, v17
	v_mul_f32_e32 v37, v23, v17
	v_mul_f32_e32 v23, v23, v16
	s_waitcnt lgkmcnt(2)
	v_mul_f32_e32 v38, v25, v17
	v_mul_f32_e32 v25, v25, v16
	v_mul_f32_e32 v39, v27, v17
	v_mul_f32_e32 v27, v27, v16
	s_waitcnt lgkmcnt(1)
	v_mul_f32_e32 v40, v29, v19
	v_mul_f32_e32 v41, v28, v19
	v_mul_f32_e32 v42, v31, v19
	v_mul_f32_e32 v31, v31, v18
	s_waitcnt lgkmcnt(0)
	v_mul_f32_e32 v43, v33, v19
	v_mul_f32_e32 v33, v33, v18
	v_mul_f32_e32 v44, v35, v19
	v_mul_f32_e32 v35, v35, v18
	v_fma_f32 v15, v20, v16, -v15
	v_fmac_f32_e32 v36, v21, v16
	v_fma_f32 v20, v22, v16, -v37
	v_fmac_f32_e32 v23, v22, v17
	;; [unrolled: 2-line block ×8, first 2 shown]
	v_sub_f32_e32 v2, v2, v15
	v_sub_f32_e32 v3, v3, v36
	v_sub_f32_e32 v10, v10, v20
	v_sub_f32_e32 v11, v11, v23
	v_sub_f32_e32 v8, v8, v21
	v_sub_f32_e32 v9, v9, v25
	v_sub_f32_e32 v6, v6, v16
	v_sub_f32_e32 v7, v7, v27
	v_add_u32_e32 v14, 0x100, v14
	s_cmp_ge_u32 s2, s5
	v_sub_f32_e32 v2, v2, v17
	v_sub_f32_e32 v3, v3, v41
	;; [unrolled: 1-line block ×8, first 2 shown]
	s_cbranch_scc0 .LBB152_48
.LBB152_49:                             ;   in Loop: Header=BB152_46 Depth=1
	s_mul_i32 s8, s5, 0x88
	v_add_u32_e32 v17, 0x800, v4
	v_mov_b32_e32 v4, s8
	v_add_u32_e32 v16, 0x800, v5
	ds_read_b64 v[4:5], v4
	v_add_u32_e32 v15, 0x800, v12
	v_add_u32_e32 v14, 0x980, v13
	s_waitcnt lgkmcnt(0)
	v_cmp_gt_f32_e32 vcc, 0, v5
	v_cndmask_b32_e64 v12, v5, -v5, vcc
	v_cmp_gt_f32_e32 vcc, 0, v4
	v_cndmask_b32_e64 v13, v4, -v4, vcc
	v_cmp_ngt_f32_e32 vcc, v13, v12
	s_cbranch_vccz .LBB152_51
; %bb.50:                               ;   in Loop: Header=BB152_46 Depth=1
	v_div_scale_f32 v12, s[2:3], v5, v5, v4
	v_rcp_f32_e32 v13, v12
	v_div_scale_f32 v18, vcc, v4, v5, v4
	v_fma_f32 v19, -v12, v13, 1.0
	v_fmac_f32_e32 v13, v19, v13
	v_mul_f32_e32 v19, v18, v13
	v_fma_f32 v20, -v12, v19, v18
	v_fmac_f32_e32 v19, v20, v13
	v_fma_f32 v12, -v12, v19, v18
	v_div_fmas_f32 v12, v12, v13, v19
	v_div_fixup_f32 v13, v12, v5, v4
	v_fma_f32 v12, v4, v13, v5
	v_div_scale_f32 v18, s[2:3], v12, v12, 1.0
	v_rcp_f32_e32 v19, v18
	v_fma_f32 v20, -v18, v19, 1.0
	v_fmac_f32_e32 v19, v20, v19
	v_div_scale_f32 v20, vcc, 1.0, v12, 1.0
	v_mul_f32_e32 v21, v20, v19
	v_fma_f32 v22, -v18, v21, v20
	v_fmac_f32_e32 v21, v22, v19
	v_fma_f32 v18, -v18, v21, v20
	v_div_fmas_f32 v18, v18, v19, v21
	v_div_fixup_f32 v18, v18, v12, 1.0
	v_fma_f32 v12, v2, v13, v3
	v_fma_f32 v13, v3, v13, -v2
	v_mul_f32_e32 v12, v12, v18
	v_mul_f32_e32 v13, v13, v18
	s_cbranch_execz .LBB152_52
	s_branch .LBB152_53
.LBB152_51:                             ;   in Loop: Header=BB152_46 Depth=1
                                        ; implicit-def: $vgpr13
.LBB152_52:                             ;   in Loop: Header=BB152_46 Depth=1
	v_div_scale_f32 v12, s[2:3], v4, v4, v5
	v_rcp_f32_e32 v13, v12
	v_div_scale_f32 v18, vcc, v5, v4, v5
	v_fma_f32 v19, -v12, v13, 1.0
	v_fmac_f32_e32 v13, v19, v13
	v_mul_f32_e32 v19, v18, v13
	v_fma_f32 v20, -v12, v19, v18
	v_fmac_f32_e32 v19, v20, v13
	v_fma_f32 v12, -v12, v19, v18
	v_div_fmas_f32 v12, v12, v13, v19
	v_div_fixup_f32 v13, v12, v4, v5
	v_fmac_f32_e32 v4, v5, v13
	v_div_scale_f32 v5, s[2:3], v4, v4, 1.0
	v_rcp_f32_e32 v12, v5
	v_fma_f32 v18, -v5, v12, 1.0
	v_fmac_f32_e32 v12, v18, v12
	v_div_scale_f32 v18, vcc, 1.0, v4, 1.0
	v_mul_f32_e32 v19, v18, v12
	v_fma_f32 v20, -v5, v19, v18
	v_fmac_f32_e32 v19, v20, v12
	v_fma_f32 v5, -v5, v19, v18
	v_div_fmas_f32 v5, v5, v12, v19
	v_div_fixup_f32 v4, v5, v4, 1.0
	v_fma_f32 v5, v3, v13, v2
	v_fma_f32 v2, -v2, v13, v3
	v_mul_f32_e32 v12, v5, v4
	v_mul_f32_e32 v13, v2, v4
.LBB152_53:                             ;   in Loop: Header=BB152_46 Depth=1
	v_mov_b32_e32 v2, s8
	ds_read2_b64 v[2:5], v2 offset0:1 offset1:17
	ds_write_b64 v17, v[12:13]
	s_waitcnt lgkmcnt(1)
	v_mul_f32_e32 v17, v13, v3
	v_mul_f32_e32 v3, v12, v3
	v_fma_f32 v17, v12, v2, -v17
	v_cmp_gt_f32_e32 vcc, 0, v5
	v_fmac_f32_e32 v3, v13, v2
	v_sub_f32_e32 v2, v10, v17
	v_cndmask_b32_e64 v10, v5, -v5, vcc
	v_cmp_gt_f32_e32 vcc, 0, v4
	v_sub_f32_e32 v3, v11, v3
	v_cndmask_b32_e64 v11, v4, -v4, vcc
	v_cmp_ngt_f32_e32 vcc, v11, v10
	s_cbranch_vccz .LBB152_55
; %bb.54:                               ;   in Loop: Header=BB152_46 Depth=1
	v_div_scale_f32 v10, s[2:3], v5, v5, v4
	v_rcp_f32_e32 v11, v10
	v_div_scale_f32 v17, vcc, v4, v5, v4
	v_fma_f32 v18, -v10, v11, 1.0
	v_fmac_f32_e32 v11, v18, v11
	v_mul_f32_e32 v18, v17, v11
	v_fma_f32 v19, -v10, v18, v17
	v_fmac_f32_e32 v18, v19, v11
	v_fma_f32 v10, -v10, v18, v17
	v_div_fmas_f32 v10, v10, v11, v18
	v_div_fixup_f32 v11, v10, v5, v4
	v_fma_f32 v10, v4, v11, v5
	v_div_scale_f32 v17, s[2:3], v10, v10, 1.0
	v_rcp_f32_e32 v18, v17
	v_fma_f32 v19, -v17, v18, 1.0
	v_fmac_f32_e32 v18, v19, v18
	v_div_scale_f32 v19, vcc, 1.0, v10, 1.0
	v_mul_f32_e32 v20, v19, v18
	v_fma_f32 v21, -v17, v20, v19
	v_fmac_f32_e32 v20, v21, v18
	v_fma_f32 v17, -v17, v20, v19
	v_div_fmas_f32 v17, v17, v18, v20
	v_div_fixup_f32 v17, v17, v10, 1.0
	v_fma_f32 v10, v11, v2, v3
	v_fma_f32 v11, v11, v3, -v2
	v_mul_f32_e32 v10, v10, v17
	v_mul_f32_e32 v11, v11, v17
	s_cbranch_execz .LBB152_56
	s_branch .LBB152_57
.LBB152_55:                             ;   in Loop: Header=BB152_46 Depth=1
                                        ; implicit-def: $vgpr11
.LBB152_56:                             ;   in Loop: Header=BB152_46 Depth=1
	v_div_scale_f32 v10, s[2:3], v4, v4, v5
	v_rcp_f32_e32 v11, v10
	v_div_scale_f32 v17, vcc, v5, v4, v5
	v_fma_f32 v18, -v10, v11, 1.0
	v_fmac_f32_e32 v11, v18, v11
	v_mul_f32_e32 v18, v17, v11
	v_fma_f32 v19, -v10, v18, v17
	v_fmac_f32_e32 v18, v19, v11
	v_fma_f32 v10, -v10, v18, v17
	v_div_fmas_f32 v10, v10, v11, v18
	v_div_fixup_f32 v11, v10, v4, v5
	v_fmac_f32_e32 v4, v5, v11
	v_div_scale_f32 v5, s[2:3], v4, v4, 1.0
	v_rcp_f32_e32 v10, v5
	v_fma_f32 v17, -v5, v10, 1.0
	v_fmac_f32_e32 v10, v17, v10
	v_div_scale_f32 v17, vcc, 1.0, v4, 1.0
	v_mul_f32_e32 v18, v17, v10
	v_fma_f32 v19, -v5, v18, v17
	v_fmac_f32_e32 v18, v19, v10
	v_fma_f32 v5, -v5, v18, v17
	v_div_fmas_f32 v5, v5, v10, v18
	v_div_fixup_f32 v4, v5, v4, 1.0
	v_fma_f32 v5, v11, v3, v2
	v_fma_f32 v2, -v11, v2, v3
	v_mul_f32_e32 v10, v5, v4
	v_mul_f32_e32 v11, v2, v4
.LBB152_57:                             ;   in Loop: Header=BB152_46 Depth=1
	v_mov_b32_e32 v2, s8
	ds_read2_b64 v[2:5], v2 offset0:2 offset1:34
	s_add_i32 s7, s7, s5
	s_lshl_b32 s7, s7, 3
	ds_write_b64 v16, v[10:11]
	v_mov_b32_e32 v16, s7
	s_waitcnt lgkmcnt(1)
	v_mul_f32_e32 v17, v13, v3
	v_fma_f32 v18, v12, v2, -v17
	ds_read_b64 v[16:17], v16 offset:16
	v_mul_f32_e32 v3, v12, v3
	v_fmac_f32_e32 v3, v13, v2
	v_sub_f32_e32 v2, v8, v18
	v_sub_f32_e32 v3, v9, v3
	s_waitcnt lgkmcnt(0)
	v_mul_f32_e32 v8, v11, v17
	v_fma_f32 v8, v10, v16, -v8
	v_mul_f32_e32 v9, v10, v17
	v_cmp_gt_f32_e32 vcc, 0, v5
	v_fmac_f32_e32 v9, v11, v16
	v_sub_f32_e32 v2, v2, v8
	v_cndmask_b32_e64 v8, v5, -v5, vcc
	v_cmp_gt_f32_e32 vcc, 0, v4
	v_sub_f32_e32 v3, v3, v9
	v_cndmask_b32_e64 v9, v4, -v4, vcc
	v_cmp_ngt_f32_e32 vcc, v9, v8
	s_cbranch_vccz .LBB152_59
; %bb.58:                               ;   in Loop: Header=BB152_46 Depth=1
	v_div_scale_f32 v8, s[2:3], v5, v5, v4
	v_rcp_f32_e32 v9, v8
	v_div_scale_f32 v16, vcc, v4, v5, v4
	v_fma_f32 v17, -v8, v9, 1.0
	v_fmac_f32_e32 v9, v17, v9
	v_mul_f32_e32 v17, v16, v9
	v_fma_f32 v18, -v8, v17, v16
	v_fmac_f32_e32 v17, v18, v9
	v_fma_f32 v8, -v8, v17, v16
	v_div_fmas_f32 v8, v8, v9, v17
	v_div_fixup_f32 v9, v8, v5, v4
	v_fma_f32 v8, v4, v9, v5
	v_div_scale_f32 v16, s[2:3], v8, v8, 1.0
	v_rcp_f32_e32 v17, v16
	v_fma_f32 v18, -v16, v17, 1.0
	v_fmac_f32_e32 v17, v18, v17
	v_div_scale_f32 v18, vcc, 1.0, v8, 1.0
	v_mul_f32_e32 v19, v18, v17
	v_fma_f32 v20, -v16, v19, v18
	v_fmac_f32_e32 v19, v20, v17
	v_fma_f32 v16, -v16, v19, v18
	v_div_fmas_f32 v16, v16, v17, v19
	v_div_fixup_f32 v16, v16, v8, 1.0
	v_fma_f32 v8, v9, v2, v3
	v_fma_f32 v9, v9, v3, -v2
	v_mul_f32_e32 v8, v8, v16
	v_mul_f32_e32 v9, v9, v16
	s_cbranch_execz .LBB152_60
	s_branch .LBB152_61
.LBB152_59:                             ;   in Loop: Header=BB152_46 Depth=1
                                        ; implicit-def: $vgpr9
.LBB152_60:                             ;   in Loop: Header=BB152_46 Depth=1
	v_div_scale_f32 v8, s[2:3], v4, v4, v5
	v_rcp_f32_e32 v9, v8
	v_div_scale_f32 v16, vcc, v5, v4, v5
	v_fma_f32 v17, -v8, v9, 1.0
	v_fmac_f32_e32 v9, v17, v9
	v_mul_f32_e32 v17, v16, v9
	v_fma_f32 v18, -v8, v17, v16
	v_fmac_f32_e32 v17, v18, v9
	v_fma_f32 v8, -v8, v17, v16
	v_div_fmas_f32 v8, v8, v9, v17
	v_div_fixup_f32 v9, v8, v4, v5
	v_fmac_f32_e32 v4, v5, v9
	v_div_scale_f32 v5, s[2:3], v4, v4, 1.0
	v_rcp_f32_e32 v8, v5
	v_fma_f32 v16, -v5, v8, 1.0
	v_fmac_f32_e32 v8, v16, v8
	v_div_scale_f32 v16, vcc, 1.0, v4, 1.0
	v_mul_f32_e32 v17, v16, v8
	v_fma_f32 v18, -v5, v17, v16
	v_fmac_f32_e32 v17, v18, v8
	v_fma_f32 v5, -v5, v17, v16
	v_div_fmas_f32 v5, v5, v8, v17
	v_div_fixup_f32 v4, v5, v4, 1.0
	v_fma_f32 v5, v9, v3, v2
	v_fma_f32 v2, -v9, v2, v3
	v_mul_f32_e32 v8, v5, v4
	v_mul_f32_e32 v9, v2, v4
.LBB152_61:                             ;   in Loop: Header=BB152_46 Depth=1
	v_mov_b32_e32 v2, s8
	ds_read2_b64 v[2:5], v2 offset0:3 offset1:51
	ds_write_b64 v15, v[8:9]
	s_add_i32 s6, s6, s5
	s_lshl_b32 s2, s6, 3
	s_waitcnt lgkmcnt(1)
	v_mul_f32_e32 v15, v13, v3
	v_mul_f32_e32 v3, v12, v3
	v_fma_f32 v12, v12, v2, -v15
	v_fmac_f32_e32 v3, v13, v2
	v_mov_b32_e32 v2, s7
	v_sub_f32_e32 v12, v6, v12
	v_sub_f32_e32 v13, v7, v3
	ds_read_b64 v[2:3], v2 offset:24
	v_mov_b32_e32 v6, s2
	ds_read_b64 v[6:7], v6 offset:24
	v_cmp_gt_f32_e32 vcc, 0, v5
	s_waitcnt lgkmcnt(1)
	v_mul_f32_e32 v15, v11, v3
	v_fma_f32 v15, v10, v2, -v15
	v_mul_f32_e32 v3, v10, v3
	s_waitcnt lgkmcnt(0)
	v_mul_f32_e32 v10, v9, v7
	v_fmac_f32_e32 v3, v11, v2
	v_sub_f32_e32 v2, v12, v15
	v_fma_f32 v10, v8, v6, -v10
	v_mul_f32_e32 v7, v8, v7
	v_sub_f32_e32 v3, v13, v3
	v_fmac_f32_e32 v7, v9, v6
	v_sub_f32_e32 v6, v2, v10
	v_cndmask_b32_e64 v2, v5, -v5, vcc
	v_cmp_gt_f32_e32 vcc, 0, v4
	v_sub_f32_e32 v7, v3, v7
	v_cndmask_b32_e64 v3, v4, -v4, vcc
	v_cmp_ngt_f32_e32 vcc, v3, v2
	s_cbranch_vccz .LBB152_63
; %bb.62:                               ;   in Loop: Header=BB152_46 Depth=1
	v_div_scale_f32 v2, s[2:3], v5, v5, v4
	v_rcp_f32_e32 v3, v2
	v_div_scale_f32 v8, vcc, v4, v5, v4
	v_fma_f32 v9, -v2, v3, 1.0
	v_fmac_f32_e32 v3, v9, v3
	v_mul_f32_e32 v9, v8, v3
	v_fma_f32 v10, -v2, v9, v8
	v_fmac_f32_e32 v9, v10, v3
	v_fma_f32 v2, -v2, v9, v8
	v_div_fmas_f32 v2, v2, v3, v9
	v_div_fixup_f32 v3, v2, v5, v4
	v_fma_f32 v2, v4, v3, v5
	v_div_scale_f32 v8, s[2:3], v2, v2, 1.0
	v_rcp_f32_e32 v9, v8
	v_fma_f32 v10, -v8, v9, 1.0
	v_fmac_f32_e32 v9, v10, v9
	v_div_scale_f32 v10, vcc, 1.0, v2, 1.0
	v_mul_f32_e32 v11, v10, v9
	v_fma_f32 v12, -v8, v11, v10
	v_fmac_f32_e32 v11, v12, v9
	v_fma_f32 v8, -v8, v11, v10
	v_div_fmas_f32 v8, v8, v9, v11
	v_div_fixup_f32 v8, v8, v2, 1.0
	v_fma_f32 v2, v3, v6, v7
	v_fma_f32 v3, v3, v7, -v6
	v_mul_f32_e32 v2, v2, v8
	v_mul_f32_e32 v3, v3, v8
	s_cbranch_execz .LBB152_64
	s_branch .LBB152_65
.LBB152_63:                             ;   in Loop: Header=BB152_46 Depth=1
                                        ; implicit-def: $vgpr3
.LBB152_64:                             ;   in Loop: Header=BB152_46 Depth=1
	v_div_scale_f32 v2, s[2:3], v4, v4, v5
	v_rcp_f32_e32 v3, v2
	v_div_scale_f32 v8, vcc, v5, v4, v5
	v_fma_f32 v9, -v2, v3, 1.0
	v_fmac_f32_e32 v3, v9, v3
	v_mul_f32_e32 v9, v8, v3
	v_fma_f32 v10, -v2, v9, v8
	v_fmac_f32_e32 v9, v10, v3
	v_fma_f32 v2, -v2, v9, v8
	v_div_fmas_f32 v2, v2, v3, v9
	v_div_fixup_f32 v3, v2, v4, v5
	v_fmac_f32_e32 v4, v5, v3
	v_div_scale_f32 v2, s[2:3], v4, v4, 1.0
	v_rcp_f32_e32 v5, v2
	v_fma_f32 v8, -v2, v5, 1.0
	v_fmac_f32_e32 v5, v8, v5
	v_div_scale_f32 v8, vcc, 1.0, v4, 1.0
	v_mul_f32_e32 v9, v8, v5
	v_fma_f32 v10, -v2, v9, v8
	v_fmac_f32_e32 v9, v10, v5
	v_fma_f32 v2, -v2, v9, v8
	v_div_fmas_f32 v2, v2, v5, v9
	v_div_fixup_f32 v4, v2, v4, 1.0
	v_fma_f32 v2, v3, v7, v6
	v_fma_f32 v3, -v3, v6, v7
	v_mul_f32_e32 v2, v2, v4
	v_mul_f32_e32 v3, v3, v4
.LBB152_65:                             ;   in Loop: Header=BB152_46 Depth=1
	s_add_i32 s6, s5, 4
	s_add_i32 s2, s5, 7
	;; [unrolled: 1-line block ×3, first 2 shown]
	s_cmp_ge_i32 s2, s33
	ds_write_b64 v14, v[2:3]
	s_cbranch_scc1 .LBB152_67
; %bb.66:                               ;   in Loop: Header=BB152_46 Depth=1
	s_mov_b32 s5, s6
	s_branch .LBB152_46
.LBB152_67:
	s_cmp_ge_i32 s6, s33
	s_cbranch_scc1 .LBB152_82
; %bb.68:
	v_mov_b32_e32 v1, 0x800
	s_add_i32 s4, s6, -1
	v_lshl_or_b32 v1, v0, 3, v1
	s_lshl_b32 s5, s6, 3
	s_mov_b32 s7, 0
	v_lshlrev_b32_e32 v8, 3, v0
	s_mov_b32 s8, s6
	s_branch .LBB152_70
.LBB152_69:                             ;   in Loop: Header=BB152_70 Depth=1
	s_add_i32 s6, s6, 1
	s_add_i32 s7, s7, 1
	;; [unrolled: 1-line block ×3, first 2 shown]
	v_add_u16_e64 v2, s8, 1
	s_cmp_ge_i32 s6, s33
	v_readfirstlane_b32 s8, v2
	ds_write_b64 v9, v[6:7]
	s_cbranch_scc1 .LBB152_82
.LBB152_70:                             ; =>This Loop Header: Depth=1
                                        ;     Child Loop BB152_73 Depth 2
                                        ;     Child Loop BB152_77 Depth 2
	v_lshl_or_b32 v4, s6, 7, v8
	ds_read_b64 v[2:3], v4 offset:2048
	s_cmp_eq_u32 s6, 0
	s_cbranch_scc1 .LBB152_78
; %bb.71:                               ;   in Loop: Header=BB152_70 Depth=1
	s_add_i32 s2, s4, s7
	s_cmp_lt_u32 s2, 7
	s_cbranch_scc1 .LBB152_75
; %bb.72:                               ;   in Loop: Header=BB152_70 Depth=1
	s_and_b32 s2, s6, -8
	s_mov_b32 s3, 0
	s_mov_b32 s9, s5
	v_mov_b32_e32 v5, v1
.LBB152_73:                             ;   Parent Loop BB152_70 Depth=1
                                        ; =>  This Inner Loop Header: Depth=2
	ds_read2_b64 v[10:13], v5 offset1:16
	v_mov_b32_e32 v6, s9
	ds_read2_b64 v[14:17], v5 offset0:32 offset1:48
	ds_read2_b64 v[18:21], v5 offset0:64 offset1:80
	ds_read2_b64 v[22:25], v5 offset0:96 offset1:112
	ds_read2_b64 v[26:29], v6 offset1:16
	ds_read2_b64 v[30:33], v6 offset0:32 offset1:48
	ds_read2_b64 v[34:37], v6 offset0:64 offset1:80
	;; [unrolled: 1-line block ×3, first 2 shown]
	s_add_i32 s3, s3, 8
	s_waitcnt lgkmcnt(3)
	v_pk_mul_f32 v[6:7], v[26:27], v[10:11] op_sel:[0,1]
	v_pk_mul_f32 v[42:43], v[28:29], v[12:13] op_sel:[0,1]
	v_pk_fma_f32 v[56:57], v[26:27], v[10:11], v[6:7] op_sel:[0,0,1] op_sel_hi:[1,0,0]
	v_pk_fma_f32 v[6:7], v[26:27], v[10:11], v[6:7] op_sel:[0,0,1] op_sel_hi:[1,0,0] neg_lo:[0,0,1] neg_hi:[0,0,1]
	s_waitcnt lgkmcnt(2)
	v_pk_mul_f32 v[44:45], v[30:31], v[14:15] op_sel:[0,1]
	v_pk_fma_f32 v[10:11], v[28:29], v[12:13], v[42:43] op_sel:[0,0,1] op_sel_hi:[1,0,0]
	v_pk_fma_f32 v[12:13], v[28:29], v[12:13], v[42:43] op_sel:[0,0,1] op_sel_hi:[1,0,0] neg_lo:[0,0,1] neg_hi:[0,0,1]
	v_mov_b32_e32 v7, v57
	v_pk_mul_f32 v[46:47], v[32:33], v[16:17] op_sel:[0,1]
	v_pk_fma_f32 v[26:27], v[30:31], v[14:15], v[44:45] op_sel:[0,0,1] op_sel_hi:[1,0,0]
	v_pk_fma_f32 v[14:15], v[30:31], v[14:15], v[44:45] op_sel:[0,0,1] op_sel_hi:[1,0,0] neg_lo:[0,0,1] neg_hi:[0,0,1]
	v_mov_b32_e32 v13, v11
	v_pk_add_f32 v[2:3], v[2:3], v[6:7] neg_lo:[0,1] neg_hi:[0,1]
	s_waitcnt lgkmcnt(1)
	v_pk_mul_f32 v[48:49], v[34:35], v[18:19] op_sel:[0,1]
	v_pk_fma_f32 v[28:29], v[32:33], v[16:17], v[46:47] op_sel:[0,0,1] op_sel_hi:[1,0,0]
	v_pk_fma_f32 v[16:17], v[32:33], v[16:17], v[46:47] op_sel:[0,0,1] op_sel_hi:[1,0,0] neg_lo:[0,0,1] neg_hi:[0,0,1]
	v_mov_b32_e32 v15, v27
	v_pk_add_f32 v[2:3], v[2:3], v[12:13] neg_lo:[0,1] neg_hi:[0,1]
	v_pk_mul_f32 v[50:51], v[36:37], v[20:21] op_sel:[0,1]
	v_pk_fma_f32 v[30:31], v[34:35], v[18:19], v[48:49] op_sel:[0,0,1] op_sel_hi:[1,0,0]
	v_pk_fma_f32 v[18:19], v[34:35], v[18:19], v[48:49] op_sel:[0,0,1] op_sel_hi:[1,0,0] neg_lo:[0,0,1] neg_hi:[0,0,1]
	v_mov_b32_e32 v17, v29
	v_pk_add_f32 v[2:3], v[2:3], v[14:15] neg_lo:[0,1] neg_hi:[0,1]
	s_waitcnt lgkmcnt(0)
	v_pk_mul_f32 v[52:53], v[38:39], v[22:23] op_sel:[0,1]
	v_pk_fma_f32 v[32:33], v[36:37], v[20:21], v[50:51] op_sel:[0,0,1] op_sel_hi:[1,0,0]
	v_pk_fma_f32 v[20:21], v[36:37], v[20:21], v[50:51] op_sel:[0,0,1] op_sel_hi:[1,0,0] neg_lo:[0,0,1] neg_hi:[0,0,1]
	v_mov_b32_e32 v19, v31
	v_pk_add_f32 v[2:3], v[2:3], v[16:17] neg_lo:[0,1] neg_hi:[0,1]
	v_pk_mul_f32 v[54:55], v[40:41], v[24:25] op_sel:[0,1]
	v_pk_fma_f32 v[34:35], v[38:39], v[22:23], v[52:53] op_sel:[0,0,1] op_sel_hi:[1,0,0]
	v_pk_fma_f32 v[22:23], v[38:39], v[22:23], v[52:53] op_sel:[0,0,1] op_sel_hi:[1,0,0] neg_lo:[0,0,1] neg_hi:[0,0,1]
	v_mov_b32_e32 v21, v33
	v_pk_add_f32 v[2:3], v[2:3], v[18:19] neg_lo:[0,1] neg_hi:[0,1]
	v_pk_fma_f32 v[36:37], v[40:41], v[24:25], v[54:55] op_sel:[0,0,1] op_sel_hi:[1,0,0]
	v_pk_fma_f32 v[24:25], v[40:41], v[24:25], v[54:55] op_sel:[0,0,1] op_sel_hi:[1,0,0] neg_lo:[0,0,1] neg_hi:[0,0,1]
	v_mov_b32_e32 v23, v35
	v_pk_add_f32 v[2:3], v[2:3], v[20:21] neg_lo:[0,1] neg_hi:[0,1]
	s_addk_i32 s9, 0x400
	v_mov_b32_e32 v25, v37
	v_pk_add_f32 v[2:3], v[2:3], v[22:23] neg_lo:[0,1] neg_hi:[0,1]
	v_add_u32_e32 v5, 0x400, v5
	s_cmp_eq_u32 s2, s3
	v_pk_add_f32 v[2:3], v[2:3], v[24:25] neg_lo:[0,1] neg_hi:[0,1]
	s_cbranch_scc0 .LBB152_73
; %bb.74:                               ;   in Loop: Header=BB152_70 Depth=1
	s_and_b32 s3, s6, 7
	s_cmp_eq_u32 s3, 0
	s_cbranch_scc0 .LBB152_76
	s_branch .LBB152_78
.LBB152_75:                             ;   in Loop: Header=BB152_70 Depth=1
	s_mov_b32 s2, 0
	s_and_b32 s3, s6, 7
	s_cmp_eq_u32 s3, 0
	s_cbranch_scc1 .LBB152_78
.LBB152_76:                             ;   in Loop: Header=BB152_70 Depth=1
	s_and_b32 s3, s8, 7
	s_lshl_b32 s2, s2, 7
.LBB152_77:                             ;   Parent Loop BB152_70 Depth=1
                                        ; =>  This Inner Loop Header: Depth=2
	v_add_u32_e32 v5, s2, v1
	s_add_i32 s9, s5, s2
	ds_read_b64 v[6:7], v5
	v_mov_b32_e32 v5, s9
	ds_read_b64 v[10:11], v5
	s_addk_i32 s2, 0x80
	s_add_i32 s3, s3, -1
	s_cmp_lg_u32 s3, 0
	s_waitcnt lgkmcnt(0)
	v_pk_mul_f32 v[12:13], v[10:11], v[6:7] op_sel:[0,1]
	v_pk_fma_f32 v[14:15], v[10:11], v[6:7], v[12:13] op_sel:[0,0,1] op_sel_hi:[1,0,0]
	v_pk_fma_f32 v[6:7], v[10:11], v[6:7], v[12:13] op_sel:[0,0,1] op_sel_hi:[1,0,0] neg_lo:[0,0,1] neg_hi:[0,0,1]
	v_mov_b32_e32 v7, v15
	v_pk_add_f32 v[2:3], v[2:3], v[6:7] neg_lo:[0,1] neg_hi:[0,1]
	s_cbranch_scc1 .LBB152_77
.LBB152_78:                             ;   in Loop: Header=BB152_70 Depth=1
	s_mul_i32 s2, s6, 0x88
	v_add_u32_e32 v9, 0x800, v4
	v_mov_b32_e32 v4, s2
	ds_read_b64 v[4:5], v4
	s_waitcnt lgkmcnt(0)
	v_cmp_gt_f32_e32 vcc, 0, v5
	v_cndmask_b32_e64 v6, v5, -v5, vcc
	v_cmp_gt_f32_e32 vcc, 0, v4
	v_cndmask_b32_e64 v7, v4, -v4, vcc
	v_cmp_ngt_f32_e32 vcc, v7, v6
	s_cbranch_vccz .LBB152_80
; %bb.79:                               ;   in Loop: Header=BB152_70 Depth=1
	v_div_scale_f32 v6, s[2:3], v5, v5, v4
	v_rcp_f32_e32 v7, v6
	v_div_scale_f32 v10, vcc, v4, v5, v4
	v_fma_f32 v11, -v6, v7, 1.0
	v_fmac_f32_e32 v7, v11, v7
	v_mul_f32_e32 v11, v10, v7
	v_fma_f32 v12, -v6, v11, v10
	v_fmac_f32_e32 v11, v12, v7
	v_fma_f32 v6, -v6, v11, v10
	v_div_fmas_f32 v6, v6, v7, v11
	v_div_fixup_f32 v6, v6, v5, v4
	v_fma_f32 v7, v4, v6, v5
	v_div_scale_f32 v10, s[2:3], v7, v7, 1.0
	v_rcp_f32_e32 v11, v10
	v_fma_f32 v12, -v10, v11, 1.0
	v_fmac_f32_e32 v11, v12, v11
	v_div_scale_f32 v12, vcc, 1.0, v7, 1.0
	v_mul_f32_e32 v13, v12, v11
	v_fma_f32 v14, -v10, v13, v12
	v_fmac_f32_e32 v13, v14, v11
	v_fma_f32 v10, -v10, v13, v12
	v_div_fmas_f32 v10, v10, v11, v13
	v_div_fixup_f32 v10, v10, v7, 1.0
	v_pk_fma_f32 v[12:13], v[2:3], v[6:7], v[2:3] op_sel:[0,0,1] op_sel_hi:[1,0,0] neg_lo:[0,0,1] neg_hi:[0,0,1]
	v_pk_fma_f32 v[6:7], v[2:3], v[6:7], v[2:3] op_sel:[0,0,1] op_sel_hi:[1,0,0]
	v_mov_b32_e32 v7, v13
	v_pk_mul_f32 v[6:7], v[6:7], v[10:11] op_sel_hi:[1,0]
	s_cbranch_execnz .LBB152_69
	s_branch .LBB152_81
.LBB152_80:                             ;   in Loop: Header=BB152_70 Depth=1
                                        ; implicit-def: $vgpr6_vgpr7
.LBB152_81:                             ;   in Loop: Header=BB152_70 Depth=1
	v_div_scale_f32 v6, s[2:3], v4, v4, v5
	v_rcp_f32_e32 v7, v6
	v_div_scale_f32 v10, vcc, v5, v4, v5
	v_fma_f32 v11, -v6, v7, 1.0
	v_fmac_f32_e32 v7, v11, v7
	v_mul_f32_e32 v11, v10, v7
	v_fma_f32 v12, -v6, v11, v10
	v_fmac_f32_e32 v11, v12, v7
	v_fma_f32 v6, -v6, v11, v10
	v_div_fmas_f32 v6, v6, v7, v11
	v_div_fixup_f32 v6, v6, v4, v5
	v_fmac_f32_e32 v4, v5, v6
	v_div_scale_f32 v5, s[2:3], v4, v4, 1.0
	v_rcp_f32_e32 v7, v5
	v_fma_f32 v10, -v5, v7, 1.0
	v_fmac_f32_e32 v7, v10, v7
	v_div_scale_f32 v10, vcc, 1.0, v4, 1.0
	v_mul_f32_e32 v11, v10, v7
	v_fma_f32 v12, -v5, v11, v10
	v_fmac_f32_e32 v11, v12, v7
	v_fma_f32 v5, -v5, v11, v10
	v_div_fmas_f32 v5, v5, v7, v11
	v_pk_mul_f32 v[6:7], v[2:3], v[6:7] op_sel_hi:[1,0]
	v_pk_add_f32 v[10:11], v[2:3], v[6:7] op_sel:[0,1] op_sel_hi:[1,0] neg_lo:[0,1] neg_hi:[0,1]
	v_pk_add_f32 v[2:3], v[2:3], v[6:7] op_sel:[0,1] op_sel_hi:[1,0]
	v_div_fixup_f32 v4, v5, v4, 1.0
	v_mov_b32_e32 v3, v11
	v_pk_mul_f32 v[6:7], v[2:3], v[4:5] op_sel_hi:[1,0]
	s_branch .LBB152_69
.LBB152_82:
	s_mov_b64 s[2:3], 0
.LBB152_83:
	s_and_b64 vcc, exec, s[2:3]
	s_cbranch_vccz .LBB152_115
; %bb.84:
	s_andn2_b64 vcc, exec, s[0:1]
	s_mov_b32 s6, s50
	s_cbranch_vccnz .LBB152_106
; %bb.85:
	v_lshlrev_b32_e32 v1, 3, v0
	v_lshl_or_b32 v2, s33, 7, v1
	s_mul_i32 s2, s33, 0x88
	v_add_u32_e32 v14, 0x700, v2
	s_add_i32 s4, s2, 0xfffffee0
	s_mov_b32 s5, s50
.LBB152_86:                             ; =>This Loop Header: Depth=1
                                        ;     Child Loop BB152_87 Depth 2
	s_lshl_b32 s9, s5, 4
	s_add_i32 s11, s5, -1
	v_or_b32_e32 v2, s9, v0
	s_lshl_b32 s7, s11, 4
	s_add_i32 s10, s5, -2
	v_lshlrev_b32_e32 v6, 3, v2
	v_or_b32_e32 v2, s7, v0
	s_lshl_b32 s6, s10, 4
	v_lshlrev_b32_e32 v7, 3, v2
	v_or_b32_e32 v2, s6, v0
	s_add_i32 s8, s5, -3
	v_lshlrev_b32_e32 v12, 3, v2
	v_lshl_or_b32 v13, s8, 7, v1
	ds_read_b64 v[10:11], v6 offset:2048
	ds_read_b64 v[8:9], v7 offset:2048
	;; [unrolled: 1-line block ×4, first 2 shown]
	s_cmp_le_i32 s50, s5
	s_mov_b32 s2, s4
	v_mov_b32_e32 v15, v14
	s_mov_b32 s3, s50
	s_cbranch_scc1 .LBB152_88
.LBB152_87:                             ;   Parent Loop BB152_86 Depth=1
                                        ; =>  This Inner Loop Header: Depth=2
	ds_read2_b64 v[16:19], v15 offset1:16
	v_mov_b32_e32 v32, s2
	ds_read2_b64 v[20:23], v32 offset0:18 offset1:19
	ds_read2_b64 v[24:27], v32 offset0:16 offset1:17
	;; [unrolled: 1-line block ×3, first 2 shown]
	ds_read2_b64 v[32:35], v32 offset1:1
	s_add_i32 s3, s3, -2
	s_addk_i32 s2, 0xff00
	s_waitcnt lgkmcnt(3)
	v_mul_f32_e32 v36, v23, v19
	v_mul_f32_e32 v37, v22, v19
	v_mul_f32_e32 v38, v21, v19
	v_mul_f32_e32 v21, v21, v18
	s_waitcnt lgkmcnt(2)
	v_mul_f32_e32 v39, v27, v19
	v_mul_f32_e32 v27, v27, v18
	v_mul_f32_e32 v40, v25, v19
	v_mul_f32_e32 v25, v25, v18
	s_waitcnt lgkmcnt(1)
	v_mul_f32_e32 v41, v31, v17
	v_mul_f32_e32 v42, v30, v17
	v_mul_f32_e32 v43, v29, v17
	v_mul_f32_e32 v29, v29, v16
	s_waitcnt lgkmcnt(0)
	v_mul_f32_e32 v44, v35, v17
	v_mul_f32_e32 v35, v35, v16
	v_mul_f32_e32 v45, v33, v17
	v_mul_f32_e32 v33, v33, v16
	v_fma_f32 v22, v22, v18, -v36
	v_fmac_f32_e32 v37, v23, v18
	v_fma_f32 v23, v20, v18, -v38
	v_fmac_f32_e32 v21, v20, v19
	;; [unrolled: 2-line block ×8, first 2 shown]
	v_sub_f32_e32 v10, v10, v22
	v_sub_f32_e32 v11, v11, v37
	;; [unrolled: 1-line block ×8, first 2 shown]
	v_add_u32_e32 v15, 0xffffff00, v15
	s_cmp_le_i32 s3, s5
	v_sub_f32_e32 v10, v10, v19
	v_sub_f32_e32 v11, v11, v42
	;; [unrolled: 1-line block ×8, first 2 shown]
	s_cbranch_scc0 .LBB152_87
.LBB152_88:                             ;   in Loop: Header=BB152_86 Depth=1
	s_mul_i32 s12, s5, 0x88
	v_add_u32_e32 v18, 0x800, v6
	v_mov_b32_e32 v6, s12
	v_add_u32_e32 v16, 0x800, v12
	v_add_u32_e32 v15, 0x800, v13
	ds_read_b64 v[12:13], v6
	v_add_u32_e32 v17, 0x800, v7
	s_waitcnt lgkmcnt(0)
	v_cmp_gt_f32_e32 vcc, 0, v13
	v_cndmask_b32_e64 v6, v13, -v13, vcc
	v_cmp_gt_f32_e32 vcc, 0, v12
	v_cndmask_b32_e64 v7, v12, -v12, vcc
	v_cmp_ngt_f32_e32 vcc, v7, v6
	s_cbranch_vccz .LBB152_90
; %bb.89:                               ;   in Loop: Header=BB152_86 Depth=1
	v_div_scale_f32 v6, s[2:3], v13, v13, v12
	v_rcp_f32_e32 v7, v6
	v_div_scale_f32 v19, vcc, v12, v13, v12
	v_fma_f32 v20, -v6, v7, 1.0
	v_fmac_f32_e32 v7, v20, v7
	v_mul_f32_e32 v20, v19, v7
	v_fma_f32 v21, -v6, v20, v19
	v_fmac_f32_e32 v20, v21, v7
	v_fma_f32 v6, -v6, v20, v19
	v_div_fmas_f32 v6, v6, v7, v20
	v_div_fixup_f32 v7, v6, v13, v12
	v_fma_f32 v6, v12, v7, v13
	v_div_scale_f32 v19, s[2:3], v6, v6, 1.0
	v_rcp_f32_e32 v20, v19
	v_fma_f32 v21, -v19, v20, 1.0
	v_fmac_f32_e32 v20, v21, v20
	v_div_scale_f32 v21, vcc, 1.0, v6, 1.0
	v_mul_f32_e32 v22, v21, v20
	v_fma_f32 v23, -v19, v22, v21
	v_fmac_f32_e32 v22, v23, v20
	v_fma_f32 v19, -v19, v22, v21
	v_div_fmas_f32 v19, v19, v20, v22
	v_div_fixup_f32 v19, v19, v6, 1.0
	v_fma_f32 v6, v10, v7, v11
	v_fma_f32 v7, v11, v7, -v10
	v_mul_f32_e32 v6, v6, v19
	v_mul_f32_e32 v7, v7, v19
	s_cbranch_execz .LBB152_91
	s_branch .LBB152_92
.LBB152_90:                             ;   in Loop: Header=BB152_86 Depth=1
                                        ; implicit-def: $vgpr7
.LBB152_91:                             ;   in Loop: Header=BB152_86 Depth=1
	v_div_scale_f32 v6, s[2:3], v12, v12, v13
	v_rcp_f32_e32 v7, v6
	v_div_scale_f32 v19, vcc, v13, v12, v13
	v_fma_f32 v20, -v6, v7, 1.0
	v_fmac_f32_e32 v7, v20, v7
	v_mul_f32_e32 v20, v19, v7
	v_fma_f32 v21, -v6, v20, v19
	v_fmac_f32_e32 v20, v21, v7
	v_fma_f32 v6, -v6, v20, v19
	v_div_fmas_f32 v6, v6, v7, v20
	v_div_fixup_f32 v7, v6, v12, v13
	v_fmac_f32_e32 v12, v13, v7
	v_div_scale_f32 v6, s[2:3], v12, v12, 1.0
	v_rcp_f32_e32 v13, v6
	v_fma_f32 v19, -v6, v13, 1.0
	v_fmac_f32_e32 v13, v19, v13
	v_div_scale_f32 v19, vcc, 1.0, v12, 1.0
	v_mul_f32_e32 v20, v19, v13
	v_fma_f32 v21, -v6, v20, v19
	v_fmac_f32_e32 v20, v21, v13
	v_fma_f32 v6, -v6, v20, v19
	v_div_fmas_f32 v6, v6, v13, v20
	v_div_fixup_f32 v12, v6, v12, 1.0
	v_fma_f32 v6, v11, v7, v10
	v_fma_f32 v7, -v10, v7, v11
	v_mul_f32_e32 v6, v6, v12
	v_mul_f32_e32 v7, v7, v12
.LBB152_92:                             ;   in Loop: Header=BB152_86 Depth=1
	s_add_i32 s2, s9, s11
	s_lshl_b32 s2, s2, 3
	v_mov_b32_e32 v10, s2
	s_add_i32 s11, s12, 0xffffff78
	ds_read_b64 v[12:13], v10
	v_mov_b32_e32 v10, s11
	ds_read_b64 v[10:11], v10
	ds_write_b64 v18, v[6:7]
	s_waitcnt lgkmcnt(2)
	v_mul_f32_e32 v18, v7, v13
	v_fma_f32 v18, v6, v12, -v18
	v_mul_f32_e32 v13, v6, v13
	s_waitcnt lgkmcnt(1)
	v_cmp_gt_f32_e32 vcc, 0, v11
	v_fmac_f32_e32 v13, v7, v12
	v_sub_f32_e32 v12, v8, v18
	v_cndmask_b32_e64 v8, v11, -v11, vcc
	v_cmp_gt_f32_e32 vcc, 0, v10
	v_sub_f32_e32 v13, v9, v13
	v_cndmask_b32_e64 v9, v10, -v10, vcc
	v_cmp_ngt_f32_e32 vcc, v9, v8
	s_cbranch_vccz .LBB152_94
; %bb.93:                               ;   in Loop: Header=BB152_86 Depth=1
	v_div_scale_f32 v8, s[2:3], v11, v11, v10
	v_rcp_f32_e32 v9, v8
	v_div_scale_f32 v18, vcc, v10, v11, v10
	v_fma_f32 v19, -v8, v9, 1.0
	v_fmac_f32_e32 v9, v19, v9
	v_mul_f32_e32 v19, v18, v9
	v_fma_f32 v20, -v8, v19, v18
	v_fmac_f32_e32 v19, v20, v9
	v_fma_f32 v8, -v8, v19, v18
	v_div_fmas_f32 v8, v8, v9, v19
	v_div_fixup_f32 v9, v8, v11, v10
	v_fma_f32 v8, v10, v9, v11
	v_div_scale_f32 v18, s[2:3], v8, v8, 1.0
	v_rcp_f32_e32 v19, v18
	v_fma_f32 v20, -v18, v19, 1.0
	v_fmac_f32_e32 v19, v20, v19
	v_div_scale_f32 v20, vcc, 1.0, v8, 1.0
	v_mul_f32_e32 v21, v20, v19
	v_fma_f32 v22, -v18, v21, v20
	v_fmac_f32_e32 v21, v22, v19
	v_fma_f32 v18, -v18, v21, v20
	v_div_fmas_f32 v18, v18, v19, v21
	v_div_fixup_f32 v18, v18, v8, 1.0
	v_fma_f32 v8, v9, v12, v13
	v_fma_f32 v9, v9, v13, -v12
	v_mul_f32_e32 v8, v8, v18
	v_mul_f32_e32 v9, v9, v18
	s_cbranch_execz .LBB152_95
	s_branch .LBB152_96
.LBB152_94:                             ;   in Loop: Header=BB152_86 Depth=1
                                        ; implicit-def: $vgpr9
.LBB152_95:                             ;   in Loop: Header=BB152_86 Depth=1
	v_div_scale_f32 v8, s[2:3], v10, v10, v11
	v_rcp_f32_e32 v9, v8
	v_div_scale_f32 v18, vcc, v11, v10, v11
	v_fma_f32 v19, -v8, v9, 1.0
	v_fmac_f32_e32 v9, v19, v9
	v_mul_f32_e32 v19, v18, v9
	v_fma_f32 v20, -v8, v19, v18
	v_fmac_f32_e32 v19, v20, v9
	v_fma_f32 v8, -v8, v19, v18
	v_div_fmas_f32 v8, v8, v9, v19
	v_div_fixup_f32 v9, v8, v10, v11
	v_fmac_f32_e32 v10, v11, v9
	v_div_scale_f32 v8, s[2:3], v10, v10, 1.0
	v_rcp_f32_e32 v11, v8
	v_fma_f32 v18, -v8, v11, 1.0
	v_fmac_f32_e32 v11, v18, v11
	v_div_scale_f32 v18, vcc, 1.0, v10, 1.0
	v_mul_f32_e32 v19, v18, v11
	v_fma_f32 v20, -v8, v19, v18
	v_fmac_f32_e32 v19, v20, v11
	v_fma_f32 v8, -v8, v19, v18
	v_div_fmas_f32 v8, v8, v11, v19
	v_div_fixup_f32 v10, v8, v10, 1.0
	v_fma_f32 v8, v9, v13, v12
	v_fma_f32 v9, -v9, v12, v13
	v_mul_f32_e32 v8, v8, v10
	v_mul_f32_e32 v9, v9, v10
.LBB152_96:                             ;   in Loop: Header=BB152_86 Depth=1
	s_add_i32 s2, s9, s10
	s_lshl_b32 s2, s2, 3
	v_mov_b32_e32 v10, s2
	s_add_i32 s2, s7, s10
	s_lshl_b32 s2, s2, 3
	ds_read_b64 v[12:13], v10
	s_add_i32 s10, s11, 0xffffff78
	ds_write_b64 v17, v[8:9]
	v_mov_b32_e32 v11, s2
	v_mov_b32_e32 v10, s10
	ds_read_b64 v[18:19], v11
	ds_read_b64 v[10:11], v10
	s_waitcnt lgkmcnt(3)
	v_mul_f32_e32 v17, v7, v13
	v_mul_f32_e32 v13, v6, v13
	v_fma_f32 v17, v6, v12, -v17
	v_fmac_f32_e32 v13, v7, v12
	s_waitcnt lgkmcnt(1)
	v_mul_f32_e32 v12, v9, v19
	v_sub_f32_e32 v4, v4, v17
	v_sub_f32_e32 v5, v5, v13
	v_fma_f32 v12, v8, v18, -v12
	v_mul_f32_e32 v13, v8, v19
	s_waitcnt lgkmcnt(0)
	v_cmp_gt_f32_e32 vcc, 0, v11
	v_fmac_f32_e32 v13, v9, v18
	v_sub_f32_e32 v4, v4, v12
	v_cndmask_b32_e64 v12, v11, -v11, vcc
	v_cmp_gt_f32_e32 vcc, 0, v10
	v_sub_f32_e32 v5, v5, v13
	v_cndmask_b32_e64 v13, v10, -v10, vcc
	v_cmp_ngt_f32_e32 vcc, v13, v12
	s_cbranch_vccz .LBB152_98
; %bb.97:                               ;   in Loop: Header=BB152_86 Depth=1
	v_div_scale_f32 v12, s[2:3], v11, v11, v10
	v_rcp_f32_e32 v13, v12
	v_div_scale_f32 v17, vcc, v10, v11, v10
	v_fma_f32 v18, -v12, v13, 1.0
	v_fmac_f32_e32 v13, v18, v13
	v_mul_f32_e32 v18, v17, v13
	v_fma_f32 v19, -v12, v18, v17
	v_fmac_f32_e32 v18, v19, v13
	v_fma_f32 v12, -v12, v18, v17
	v_div_fmas_f32 v12, v12, v13, v18
	v_div_fixup_f32 v13, v12, v11, v10
	v_fma_f32 v12, v10, v13, v11
	v_div_scale_f32 v17, s[2:3], v12, v12, 1.0
	v_rcp_f32_e32 v18, v17
	v_fma_f32 v19, -v17, v18, 1.0
	v_fmac_f32_e32 v18, v19, v18
	v_div_scale_f32 v19, vcc, 1.0, v12, 1.0
	v_mul_f32_e32 v20, v19, v18
	v_fma_f32 v21, -v17, v20, v19
	v_fmac_f32_e32 v20, v21, v18
	v_fma_f32 v17, -v17, v20, v19
	v_div_fmas_f32 v17, v17, v18, v20
	v_div_fixup_f32 v17, v17, v12, 1.0
	v_fma_f32 v12, v13, v4, v5
	v_fma_f32 v13, v13, v5, -v4
	v_mul_f32_e32 v12, v12, v17
	v_mul_f32_e32 v13, v13, v17
	s_cbranch_execz .LBB152_99
	s_branch .LBB152_100
.LBB152_98:                             ;   in Loop: Header=BB152_86 Depth=1
                                        ; implicit-def: $vgpr13
.LBB152_99:                             ;   in Loop: Header=BB152_86 Depth=1
	v_div_scale_f32 v12, s[2:3], v10, v10, v11
	v_rcp_f32_e32 v13, v12
	v_div_scale_f32 v17, vcc, v11, v10, v11
	v_fma_f32 v18, -v12, v13, 1.0
	v_fmac_f32_e32 v13, v18, v13
	v_mul_f32_e32 v18, v17, v13
	v_fma_f32 v19, -v12, v18, v17
	v_fmac_f32_e32 v18, v19, v13
	v_fma_f32 v12, -v12, v18, v17
	v_div_fmas_f32 v12, v12, v13, v18
	v_div_fixup_f32 v13, v12, v10, v11
	v_fmac_f32_e32 v10, v11, v13
	v_div_scale_f32 v11, s[2:3], v10, v10, 1.0
	v_rcp_f32_e32 v12, v11
	v_fma_f32 v17, -v11, v12, 1.0
	v_fmac_f32_e32 v12, v17, v12
	v_div_scale_f32 v17, vcc, 1.0, v10, 1.0
	v_mul_f32_e32 v18, v17, v12
	v_fma_f32 v19, -v11, v18, v17
	v_fmac_f32_e32 v18, v19, v12
	v_fma_f32 v11, -v11, v18, v17
	v_div_fmas_f32 v11, v11, v12, v18
	v_div_fixup_f32 v10, v11, v10, 1.0
	v_fma_f32 v11, v13, v5, v4
	v_fma_f32 v4, -v13, v4, v5
	v_mul_f32_e32 v12, v11, v10
	v_mul_f32_e32 v13, v4, v10
.LBB152_100:                            ;   in Loop: Header=BB152_86 Depth=1
	s_add_i32 s9, s9, s8
	s_lshl_b32 s2, s9, 3
	v_mov_b32_e32 v4, s2
	s_add_i32 s7, s7, s8
	ds_read_b64 v[10:11], v4
	s_lshl_b32 s2, s7, 3
	s_add_i32 s6, s6, s8
	v_mov_b32_e32 v5, s2
	s_lshl_b32 s2, s6, 3
	v_mov_b32_e32 v18, s2
	s_add_i32 s2, s10, 0xffffff78
	ds_write_b64 v16, v[12:13]
	v_mov_b32_e32 v4, s2
	ds_read_b64 v[16:17], v5
	ds_read_b64 v[18:19], v18
	;; [unrolled: 1-line block ×3, first 2 shown]
	s_waitcnt lgkmcnt(4)
	v_mul_f32_e32 v20, v7, v11
	v_fma_f32 v20, v6, v10, -v20
	v_mul_f32_e32 v6, v6, v11
	v_fmac_f32_e32 v6, v7, v10
	v_sub_f32_e32 v3, v3, v6
	s_waitcnt lgkmcnt(2)
	v_mul_f32_e32 v6, v9, v17
	v_sub_f32_e32 v2, v2, v20
	v_fma_f32 v6, v8, v16, -v6
	v_mul_f32_e32 v7, v8, v17
	v_fmac_f32_e32 v7, v9, v16
	v_sub_f32_e32 v2, v2, v6
	s_waitcnt lgkmcnt(1)
	v_mul_f32_e32 v6, v13, v19
	v_sub_f32_e32 v3, v3, v7
	v_fma_f32 v6, v12, v18, -v6
	v_mul_f32_e32 v7, v12, v19
	s_waitcnt lgkmcnt(0)
	v_cmp_gt_f32_e32 vcc, 0, v5
	v_fmac_f32_e32 v7, v13, v18
	v_sub_f32_e32 v6, v2, v6
	v_cndmask_b32_e64 v2, v5, -v5, vcc
	v_cmp_gt_f32_e32 vcc, 0, v4
	v_sub_f32_e32 v7, v3, v7
	v_cndmask_b32_e64 v3, v4, -v4, vcc
	v_cmp_ngt_f32_e32 vcc, v3, v2
	s_cbranch_vccz .LBB152_102
; %bb.101:                              ;   in Loop: Header=BB152_86 Depth=1
	v_div_scale_f32 v2, s[2:3], v5, v5, v4
	v_rcp_f32_e32 v3, v2
	v_div_scale_f32 v8, vcc, v4, v5, v4
	v_fma_f32 v9, -v2, v3, 1.0
	v_fmac_f32_e32 v3, v9, v3
	v_mul_f32_e32 v9, v8, v3
	v_fma_f32 v10, -v2, v9, v8
	v_fmac_f32_e32 v9, v10, v3
	v_fma_f32 v2, -v2, v9, v8
	v_div_fmas_f32 v2, v2, v3, v9
	v_div_fixup_f32 v3, v2, v5, v4
	v_fma_f32 v2, v4, v3, v5
	v_div_scale_f32 v8, s[2:3], v2, v2, 1.0
	v_rcp_f32_e32 v9, v8
	v_fma_f32 v10, -v8, v9, 1.0
	v_fmac_f32_e32 v9, v10, v9
	v_div_scale_f32 v10, vcc, 1.0, v2, 1.0
	v_mul_f32_e32 v11, v10, v9
	v_fma_f32 v12, -v8, v11, v10
	v_fmac_f32_e32 v11, v12, v9
	v_fma_f32 v8, -v8, v11, v10
	v_div_fmas_f32 v8, v8, v9, v11
	v_div_fixup_f32 v8, v8, v2, 1.0
	v_fma_f32 v2, v3, v6, v7
	v_fma_f32 v3, v3, v7, -v6
	v_mul_f32_e32 v2, v2, v8
	v_mul_f32_e32 v3, v3, v8
	s_cbranch_execz .LBB152_103
	s_branch .LBB152_104
.LBB152_102:                            ;   in Loop: Header=BB152_86 Depth=1
                                        ; implicit-def: $vgpr3
.LBB152_103:                            ;   in Loop: Header=BB152_86 Depth=1
	v_div_scale_f32 v2, s[2:3], v4, v4, v5
	v_rcp_f32_e32 v3, v2
	v_div_scale_f32 v8, vcc, v5, v4, v5
	v_fma_f32 v9, -v2, v3, 1.0
	v_fmac_f32_e32 v3, v9, v3
	v_mul_f32_e32 v9, v8, v3
	v_fma_f32 v10, -v2, v9, v8
	v_fmac_f32_e32 v9, v10, v3
	v_fma_f32 v2, -v2, v9, v8
	v_div_fmas_f32 v2, v2, v3, v9
	v_div_fixup_f32 v3, v2, v4, v5
	v_fmac_f32_e32 v4, v5, v3
	v_div_scale_f32 v2, s[2:3], v4, v4, 1.0
	v_rcp_f32_e32 v5, v2
	v_fma_f32 v8, -v2, v5, 1.0
	v_fmac_f32_e32 v5, v8, v5
	v_div_scale_f32 v8, vcc, 1.0, v4, 1.0
	v_mul_f32_e32 v9, v8, v5
	v_fma_f32 v10, -v2, v9, v8
	v_fmac_f32_e32 v9, v10, v5
	v_fma_f32 v2, -v2, v9, v8
	v_div_fmas_f32 v2, v2, v5, v9
	v_div_fixup_f32 v4, v2, v4, 1.0
	v_fma_f32 v2, v3, v7, v6
	v_fma_f32 v3, -v3, v6, v7
	v_mul_f32_e32 v2, v2, v4
	v_mul_f32_e32 v3, v3, v4
.LBB152_104:                            ;   in Loop: Header=BB152_86 Depth=1
	s_add_i32 s6, s5, -4
	s_sub_i32 s4, s4, 32
	s_cmp_lt_i32 s5, 7
	ds_write_b64 v15, v[2:3]
	s_cbranch_scc1 .LBB152_106
; %bb.105:                              ;   in Loop: Header=BB152_86 Depth=1
	s_mov_b32 s5, s6
	s_branch .LBB152_86
.LBB152_106:
	s_cmp_lt_i32 s6, 0
	s_cbranch_scc1 .LBB152_115
; %bb.107:
	s_lshl_b32 s2, s33, 7
	s_lshl_b32 s3, s6, 3
	v_lshl_or_b32 v1, v0, 3, s2
	s_add_i32 s2, s2, s3
	v_add_u32_e32 v1, 0x780, v1
	s_add_i32 s4, s2, 0xffffff80
	v_lshlrev_b32_e32 v8, 3, v0
	s_branch .LBB152_109
.LBB152_108:                            ;   in Loop: Header=BB152_109 Depth=1
	s_add_i32 s2, s6, -1
	s_add_i32 s4, s4, -8
	s_cmp_lt_i32 s6, 1
	s_mov_b32 s6, s2
	ds_write_b64 v9, v[6:7]
	s_cbranch_scc1 .LBB152_115
.LBB152_109:                            ; =>This Loop Header: Depth=1
                                        ;     Child Loop BB152_110 Depth 2
	v_lshl_or_b32 v4, s6, 7, v8
	ds_read_b64 v[2:3], v4 offset:2048
	s_cmp_le_i32 s50, s6
	s_mov_b32 s2, s4
	v_mov_b32_e32 v5, v1
	s_mov_b32 s3, s50
	s_cbranch_scc1 .LBB152_111
.LBB152_110:                            ;   Parent Loop BB152_109 Depth=1
                                        ; =>  This Inner Loop Header: Depth=2
	v_mov_b32_e32 v9, s2
	ds_read_b64 v[6:7], v5
	ds_read_b64 v[10:11], v9
	s_add_i32 s3, s3, -1
	s_addk_i32 s2, 0xff80
	v_add_u32_e32 v5, 0xffffff80, v5
	s_cmp_le_i32 s3, s6
	s_waitcnt lgkmcnt(0)
	v_pk_mul_f32 v[12:13], v[10:11], v[6:7] op_sel:[0,1]
	v_pk_fma_f32 v[14:15], v[10:11], v[6:7], v[12:13] op_sel:[0,0,1] op_sel_hi:[1,0,0]
	v_pk_fma_f32 v[6:7], v[10:11], v[6:7], v[12:13] op_sel:[0,0,1] op_sel_hi:[1,0,0] neg_lo:[0,0,1] neg_hi:[0,0,1]
	v_mov_b32_e32 v7, v15
	v_pk_add_f32 v[2:3], v[2:3], v[6:7] neg_lo:[0,1] neg_hi:[0,1]
	s_cbranch_scc0 .LBB152_110
.LBB152_111:                            ;   in Loop: Header=BB152_109 Depth=1
	s_mul_i32 s2, s6, 0x88
	v_add_u32_e32 v9, 0x800, v4
	v_mov_b32_e32 v4, s2
	ds_read_b64 v[4:5], v4
	s_waitcnt lgkmcnt(0)
	v_cmp_gt_f32_e32 vcc, 0, v5
	v_cndmask_b32_e64 v6, v5, -v5, vcc
	v_cmp_gt_f32_e32 vcc, 0, v4
	v_cndmask_b32_e64 v7, v4, -v4, vcc
	v_cmp_ngt_f32_e32 vcc, v7, v6
	s_cbranch_vccz .LBB152_113
; %bb.112:                              ;   in Loop: Header=BB152_109 Depth=1
	v_div_scale_f32 v6, s[2:3], v5, v5, v4
	v_rcp_f32_e32 v7, v6
	v_div_scale_f32 v10, vcc, v4, v5, v4
	v_fma_f32 v11, -v6, v7, 1.0
	v_fmac_f32_e32 v7, v11, v7
	v_mul_f32_e32 v11, v10, v7
	v_fma_f32 v12, -v6, v11, v10
	v_fmac_f32_e32 v11, v12, v7
	v_fma_f32 v6, -v6, v11, v10
	v_div_fmas_f32 v6, v6, v7, v11
	v_div_fixup_f32 v6, v6, v5, v4
	v_fma_f32 v7, v4, v6, v5
	v_div_scale_f32 v10, s[2:3], v7, v7, 1.0
	v_rcp_f32_e32 v11, v10
	v_fma_f32 v12, -v10, v11, 1.0
	v_fmac_f32_e32 v11, v12, v11
	v_div_scale_f32 v12, vcc, 1.0, v7, 1.0
	v_mul_f32_e32 v13, v12, v11
	v_fma_f32 v14, -v10, v13, v12
	v_fmac_f32_e32 v13, v14, v11
	v_fma_f32 v10, -v10, v13, v12
	v_div_fmas_f32 v10, v10, v11, v13
	v_div_fixup_f32 v10, v10, v7, 1.0
	v_pk_fma_f32 v[12:13], v[2:3], v[6:7], v[2:3] op_sel:[0,0,1] op_sel_hi:[1,0,0] neg_lo:[0,0,1] neg_hi:[0,0,1]
	v_pk_fma_f32 v[6:7], v[2:3], v[6:7], v[2:3] op_sel:[0,0,1] op_sel_hi:[1,0,0]
	v_mov_b32_e32 v7, v13
	v_pk_mul_f32 v[6:7], v[6:7], v[10:11] op_sel_hi:[1,0]
	s_cbranch_execnz .LBB152_108
	s_branch .LBB152_114
.LBB152_113:                            ;   in Loop: Header=BB152_109 Depth=1
                                        ; implicit-def: $vgpr6_vgpr7
.LBB152_114:                            ;   in Loop: Header=BB152_109 Depth=1
	v_div_scale_f32 v6, s[2:3], v4, v4, v5
	v_rcp_f32_e32 v7, v6
	v_div_scale_f32 v10, vcc, v5, v4, v5
	v_fma_f32 v11, -v6, v7, 1.0
	v_fmac_f32_e32 v7, v11, v7
	v_mul_f32_e32 v11, v10, v7
	v_fma_f32 v12, -v6, v11, v10
	v_fmac_f32_e32 v11, v12, v7
	v_fma_f32 v6, -v6, v11, v10
	v_div_fmas_f32 v6, v6, v7, v11
	v_div_fixup_f32 v6, v6, v4, v5
	v_fmac_f32_e32 v4, v5, v6
	v_div_scale_f32 v5, s[2:3], v4, v4, 1.0
	v_rcp_f32_e32 v7, v5
	v_fma_f32 v10, -v5, v7, 1.0
	v_fmac_f32_e32 v7, v10, v7
	v_div_scale_f32 v10, vcc, 1.0, v4, 1.0
	v_mul_f32_e32 v11, v10, v7
	v_fma_f32 v12, -v5, v11, v10
	v_fmac_f32_e32 v11, v12, v7
	v_fma_f32 v5, -v5, v11, v10
	v_div_fmas_f32 v5, v5, v7, v11
	v_pk_mul_f32 v[6:7], v[2:3], v[6:7] op_sel_hi:[1,0]
	v_pk_add_f32 v[10:11], v[2:3], v[6:7] op_sel:[0,1] op_sel_hi:[1,0] neg_lo:[0,1] neg_hi:[0,1]
	v_pk_add_f32 v[2:3], v[2:3], v[6:7] op_sel:[0,1] op_sel_hi:[1,0]
	v_div_fixup_f32 v4, v5, v4, 1.0
	v_mov_b32_e32 v3, v11
	v_pk_mul_f32 v[6:7], v[2:3], v[4:5] op_sel_hi:[1,0]
	s_branch .LBB152_108
.LBB152_115:
	s_mov_b64 s[4:5], 0
.LBB152_116:
	s_andn2_b64 vcc, exec, s[4:5]
	s_cbranch_vccnz .LBB152_148
; %bb.117:
	s_andn2_b64 vcc, exec, s[0:1]
	s_mov_b32 s4, s50
	s_cbranch_vccnz .LBB152_139
; %bb.118:
	v_lshlrev_b32_e32 v1, 3, v0
	v_lshl_or_b32 v2, s33, 7, v1
	s_mul_i32 s0, s33, 0x88
	v_add_u32_e32 v14, 0x700, v2
	s_add_i32 s2, s0, 0xfffffdf0
	s_mov_b32 s3, s50
.LBB152_119:                            ; =>This Loop Header: Depth=1
                                        ;     Child Loop BB152_120 Depth 2
	s_lshl_b32 s0, s3, 4
	v_or_b32_e32 v2, s0, v0
	s_sub_i32 s6, s0, 32
	v_lshlrev_b32_e32 v4, 3, v2
	v_or_b32_e32 v2, s6, v0
	s_sub_i32 s5, s0, 48
	s_add_i32 s4, s3, -1
	v_lshlrev_b32_e32 v10, 3, v2
	v_or_b32_e32 v2, s5, v0
	v_lshl_or_b32 v5, s4, 7, v1
	v_lshlrev_b32_e32 v11, 3, v2
	ds_read_b64 v[2:3], v4 offset:2048
	ds_read_b64 v[12:13], v5 offset:2048
	;; [unrolled: 1-line block ×4, first 2 shown]
	s_cmp_le_i32 s50, s3
	s_mov_b32 s0, s2
	v_mov_b32_e32 v15, v14
	s_mov_b32 s1, s50
	s_cbranch_scc1 .LBB152_121
.LBB152_120:                            ;   Parent Loop BB152_119 Depth=1
                                        ; =>  This Inner Loop Header: Depth=2
	v_mov_b32_e32 v32, s0
	ds_read2_b64 v[16:19], v15 offset1:16
	ds_read2_b64 v[20:23], v32 offset0:48 offset1:49
	ds_read2_b64 v[24:27], v32 offset0:32 offset1:33
	;; [unrolled: 1-line block ×3, first 2 shown]
	ds_read2_b64 v[32:35], v32 offset1:1
	s_add_i32 s1, s1, -2
	s_add_i32 s0, s0, -16
	v_add_u32_e32 v15, 0xffffff00, v15
	s_waitcnt lgkmcnt(3)
	v_mul_f32_e32 v36, v23, v19
	v_mul_f32_e32 v37, v22, v19
	s_waitcnt lgkmcnt(2)
	v_mul_f32_e32 v38, v27, v19
	v_mul_f32_e32 v27, v27, v18
	;; [unrolled: 3-line block ×4, first 2 shown]
	v_mul_f32_e32 v41, v21, v17
	v_mul_f32_e32 v42, v20, v17
	;; [unrolled: 1-line block ×8, first 2 shown]
	v_fma_f32 v22, v22, v18, -v36
	v_fmac_f32_e32 v37, v23, v18
	v_fma_f32 v23, v26, v18, -v38
	v_fmac_f32_e32 v27, v26, v19
	;; [unrolled: 2-line block ×8, first 2 shown]
	v_sub_f32_e32 v2, v2, v22
	v_sub_f32_e32 v3, v3, v37
	;; [unrolled: 1-line block ×8, first 2 shown]
	s_cmp_le_i32 s1, s3
	v_sub_f32_e32 v2, v2, v19
	v_sub_f32_e32 v3, v3, v42
	;; [unrolled: 1-line block ×8, first 2 shown]
	s_cbranch_scc0 .LBB152_120
.LBB152_121:                            ;   in Loop: Header=BB152_119 Depth=1
	s_mul_i32 s7, s3, 0x88
	v_add_u32_e32 v18, 0x800, v4
	v_mov_b32_e32 v4, s7
	v_add_u32_e32 v17, 0x800, v5
	ds_read_b64 v[4:5], v4
	v_add_u32_e32 v16, 0x800, v10
	v_add_u32_e32 v15, 0x800, v11
	s_waitcnt lgkmcnt(0)
	v_cmp_gt_f32_e32 vcc, 0, v5
	v_cndmask_b32_e64 v10, v5, -v5, vcc
	v_cmp_gt_f32_e32 vcc, 0, v4
	v_cndmask_b32_e64 v11, v4, -v4, vcc
	v_cmp_ngt_f32_e32 vcc, v11, v10
	s_cbranch_vccz .LBB152_123
; %bb.122:                              ;   in Loop: Header=BB152_119 Depth=1
	v_div_scale_f32 v10, s[0:1], v5, v5, v4
	v_rcp_f32_e32 v11, v10
	v_div_scale_f32 v19, vcc, v4, v5, v4
	v_fma_f32 v20, -v10, v11, 1.0
	v_fmac_f32_e32 v11, v20, v11
	v_mul_f32_e32 v20, v19, v11
	v_fma_f32 v21, -v10, v20, v19
	v_fmac_f32_e32 v20, v21, v11
	v_fma_f32 v10, -v10, v20, v19
	v_div_fmas_f32 v10, v10, v11, v20
	v_div_fixup_f32 v11, v10, v5, v4
	v_fma_f32 v10, v4, v11, v5
	v_div_scale_f32 v19, s[0:1], v10, v10, 1.0
	v_rcp_f32_e32 v20, v19
	v_fma_f32 v21, -v19, v20, 1.0
	v_fmac_f32_e32 v20, v21, v20
	v_div_scale_f32 v21, vcc, 1.0, v10, 1.0
	v_mul_f32_e32 v22, v21, v20
	v_fma_f32 v23, -v19, v22, v21
	v_fmac_f32_e32 v22, v23, v20
	v_fma_f32 v19, -v19, v22, v21
	v_div_fmas_f32 v19, v19, v20, v22
	v_div_fixup_f32 v19, v19, v10, 1.0
	v_fma_f32 v10, v2, v11, v3
	v_fma_f32 v11, v3, v11, -v2
	v_mul_f32_e32 v10, v10, v19
	v_mul_f32_e32 v11, v11, v19
	s_cbranch_execz .LBB152_124
	s_branch .LBB152_125
.LBB152_123:                            ;   in Loop: Header=BB152_119 Depth=1
                                        ; implicit-def: $vgpr11
.LBB152_124:                            ;   in Loop: Header=BB152_119 Depth=1
	v_div_scale_f32 v10, s[0:1], v4, v4, v5
	v_rcp_f32_e32 v11, v10
	v_div_scale_f32 v19, vcc, v5, v4, v5
	v_fma_f32 v20, -v10, v11, 1.0
	v_fmac_f32_e32 v11, v20, v11
	v_mul_f32_e32 v20, v19, v11
	v_fma_f32 v21, -v10, v20, v19
	v_fmac_f32_e32 v20, v21, v11
	v_fma_f32 v10, -v10, v20, v19
	v_div_fmas_f32 v10, v10, v11, v20
	v_div_fixup_f32 v11, v10, v4, v5
	v_fmac_f32_e32 v4, v5, v11
	v_div_scale_f32 v5, s[0:1], v4, v4, 1.0
	v_rcp_f32_e32 v10, v5
	v_fma_f32 v19, -v5, v10, 1.0
	v_fmac_f32_e32 v10, v19, v10
	v_div_scale_f32 v19, vcc, 1.0, v4, 1.0
	v_mul_f32_e32 v20, v19, v10
	v_fma_f32 v21, -v5, v20, v19
	v_fmac_f32_e32 v20, v21, v10
	v_fma_f32 v5, -v5, v20, v19
	v_div_fmas_f32 v5, v5, v10, v20
	v_div_fixup_f32 v4, v5, v4, 1.0
	v_fma_f32 v5, v3, v11, v2
	v_fma_f32 v2, -v2, v11, v3
	v_mul_f32_e32 v10, v5, v4
	v_mul_f32_e32 v11, v2, v4
.LBB152_125:                            ;   in Loop: Header=BB152_119 Depth=1
	s_addk_i32 s7, 0xff78
	v_mov_b32_e32 v2, s7
	ds_read2_b64 v[2:5], v2 offset1:1
	ds_write_b64 v18, v[10:11]
	s_waitcnt lgkmcnt(1)
	v_mul_f32_e32 v18, v11, v5
	v_mul_f32_e32 v5, v10, v5
	v_fma_f32 v18, v10, v4, -v18
	v_cmp_gt_f32_e32 vcc, 0, v3
	v_fmac_f32_e32 v5, v11, v4
	v_sub_f32_e32 v4, v12, v18
	v_cndmask_b32_e64 v12, v3, -v3, vcc
	v_cmp_gt_f32_e32 vcc, 0, v2
	v_sub_f32_e32 v5, v13, v5
	v_cndmask_b32_e64 v13, v2, -v2, vcc
	v_cmp_ngt_f32_e32 vcc, v13, v12
	s_cbranch_vccz .LBB152_127
; %bb.126:                              ;   in Loop: Header=BB152_119 Depth=1
	v_div_scale_f32 v12, s[0:1], v3, v3, v2
	v_rcp_f32_e32 v13, v12
	v_div_scale_f32 v18, vcc, v2, v3, v2
	v_fma_f32 v19, -v12, v13, 1.0
	v_fmac_f32_e32 v13, v19, v13
	v_mul_f32_e32 v19, v18, v13
	v_fma_f32 v20, -v12, v19, v18
	v_fmac_f32_e32 v19, v20, v13
	v_fma_f32 v12, -v12, v19, v18
	v_div_fmas_f32 v12, v12, v13, v19
	v_div_fixup_f32 v13, v12, v3, v2
	v_fma_f32 v12, v2, v13, v3
	v_div_scale_f32 v18, s[0:1], v12, v12, 1.0
	v_rcp_f32_e32 v19, v18
	v_fma_f32 v20, -v18, v19, 1.0
	v_fmac_f32_e32 v19, v20, v19
	v_div_scale_f32 v20, vcc, 1.0, v12, 1.0
	v_mul_f32_e32 v21, v20, v19
	v_fma_f32 v22, -v18, v21, v20
	v_fmac_f32_e32 v21, v22, v19
	v_fma_f32 v18, -v18, v21, v20
	v_div_fmas_f32 v18, v18, v19, v21
	v_div_fixup_f32 v18, v18, v12, 1.0
	v_fma_f32 v12, v13, v4, v5
	v_fma_f32 v13, v13, v5, -v4
	v_mul_f32_e32 v12, v12, v18
	v_mul_f32_e32 v13, v13, v18
	s_cbranch_execz .LBB152_128
	s_branch .LBB152_129
.LBB152_127:                            ;   in Loop: Header=BB152_119 Depth=1
                                        ; implicit-def: $vgpr13
.LBB152_128:                            ;   in Loop: Header=BB152_119 Depth=1
	v_div_scale_f32 v12, s[0:1], v2, v2, v3
	v_rcp_f32_e32 v13, v12
	v_div_scale_f32 v18, vcc, v3, v2, v3
	v_fma_f32 v19, -v12, v13, 1.0
	v_fmac_f32_e32 v13, v19, v13
	v_mul_f32_e32 v19, v18, v13
	v_fma_f32 v20, -v12, v19, v18
	v_fmac_f32_e32 v19, v20, v13
	v_fma_f32 v12, -v12, v19, v18
	v_div_fmas_f32 v12, v12, v13, v19
	v_div_fixup_f32 v13, v12, v2, v3
	v_fmac_f32_e32 v2, v3, v13
	v_div_scale_f32 v3, s[0:1], v2, v2, 1.0
	v_rcp_f32_e32 v12, v3
	v_fma_f32 v18, -v3, v12, 1.0
	v_fmac_f32_e32 v12, v18, v12
	v_div_scale_f32 v18, vcc, 1.0, v2, 1.0
	v_mul_f32_e32 v19, v18, v12
	v_fma_f32 v20, -v3, v19, v18
	v_fmac_f32_e32 v19, v20, v12
	v_fma_f32 v3, -v3, v19, v18
	v_div_fmas_f32 v3, v3, v12, v19
	v_div_fixup_f32 v2, v3, v2, 1.0
	v_fma_f32 v3, v13, v5, v4
	v_mul_f32_e32 v12, v3, v2
	v_fma_f32 v3, -v13, v4, v5
	v_mul_f32_e32 v13, v3, v2
.LBB152_129:                            ;   in Loop: Header=BB152_119 Depth=1
	s_add_i32 s6, s6, s3
	s_lshl_b32 s0, s6, 3
	v_mov_b32_e32 v2, s0
	ds_read_b64 v[18:19], v2
	s_add_i32 s6, s7, 0xffffff78
	v_mov_b32_e32 v2, s6
	ds_read2_b64 v[2:5], v2 offset1:1
	ds_write_b64 v17, v[12:13]
	s_waitcnt lgkmcnt(2)
	v_mul_f32_e32 v17, v11, v19
	v_fma_f32 v17, v10, v18, -v17
	v_mul_f32_e32 v19, v10, v19
	v_sub_f32_e32 v8, v8, v17
	s_waitcnt lgkmcnt(1)
	v_mul_f32_e32 v17, v13, v5
	v_fmac_f32_e32 v19, v11, v18
	v_fma_f32 v17, v12, v4, -v17
	v_mul_f32_e32 v5, v12, v5
	v_cmp_gt_f32_e32 vcc, 0, v3
	v_sub_f32_e32 v9, v9, v19
	v_fmac_f32_e32 v5, v13, v4
	v_sub_f32_e32 v4, v8, v17
	v_cndmask_b32_e64 v8, v3, -v3, vcc
	v_cmp_gt_f32_e32 vcc, 0, v2
	v_sub_f32_e32 v5, v9, v5
	v_cndmask_b32_e64 v9, v2, -v2, vcc
	v_cmp_ngt_f32_e32 vcc, v9, v8
	s_cbranch_vccz .LBB152_131
; %bb.130:                              ;   in Loop: Header=BB152_119 Depth=1
	v_div_scale_f32 v8, s[0:1], v3, v3, v2
	v_rcp_f32_e32 v9, v8
	v_div_scale_f32 v17, vcc, v2, v3, v2
	v_fma_f32 v18, -v8, v9, 1.0
	v_fmac_f32_e32 v9, v18, v9
	v_mul_f32_e32 v18, v17, v9
	v_fma_f32 v19, -v8, v18, v17
	v_fmac_f32_e32 v18, v19, v9
	v_fma_f32 v8, -v8, v18, v17
	v_div_fmas_f32 v8, v8, v9, v18
	v_div_fixup_f32 v9, v8, v3, v2
	v_fma_f32 v8, v2, v9, v3
	v_div_scale_f32 v17, s[0:1], v8, v8, 1.0
	v_rcp_f32_e32 v18, v17
	v_fma_f32 v19, -v17, v18, 1.0
	v_fmac_f32_e32 v18, v19, v18
	v_div_scale_f32 v19, vcc, 1.0, v8, 1.0
	v_mul_f32_e32 v20, v19, v18
	v_fma_f32 v21, -v17, v20, v19
	v_fmac_f32_e32 v20, v21, v18
	v_fma_f32 v17, -v17, v20, v19
	v_div_fmas_f32 v17, v17, v18, v20
	v_div_fixup_f32 v17, v17, v8, 1.0
	v_fma_f32 v8, v9, v4, v5
	v_fma_f32 v9, v9, v5, -v4
	v_mul_f32_e32 v8, v8, v17
	v_mul_f32_e32 v9, v9, v17
	s_cbranch_execz .LBB152_132
	s_branch .LBB152_133
.LBB152_131:                            ;   in Loop: Header=BB152_119 Depth=1
                                        ; implicit-def: $vgpr9
.LBB152_132:                            ;   in Loop: Header=BB152_119 Depth=1
	v_div_scale_f32 v8, s[0:1], v2, v2, v3
	v_rcp_f32_e32 v9, v8
	v_div_scale_f32 v17, vcc, v3, v2, v3
	v_fma_f32 v18, -v8, v9, 1.0
	v_fmac_f32_e32 v9, v18, v9
	v_mul_f32_e32 v18, v17, v9
	v_fma_f32 v19, -v8, v18, v17
	v_fmac_f32_e32 v18, v19, v9
	v_fma_f32 v8, -v8, v18, v17
	v_div_fmas_f32 v8, v8, v9, v18
	v_div_fixup_f32 v9, v8, v2, v3
	v_fmac_f32_e32 v2, v3, v9
	v_div_scale_f32 v3, s[0:1], v2, v2, 1.0
	v_rcp_f32_e32 v8, v3
	v_fma_f32 v17, -v3, v8, 1.0
	v_fmac_f32_e32 v8, v17, v8
	v_div_scale_f32 v17, vcc, 1.0, v2, 1.0
	v_mul_f32_e32 v18, v17, v8
	v_fma_f32 v19, -v3, v18, v17
	v_fmac_f32_e32 v18, v19, v8
	v_fma_f32 v3, -v3, v18, v17
	v_div_fmas_f32 v3, v3, v8, v18
	v_div_fixup_f32 v2, v3, v2, 1.0
	v_fma_f32 v3, v9, v5, v4
	v_mul_f32_e32 v8, v3, v2
	v_fma_f32 v3, -v9, v4, v5
	v_mul_f32_e32 v9, v3, v2
.LBB152_133:                            ;   in Loop: Header=BB152_119 Depth=1
	s_add_i32 s5, s5, s4
	s_lshl_b32 s0, s5, 3
	v_mov_b32_e32 v2, s0
	ds_read2_b64 v[18:21], v2 offset1:1
	s_add_i32 s0, s6, 0xffffff78
	v_mov_b32_e32 v2, s0
	ds_write_b64 v16, v[8:9]
	ds_read2_b64 v[2:5], v2 offset1:1
	s_waitcnt lgkmcnt(2)
	v_mul_f32_e32 v16, v11, v21
	v_fma_f32 v16, v10, v20, -v16
	v_mul_f32_e32 v10, v10, v21
	v_fmac_f32_e32 v10, v11, v20
	v_sub_f32_e32 v7, v7, v10
	v_mul_f32_e32 v10, v13, v19
	v_sub_f32_e32 v6, v6, v16
	v_fma_f32 v10, v12, v18, -v10
	v_mul_f32_e32 v11, v12, v19
	v_fmac_f32_e32 v11, v13, v18
	v_sub_f32_e32 v6, v6, v10
	s_waitcnt lgkmcnt(0)
	v_mul_f32_e32 v10, v9, v5
	v_mul_f32_e32 v5, v8, v5
	v_cmp_gt_f32_e32 vcc, 0, v3
	v_sub_f32_e32 v7, v7, v11
	v_fma_f32 v10, v8, v4, -v10
	v_fmac_f32_e32 v5, v9, v4
	v_cndmask_b32_e64 v4, v3, -v3, vcc
	v_cmp_gt_f32_e32 vcc, 0, v2
	v_sub_f32_e32 v7, v7, v5
	v_cndmask_b32_e64 v5, v2, -v2, vcc
	v_cmp_ngt_f32_e32 vcc, v5, v4
	v_sub_f32_e32 v6, v6, v10
	s_cbranch_vccz .LBB152_135
; %bb.134:                              ;   in Loop: Header=BB152_119 Depth=1
	v_div_scale_f32 v4, s[0:1], v3, v3, v2
	v_rcp_f32_e32 v5, v4
	v_div_scale_f32 v8, vcc, v2, v3, v2
	v_fma_f32 v9, -v4, v5, 1.0
	v_fmac_f32_e32 v5, v9, v5
	v_mul_f32_e32 v9, v8, v5
	v_fma_f32 v10, -v4, v9, v8
	v_fmac_f32_e32 v9, v10, v5
	v_fma_f32 v4, -v4, v9, v8
	v_div_fmas_f32 v4, v4, v5, v9
	v_div_fixup_f32 v5, v4, v3, v2
	v_fma_f32 v4, v2, v5, v3
	v_div_scale_f32 v8, s[0:1], v4, v4, 1.0
	v_rcp_f32_e32 v9, v8
	v_fma_f32 v10, -v8, v9, 1.0
	v_fmac_f32_e32 v9, v10, v9
	v_div_scale_f32 v10, vcc, 1.0, v4, 1.0
	v_mul_f32_e32 v11, v10, v9
	v_fma_f32 v12, -v8, v11, v10
	v_fmac_f32_e32 v11, v12, v9
	v_fma_f32 v8, -v8, v11, v10
	v_div_fmas_f32 v8, v8, v9, v11
	v_div_fixup_f32 v8, v8, v4, 1.0
	v_fma_f32 v4, v5, v6, v7
	v_fma_f32 v5, v5, v7, -v6
	v_mul_f32_e32 v4, v4, v8
	v_mul_f32_e32 v5, v5, v8
	s_cbranch_execz .LBB152_136
	s_branch .LBB152_137
.LBB152_135:                            ;   in Loop: Header=BB152_119 Depth=1
                                        ; implicit-def: $vgpr5
.LBB152_136:                            ;   in Loop: Header=BB152_119 Depth=1
	v_div_scale_f32 v4, s[0:1], v2, v2, v3
	v_rcp_f32_e32 v5, v4
	v_div_scale_f32 v8, vcc, v3, v2, v3
	v_fma_f32 v9, -v4, v5, 1.0
	v_fmac_f32_e32 v5, v9, v5
	v_mul_f32_e32 v9, v8, v5
	v_fma_f32 v10, -v4, v9, v8
	v_fmac_f32_e32 v9, v10, v5
	v_fma_f32 v4, -v4, v9, v8
	v_div_fmas_f32 v4, v4, v5, v9
	v_div_fixup_f32 v5, v4, v2, v3
	v_fmac_f32_e32 v2, v3, v5
	v_div_scale_f32 v3, s[0:1], v2, v2, 1.0
	v_rcp_f32_e32 v4, v3
	v_fma_f32 v8, -v3, v4, 1.0
	v_fmac_f32_e32 v4, v8, v4
	v_div_scale_f32 v8, vcc, 1.0, v2, 1.0
	v_mul_f32_e32 v9, v8, v4
	v_fma_f32 v10, -v3, v9, v8
	v_fmac_f32_e32 v9, v10, v4
	v_fma_f32 v3, -v3, v9, v8
	v_div_fmas_f32 v3, v3, v4, v9
	v_div_fixup_f32 v2, v3, v2, 1.0
	v_fma_f32 v3, v5, v7, v6
	v_mul_f32_e32 v4, v3, v2
	v_fma_f32 v3, -v5, v6, v7
	v_mul_f32_e32 v5, v3, v2
.LBB152_137:                            ;   in Loop: Header=BB152_119 Depth=1
	s_add_i32 s4, s3, -4
	s_addk_i32 s2, 0xfe00
	s_cmp_lt_i32 s3, 7
	ds_write_b64 v15, v[4:5]
	s_cbranch_scc1 .LBB152_139
; %bb.138:                              ;   in Loop: Header=BB152_119 Depth=1
	s_mov_b32 s3, s4
	s_branch .LBB152_119
.LBB152_139:
	s_cmp_lt_i32 s4, 0
	s_cbranch_scc1 .LBB152_148
; %bb.140:
	v_lshlrev_b32_e32 v1, 3, v0
	s_lshl_b32 s0, s4, 7
	s_lshl_b32 s1, s33, 3
	v_lshl_or_b32 v2, s33, 7, v1
	s_add_i32 s0, s0, s1
	v_add_u32_e32 v8, 0x780, v2
	s_add_i32 s2, s0, -8
	s_branch .LBB152_142
.LBB152_141:                            ;   in Loop: Header=BB152_142 Depth=1
	s_add_i32 s0, s4, -1
	s_addk_i32 s2, 0xff80
	s_cmp_lt_i32 s4, 1
	s_mov_b32 s4, s0
	ds_write_b64 v9, v[6:7]
	s_cbranch_scc1 .LBB152_148
.LBB152_142:                            ; =>This Loop Header: Depth=1
                                        ;     Child Loop BB152_143 Depth 2
	v_lshl_or_b32 v4, s4, 7, v1
	ds_read_b64 v[2:3], v4 offset:2048
	s_cmp_le_i32 s50, s4
	s_mov_b32 s0, s2
	v_mov_b32_e32 v5, v8
	s_mov_b32 s1, s50
	s_cbranch_scc1 .LBB152_144
.LBB152_143:                            ;   Parent Loop BB152_142 Depth=1
                                        ; =>  This Inner Loop Header: Depth=2
	v_mov_b32_e32 v9, s0
	ds_read_b64 v[6:7], v5
	ds_read_b64 v[10:11], v9
	s_add_i32 s1, s1, -1
	s_add_i32 s0, s0, -8
	v_add_u32_e32 v5, 0xffffff80, v5
	s_cmp_le_i32 s1, s4
	s_waitcnt lgkmcnt(0)
	v_pk_mul_f32 v[12:13], v[10:11], v[6:7] op_sel:[0,1]
	v_pk_fma_f32 v[14:15], v[10:11], v[6:7], v[12:13] op_sel:[0,0,1] op_sel_hi:[1,0,0]
	v_pk_fma_f32 v[6:7], v[10:11], v[6:7], v[12:13] op_sel:[0,0,1] op_sel_hi:[1,0,0] neg_lo:[0,0,1] neg_hi:[0,0,1]
	v_mov_b32_e32 v7, v15
	v_pk_add_f32 v[2:3], v[2:3], v[6:7] neg_lo:[0,1] neg_hi:[0,1]
	s_cbranch_scc0 .LBB152_143
.LBB152_144:                            ;   in Loop: Header=BB152_142 Depth=1
	s_mul_i32 s0, s4, 0x88
	v_add_u32_e32 v9, 0x800, v4
	v_mov_b32_e32 v4, s0
	ds_read_b64 v[4:5], v4
	s_waitcnt lgkmcnt(0)
	v_cmp_gt_f32_e32 vcc, 0, v5
	v_cndmask_b32_e64 v6, v5, -v5, vcc
	v_cmp_gt_f32_e32 vcc, 0, v4
	v_cndmask_b32_e64 v7, v4, -v4, vcc
	v_cmp_ngt_f32_e32 vcc, v7, v6
	s_cbranch_vccz .LBB152_146
; %bb.145:                              ;   in Loop: Header=BB152_142 Depth=1
	v_div_scale_f32 v6, s[0:1], v5, v5, v4
	v_rcp_f32_e32 v7, v6
	v_div_scale_f32 v10, vcc, v4, v5, v4
	v_fma_f32 v11, -v6, v7, 1.0
	v_fmac_f32_e32 v7, v11, v7
	v_mul_f32_e32 v11, v10, v7
	v_fma_f32 v12, -v6, v11, v10
	v_fmac_f32_e32 v11, v12, v7
	v_fma_f32 v6, -v6, v11, v10
	v_div_fmas_f32 v6, v6, v7, v11
	v_div_fixup_f32 v6, v6, v5, v4
	v_fma_f32 v7, v4, v6, v5
	v_div_scale_f32 v10, s[0:1], v7, v7, 1.0
	v_rcp_f32_e32 v11, v10
	v_fma_f32 v12, -v10, v11, 1.0
	v_fmac_f32_e32 v11, v12, v11
	v_div_scale_f32 v12, vcc, 1.0, v7, 1.0
	v_mul_f32_e32 v13, v12, v11
	v_fma_f32 v14, -v10, v13, v12
	v_fmac_f32_e32 v13, v14, v11
	v_fma_f32 v10, -v10, v13, v12
	v_div_fmas_f32 v10, v10, v11, v13
	v_div_fixup_f32 v10, v10, v7, 1.0
	v_pk_fma_f32 v[12:13], v[2:3], v[6:7], v[2:3] op_sel:[0,0,1] op_sel_hi:[1,0,0] neg_lo:[0,0,1] neg_hi:[0,0,1]
	v_pk_fma_f32 v[6:7], v[2:3], v[6:7], v[2:3] op_sel:[0,0,1] op_sel_hi:[1,0,0]
	v_mov_b32_e32 v7, v13
	v_pk_mul_f32 v[6:7], v[6:7], v[10:11] op_sel_hi:[1,0]
	s_cbranch_execnz .LBB152_141
	s_branch .LBB152_147
.LBB152_146:                            ;   in Loop: Header=BB152_142 Depth=1
                                        ; implicit-def: $vgpr6_vgpr7
.LBB152_147:                            ;   in Loop: Header=BB152_142 Depth=1
	v_div_scale_f32 v6, s[0:1], v4, v4, v5
	v_rcp_f32_e32 v7, v6
	v_div_scale_f32 v10, vcc, v5, v4, v5
	v_fma_f32 v11, -v6, v7, 1.0
	v_fmac_f32_e32 v7, v11, v7
	v_mul_f32_e32 v11, v10, v7
	v_fma_f32 v12, -v6, v11, v10
	v_fmac_f32_e32 v11, v12, v7
	v_fma_f32 v6, -v6, v11, v10
	v_div_fmas_f32 v6, v6, v7, v11
	v_div_fixup_f32 v6, v6, v4, v5
	v_fmac_f32_e32 v4, v5, v6
	v_div_scale_f32 v5, s[0:1], v4, v4, 1.0
	v_rcp_f32_e32 v7, v5
	v_fma_f32 v10, -v5, v7, 1.0
	v_fmac_f32_e32 v7, v10, v7
	v_div_scale_f32 v10, vcc, 1.0, v4, 1.0
	v_mul_f32_e32 v11, v10, v7
	v_fma_f32 v12, -v5, v11, v10
	v_fmac_f32_e32 v11, v12, v7
	v_fma_f32 v5, -v5, v11, v10
	v_div_fmas_f32 v5, v5, v7, v11
	v_pk_mul_f32 v[6:7], v[2:3], v[6:7] op_sel_hi:[1,0]
	v_pk_add_f32 v[10:11], v[2:3], v[6:7] op_sel:[0,1] op_sel_hi:[1,0] neg_lo:[0,1] neg_hi:[0,1]
	v_pk_add_f32 v[2:3], v[2:3], v[6:7] op_sel:[0,1] op_sel_hi:[1,0]
	v_div_fixup_f32 v4, v5, v4, 1.0
	v_mov_b32_e32 v3, v11
	v_pk_mul_f32 v[6:7], v[2:3], v[4:5] op_sel_hi:[1,0]
	s_branch .LBB152_141
.LBB152_148:
	s_mov_b64 s[4:5], 0
.LBB152_149:
	s_andn2_b64 vcc, exec, s[4:5]
	s_cbranch_vccnz .LBB152_188
; %bb.150:
	s_cmp_lt_i32 s16, 4
	s_mov_b32 s4, 0
	s_cbranch_scc1 .LBB152_173
; %bb.151:
	v_mov_b32_e32 v1, 0x800
	v_lshl_or_b32 v1, v0, 3, v1
	s_mov_b32 s2, 0
	s_mov_b32 s3, 0
.LBB152_152:                            ; =>This Loop Header: Depth=1
                                        ;     Child Loop BB152_154 Depth 2
	s_lshl_b32 s0, s3, 4
	v_or_b32_e32 v2, s0, v0
	s_or_b32 s6, s0, 16
	v_lshlrev_b32_e32 v4, 3, v2
	v_or_b32_e32 v2, s6, v0
	s_or_b32 s5, s0, 32
	v_lshlrev_b32_e32 v5, 3, v2
	;; [unrolled: 3-line block ×3, first 2 shown]
	v_or_b32_e32 v2, s4, v0
	v_lshlrev_b32_e32 v13, 3, v2
	ds_read_b64 v[2:3], v4 offset:2048
	ds_read_b64 v[10:11], v5 offset:2048
	;; [unrolled: 1-line block ×4, first 2 shown]
	s_cmp_eq_u32 s3, 0
	s_cbranch_scc1 .LBB152_155
; %bb.153:                              ;   in Loop: Header=BB152_152 Depth=1
	s_mov_b32 s0, 0
	s_mov_b32 s1, s2
	v_mov_b32_e32 v14, v1
.LBB152_154:                            ;   Parent Loop BB152_152 Depth=1
                                        ; =>  This Inner Loop Header: Depth=2
	v_mov_b32_e32 v15, s1
	ds_read2_b64 v[16:19], v14 offset1:16
	ds_read_b128 v[20:23], v15
	ds_read_b128 v[24:27], v15 offset:128
	ds_read_b128 v[28:31], v15 offset:256
	;; [unrolled: 1-line block ×3, first 2 shown]
	s_add_i32 s0, s0, 2
	s_add_i32 s1, s1, 16
	v_add_u32_e32 v14, 0x100, v14
	s_waitcnt lgkmcnt(3)
	v_mul_f32_e32 v15, v21, v17
	v_mul_f32_e32 v36, v20, v17
	s_waitcnt lgkmcnt(2)
	v_mul_f32_e32 v37, v25, v17
	v_mul_f32_e32 v25, v25, v16
	;; [unrolled: 3-line block ×4, first 2 shown]
	v_mul_f32_e32 v40, v23, v19
	v_mul_f32_e32 v41, v22, v19
	;; [unrolled: 1-line block ×8, first 2 shown]
	v_fma_f32 v15, v20, v16, -v15
	v_fmac_f32_e32 v36, v21, v16
	v_fma_f32 v20, v24, v16, -v37
	v_fmac_f32_e32 v25, v24, v17
	;; [unrolled: 2-line block ×8, first 2 shown]
	v_sub_f32_e32 v2, v2, v15
	v_sub_f32_e32 v3, v3, v36
	v_sub_f32_e32 v10, v10, v20
	v_sub_f32_e32 v11, v11, v25
	v_sub_f32_e32 v8, v8, v21
	v_sub_f32_e32 v9, v9, v29
	v_sub_f32_e32 v6, v6, v16
	v_sub_f32_e32 v7, v7, v33
	s_cmp_ge_u32 s0, s3
	v_sub_f32_e32 v2, v2, v17
	v_sub_f32_e32 v3, v3, v41
	v_sub_f32_e32 v10, v10, v22
	v_sub_f32_e32 v11, v11, v27
	v_sub_f32_e32 v8, v8, v23
	v_sub_f32_e32 v9, v9, v31
	v_sub_f32_e32 v6, v6, v18
	v_sub_f32_e32 v7, v7, v35
	s_cbranch_scc0 .LBB152_154
.LBB152_155:                            ;   in Loop: Header=BB152_152 Depth=1
	s_mul_i32 s7, s3, 0x88
	v_add_u32_e32 v17, 0x800, v4
	v_mov_b32_e32 v4, s7
	v_add_u32_e32 v16, 0x800, v5
	ds_read_b64 v[4:5], v4
	v_add_u32_e32 v15, 0x800, v12
	v_add_u32_e32 v14, 0x800, v13
	s_waitcnt lgkmcnt(0)
	v_cmp_gt_f32_e32 vcc, 0, v5
	v_cndmask_b32_e64 v12, v5, -v5, vcc
	v_cmp_gt_f32_e32 vcc, 0, v4
	v_cndmask_b32_e64 v13, v4, -v4, vcc
	v_cmp_ngt_f32_e32 vcc, v13, v12
	s_cbranch_vccz .LBB152_157
; %bb.156:                              ;   in Loop: Header=BB152_152 Depth=1
	v_div_scale_f32 v12, s[0:1], v5, v5, v4
	v_rcp_f32_e32 v13, v12
	v_div_scale_f32 v18, vcc, v4, v5, v4
	v_fma_f32 v19, -v12, v13, 1.0
	v_fmac_f32_e32 v13, v19, v13
	v_mul_f32_e32 v19, v18, v13
	v_fma_f32 v20, -v12, v19, v18
	v_fmac_f32_e32 v19, v20, v13
	v_fma_f32 v12, -v12, v19, v18
	v_div_fmas_f32 v12, v12, v13, v19
	v_div_fixup_f32 v13, v12, v5, v4
	v_fma_f32 v12, v4, v13, v5
	v_div_scale_f32 v18, s[0:1], v12, v12, 1.0
	v_rcp_f32_e32 v19, v18
	v_fma_f32 v20, -v18, v19, 1.0
	v_fmac_f32_e32 v19, v20, v19
	v_div_scale_f32 v20, vcc, 1.0, v12, 1.0
	v_mul_f32_e32 v21, v20, v19
	v_fma_f32 v22, -v18, v21, v20
	v_fmac_f32_e32 v21, v22, v19
	v_fma_f32 v18, -v18, v21, v20
	v_div_fmas_f32 v18, v18, v19, v21
	v_div_fixup_f32 v18, v18, v12, 1.0
	v_fma_f32 v12, v2, v13, v3
	v_fma_f32 v13, v3, v13, -v2
	v_mul_f32_e32 v12, v12, v18
	v_mul_f32_e32 v13, v13, v18
	s_cbranch_execz .LBB152_158
	s_branch .LBB152_159
.LBB152_157:                            ;   in Loop: Header=BB152_152 Depth=1
                                        ; implicit-def: $vgpr13
.LBB152_158:                            ;   in Loop: Header=BB152_152 Depth=1
	v_div_scale_f32 v12, s[0:1], v4, v4, v5
	v_rcp_f32_e32 v13, v12
	v_div_scale_f32 v18, vcc, v5, v4, v5
	v_fma_f32 v19, -v12, v13, 1.0
	v_fmac_f32_e32 v13, v19, v13
	v_mul_f32_e32 v19, v18, v13
	v_fma_f32 v20, -v12, v19, v18
	v_fmac_f32_e32 v19, v20, v13
	v_fma_f32 v12, -v12, v19, v18
	v_div_fmas_f32 v12, v12, v13, v19
	v_div_fixup_f32 v13, v12, v4, v5
	v_fmac_f32_e32 v4, v5, v13
	v_div_scale_f32 v5, s[0:1], v4, v4, 1.0
	v_rcp_f32_e32 v12, v5
	v_fma_f32 v18, -v5, v12, 1.0
	v_fmac_f32_e32 v12, v18, v12
	v_div_scale_f32 v18, vcc, 1.0, v4, 1.0
	v_mul_f32_e32 v19, v18, v12
	v_fma_f32 v20, -v5, v19, v18
	v_fmac_f32_e32 v19, v20, v12
	v_fma_f32 v5, -v5, v19, v18
	v_div_fmas_f32 v5, v5, v12, v19
	v_div_fixup_f32 v4, v5, v4, 1.0
	v_fma_f32 v5, v3, v13, v2
	v_fma_f32 v2, -v2, v13, v3
	v_mul_f32_e32 v12, v5, v4
	v_mul_f32_e32 v13, v2, v4
.LBB152_159:                            ;   in Loop: Header=BB152_152 Depth=1
	s_add_i32 s6, s6, s3
	s_lshl_b32 s0, s6, 3
	v_mov_b32_e32 v2, s0
	ds_read_b128 v[2:5], v2
	ds_write_b64 v17, v[12:13]
	s_waitcnt lgkmcnt(1)
	v_mul_f32_e32 v17, v13, v3
	v_mul_f32_e32 v3, v12, v3
	v_fma_f32 v17, v12, v2, -v17
	v_cmp_gt_f32_e32 vcc, 0, v5
	v_fmac_f32_e32 v3, v13, v2
	v_sub_f32_e32 v2, v10, v17
	v_cndmask_b32_e64 v10, v5, -v5, vcc
	v_cmp_gt_f32_e32 vcc, 0, v4
	v_sub_f32_e32 v3, v11, v3
	v_cndmask_b32_e64 v11, v4, -v4, vcc
	v_cmp_ngt_f32_e32 vcc, v11, v10
	s_cbranch_vccz .LBB152_161
; %bb.160:                              ;   in Loop: Header=BB152_152 Depth=1
	v_div_scale_f32 v10, s[0:1], v5, v5, v4
	v_rcp_f32_e32 v11, v10
	v_div_scale_f32 v17, vcc, v4, v5, v4
	v_fma_f32 v18, -v10, v11, 1.0
	v_fmac_f32_e32 v11, v18, v11
	v_mul_f32_e32 v18, v17, v11
	v_fma_f32 v19, -v10, v18, v17
	v_fmac_f32_e32 v18, v19, v11
	v_fma_f32 v10, -v10, v18, v17
	v_div_fmas_f32 v10, v10, v11, v18
	v_div_fixup_f32 v11, v10, v5, v4
	v_fma_f32 v10, v4, v11, v5
	v_div_scale_f32 v17, s[0:1], v10, v10, 1.0
	v_rcp_f32_e32 v18, v17
	v_fma_f32 v19, -v17, v18, 1.0
	v_fmac_f32_e32 v18, v19, v18
	v_div_scale_f32 v19, vcc, 1.0, v10, 1.0
	v_mul_f32_e32 v20, v19, v18
	v_fma_f32 v21, -v17, v20, v19
	v_fmac_f32_e32 v20, v21, v18
	v_fma_f32 v17, -v17, v20, v19
	v_div_fmas_f32 v17, v17, v18, v20
	v_div_fixup_f32 v17, v17, v10, 1.0
	v_fma_f32 v10, v11, v2, v3
	v_fma_f32 v11, v11, v3, -v2
	v_mul_f32_e32 v10, v10, v17
	v_mul_f32_e32 v11, v11, v17
	s_cbranch_execz .LBB152_162
	s_branch .LBB152_163
.LBB152_161:                            ;   in Loop: Header=BB152_152 Depth=1
                                        ; implicit-def: $vgpr11
.LBB152_162:                            ;   in Loop: Header=BB152_152 Depth=1
	v_div_scale_f32 v10, s[0:1], v4, v4, v5
	v_rcp_f32_e32 v11, v10
	v_div_scale_f32 v17, vcc, v5, v4, v5
	v_fma_f32 v18, -v10, v11, 1.0
	v_fmac_f32_e32 v11, v18, v11
	v_mul_f32_e32 v18, v17, v11
	v_fma_f32 v19, -v10, v18, v17
	v_fmac_f32_e32 v18, v19, v11
	v_fma_f32 v10, -v10, v18, v17
	v_div_fmas_f32 v10, v10, v11, v18
	v_div_fixup_f32 v11, v10, v4, v5
	v_fmac_f32_e32 v4, v5, v11
	v_div_scale_f32 v5, s[0:1], v4, v4, 1.0
	v_rcp_f32_e32 v10, v5
	v_fma_f32 v17, -v5, v10, 1.0
	v_fmac_f32_e32 v10, v17, v10
	v_div_scale_f32 v17, vcc, 1.0, v4, 1.0
	v_mul_f32_e32 v18, v17, v10
	v_fma_f32 v19, -v5, v18, v17
	v_fmac_f32_e32 v18, v19, v10
	v_fma_f32 v5, -v5, v18, v17
	v_div_fmas_f32 v5, v5, v10, v18
	v_div_fixup_f32 v4, v5, v4, 1.0
	v_fma_f32 v5, v11, v3, v2
	v_fma_f32 v2, -v11, v2, v3
	v_mul_f32_e32 v10, v5, v4
	v_mul_f32_e32 v11, v2, v4
.LBB152_163:                            ;   in Loop: Header=BB152_152 Depth=1
	s_add_i32 s5, s5, s3
	s_lshl_b32 s0, s5, 3
	v_mov_b32_e32 v2, s0
	ds_read_b128 v[18:21], v2
	v_mov_b32_e32 v2, s7
	ds_read_b64 v[2:3], v2 offset:272
	ds_write_b64 v16, v[10:11]
	s_waitcnt lgkmcnt(2)
	v_mul_f32_e32 v4, v13, v19
	v_mul_f32_e32 v5, v12, v19
	v_fma_f32 v4, v12, v18, -v4
	v_fmac_f32_e32 v5, v13, v18
	v_sub_f32_e32 v4, v8, v4
	v_mul_f32_e32 v8, v11, v21
	v_sub_f32_e32 v5, v9, v5
	v_fma_f32 v8, v10, v20, -v8
	v_mul_f32_e32 v9, v10, v21
	s_waitcnt lgkmcnt(1)
	v_cmp_gt_f32_e32 vcc, 0, v3
	v_fmac_f32_e32 v9, v11, v20
	v_sub_f32_e32 v4, v4, v8
	v_cndmask_b32_e64 v8, v3, -v3, vcc
	v_cmp_gt_f32_e32 vcc, 0, v2
	v_sub_f32_e32 v5, v5, v9
	v_cndmask_b32_e64 v9, v2, -v2, vcc
	v_cmp_ngt_f32_e32 vcc, v9, v8
	s_cbranch_vccz .LBB152_165
; %bb.164:                              ;   in Loop: Header=BB152_152 Depth=1
	v_div_scale_f32 v8, s[0:1], v3, v3, v2
	v_rcp_f32_e32 v9, v8
	v_div_scale_f32 v16, vcc, v2, v3, v2
	v_fma_f32 v17, -v8, v9, 1.0
	v_fmac_f32_e32 v9, v17, v9
	v_mul_f32_e32 v17, v16, v9
	v_fma_f32 v18, -v8, v17, v16
	v_fmac_f32_e32 v17, v18, v9
	v_fma_f32 v8, -v8, v17, v16
	v_div_fmas_f32 v8, v8, v9, v17
	v_div_fixup_f32 v9, v8, v3, v2
	v_fma_f32 v8, v2, v9, v3
	v_div_scale_f32 v16, s[0:1], v8, v8, 1.0
	v_rcp_f32_e32 v17, v16
	v_fma_f32 v18, -v16, v17, 1.0
	v_fmac_f32_e32 v17, v18, v17
	v_div_scale_f32 v18, vcc, 1.0, v8, 1.0
	v_mul_f32_e32 v19, v18, v17
	v_fma_f32 v20, -v16, v19, v18
	v_fmac_f32_e32 v19, v20, v17
	v_fma_f32 v16, -v16, v19, v18
	v_div_fmas_f32 v16, v16, v17, v19
	v_div_fixup_f32 v16, v16, v8, 1.0
	v_fma_f32 v8, v9, v4, v5
	v_fma_f32 v9, v9, v5, -v4
	v_mul_f32_e32 v8, v8, v16
	v_mul_f32_e32 v9, v9, v16
	s_cbranch_execz .LBB152_166
	s_branch .LBB152_167
.LBB152_165:                            ;   in Loop: Header=BB152_152 Depth=1
                                        ; implicit-def: $vgpr9
.LBB152_166:                            ;   in Loop: Header=BB152_152 Depth=1
	v_div_scale_f32 v8, s[0:1], v2, v2, v3
	v_rcp_f32_e32 v9, v8
	v_div_scale_f32 v16, vcc, v3, v2, v3
	v_fma_f32 v17, -v8, v9, 1.0
	v_fmac_f32_e32 v9, v17, v9
	v_mul_f32_e32 v17, v16, v9
	v_fma_f32 v18, -v8, v17, v16
	v_fmac_f32_e32 v17, v18, v9
	v_fma_f32 v8, -v8, v17, v16
	v_div_fmas_f32 v8, v8, v9, v17
	v_div_fixup_f32 v9, v8, v2, v3
	v_fmac_f32_e32 v2, v3, v9
	v_div_scale_f32 v3, s[0:1], v2, v2, 1.0
	v_rcp_f32_e32 v8, v3
	v_fma_f32 v16, -v3, v8, 1.0
	v_fmac_f32_e32 v8, v16, v8
	v_div_scale_f32 v16, vcc, 1.0, v2, 1.0
	v_mul_f32_e32 v17, v16, v8
	v_fma_f32 v18, -v3, v17, v16
	v_fmac_f32_e32 v17, v18, v8
	v_fma_f32 v3, -v3, v17, v16
	v_div_fmas_f32 v3, v3, v8, v17
	v_div_fixup_f32 v2, v3, v2, 1.0
	v_fma_f32 v3, v9, v5, v4
	v_mul_f32_e32 v8, v3, v2
	v_fma_f32 v3, -v9, v4, v5
	v_mul_f32_e32 v9, v3, v2
.LBB152_167:                            ;   in Loop: Header=BB152_152 Depth=1
	s_add_i32 s4, s4, s3
	s_lshl_b32 s0, s4, 3
	v_mov_b32_e32 v2, s0
	ds_read_b128 v[16:19], v2
	ds_write_b64 v15, v[8:9]
	ds_read_b128 v[2:5], v2 offset:16
	s_waitcnt lgkmcnt(2)
	v_mul_f32_e32 v15, v13, v17
	v_mul_f32_e32 v17, v12, v17
	v_fma_f32 v12, v12, v16, -v15
	v_sub_f32_e32 v6, v6, v12
	v_mul_f32_e32 v12, v11, v19
	v_fmac_f32_e32 v17, v13, v16
	v_fma_f32 v12, v10, v18, -v12
	v_mul_f32_e32 v10, v10, v19
	v_sub_f32_e32 v7, v7, v17
	v_fmac_f32_e32 v10, v11, v18
	v_sub_f32_e32 v7, v7, v10
	s_waitcnt lgkmcnt(0)
	v_mul_f32_e32 v10, v9, v3
	v_mul_f32_e32 v3, v8, v3
	v_cmp_gt_f32_e32 vcc, 0, v5
	v_fma_f32 v10, v8, v2, -v10
	v_fmac_f32_e32 v3, v9, v2
	v_cndmask_b32_e64 v2, v5, -v5, vcc
	v_cmp_gt_f32_e32 vcc, 0, v4
	v_sub_f32_e32 v7, v7, v3
	v_cndmask_b32_e64 v3, v4, -v4, vcc
	v_sub_f32_e32 v6, v6, v12
	v_cmp_ngt_f32_e32 vcc, v3, v2
	v_sub_f32_e32 v6, v6, v10
	s_cbranch_vccz .LBB152_169
; %bb.168:                              ;   in Loop: Header=BB152_152 Depth=1
	v_div_scale_f32 v2, s[0:1], v5, v5, v4
	v_rcp_f32_e32 v3, v2
	v_div_scale_f32 v8, vcc, v4, v5, v4
	v_fma_f32 v9, -v2, v3, 1.0
	v_fmac_f32_e32 v3, v9, v3
	v_mul_f32_e32 v9, v8, v3
	v_fma_f32 v10, -v2, v9, v8
	v_fmac_f32_e32 v9, v10, v3
	v_fma_f32 v2, -v2, v9, v8
	v_div_fmas_f32 v2, v2, v3, v9
	v_div_fixup_f32 v3, v2, v5, v4
	v_fma_f32 v2, v4, v3, v5
	v_div_scale_f32 v8, s[0:1], v2, v2, 1.0
	v_rcp_f32_e32 v9, v8
	v_fma_f32 v10, -v8, v9, 1.0
	v_fmac_f32_e32 v9, v10, v9
	v_div_scale_f32 v10, vcc, 1.0, v2, 1.0
	v_mul_f32_e32 v11, v10, v9
	v_fma_f32 v12, -v8, v11, v10
	v_fmac_f32_e32 v11, v12, v9
	v_fma_f32 v8, -v8, v11, v10
	v_div_fmas_f32 v8, v8, v9, v11
	v_div_fixup_f32 v8, v8, v2, 1.0
	v_fma_f32 v2, v3, v6, v7
	v_fma_f32 v3, v3, v7, -v6
	v_mul_f32_e32 v2, v2, v8
	v_mul_f32_e32 v3, v3, v8
	s_cbranch_execz .LBB152_170
	s_branch .LBB152_171
.LBB152_169:                            ;   in Loop: Header=BB152_152 Depth=1
                                        ; implicit-def: $vgpr3
.LBB152_170:                            ;   in Loop: Header=BB152_152 Depth=1
	v_div_scale_f32 v2, s[0:1], v4, v4, v5
	v_rcp_f32_e32 v3, v2
	v_div_scale_f32 v8, vcc, v5, v4, v5
	v_fma_f32 v9, -v2, v3, 1.0
	v_fmac_f32_e32 v3, v9, v3
	v_mul_f32_e32 v9, v8, v3
	v_fma_f32 v10, -v2, v9, v8
	v_fmac_f32_e32 v9, v10, v3
	v_fma_f32 v2, -v2, v9, v8
	v_div_fmas_f32 v2, v2, v3, v9
	v_div_fixup_f32 v3, v2, v4, v5
	v_fmac_f32_e32 v4, v5, v3
	v_div_scale_f32 v2, s[0:1], v4, v4, 1.0
	v_rcp_f32_e32 v5, v2
	v_fma_f32 v8, -v2, v5, 1.0
	v_fmac_f32_e32 v5, v8, v5
	v_div_scale_f32 v8, vcc, 1.0, v4, 1.0
	v_mul_f32_e32 v9, v8, v5
	v_fma_f32 v10, -v2, v9, v8
	v_fmac_f32_e32 v9, v10, v5
	v_fma_f32 v2, -v2, v9, v8
	v_div_fmas_f32 v2, v2, v5, v9
	v_div_fixup_f32 v4, v2, v4, 1.0
	v_fma_f32 v2, v3, v7, v6
	v_fma_f32 v3, -v3, v6, v7
	v_mul_f32_e32 v2, v2, v4
	v_mul_f32_e32 v3, v3, v4
.LBB152_171:                            ;   in Loop: Header=BB152_152 Depth=1
	s_add_i32 s4, s3, 4
	s_add_i32 s0, s3, 7
	s_addk_i32 s2, 0x200
	s_cmp_ge_i32 s0, s33
	ds_write_b64 v14, v[2:3]
	s_cbranch_scc1 .LBB152_173
; %bb.172:                              ;   in Loop: Header=BB152_152 Depth=1
	s_mov_b32 s3, s4
	s_branch .LBB152_152
.LBB152_173:
	s_cmp_ge_i32 s4, s33
	s_cbranch_scc1 .LBB152_188
; %bb.174:
	v_mov_b32_e32 v1, 0x800
	s_add_i32 s2, s4, -1
	v_lshl_or_b32 v1, v0, 3, v1
	s_lshl_b32 s3, s4, 7
	s_mov_b32 s5, 0
	v_lshlrev_b32_e32 v8, 3, v0
	s_mov_b32 s6, s4
	s_branch .LBB152_176
.LBB152_175:                            ;   in Loop: Header=BB152_176 Depth=1
	s_add_i32 s4, s4, 1
	s_add_i32 s5, s5, 1
	s_addk_i32 s3, 0x80
	v_add_u16_e64 v2, s6, 1
	s_cmp_ge_i32 s4, s33
	v_readfirstlane_b32 s6, v2
	ds_write_b64 v9, v[6:7]
	s_cbranch_scc1 .LBB152_188
.LBB152_176:                            ; =>This Loop Header: Depth=1
                                        ;     Child Loop BB152_179 Depth 2
                                        ;     Child Loop BB152_183 Depth 2
	v_lshl_or_b32 v4, s4, 7, v8
	ds_read_b64 v[2:3], v4 offset:2048
	s_cmp_eq_u32 s4, 0
	s_cbranch_scc1 .LBB152_184
; %bb.177:                              ;   in Loop: Header=BB152_176 Depth=1
	s_add_i32 s0, s2, s5
	s_cmp_lt_u32 s0, 7
	s_cbranch_scc1 .LBB152_181
; %bb.178:                              ;   in Loop: Header=BB152_176 Depth=1
	s_and_b32 s0, s4, -8
	s_mov_b32 s1, 0
	s_mov_b32 s7, s3
	v_mov_b32_e32 v5, v1
.LBB152_179:                            ;   Parent Loop BB152_176 Depth=1
                                        ; =>  This Inner Loop Header: Depth=2
	ds_read2_b64 v[10:13], v5 offset1:16
	v_mov_b32_e32 v6, s7
	ds_read2_b64 v[14:17], v5 offset0:32 offset1:48
	ds_read2_b64 v[18:21], v5 offset0:64 offset1:80
	;; [unrolled: 1-line block ×3, first 2 shown]
	ds_read_b128 v[26:29], v6
	ds_read_b128 v[30:33], v6 offset:16
	ds_read_b128 v[34:37], v6 offset:32
	;; [unrolled: 1-line block ×3, first 2 shown]
	s_add_i32 s1, s1, 8
	s_waitcnt lgkmcnt(3)
	v_pk_mul_f32 v[6:7], v[26:27], v[10:11] op_sel:[0,1]
	v_pk_mul_f32 v[42:43], v[28:29], v[12:13] op_sel:[0,1]
	v_pk_fma_f32 v[56:57], v[26:27], v[10:11], v[6:7] op_sel:[0,0,1] op_sel_hi:[1,0,0]
	v_pk_fma_f32 v[6:7], v[26:27], v[10:11], v[6:7] op_sel:[0,0,1] op_sel_hi:[1,0,0] neg_lo:[0,0,1] neg_hi:[0,0,1]
	s_waitcnt lgkmcnt(2)
	v_pk_mul_f32 v[44:45], v[30:31], v[14:15] op_sel:[0,1]
	v_pk_fma_f32 v[10:11], v[28:29], v[12:13], v[42:43] op_sel:[0,0,1] op_sel_hi:[1,0,0]
	v_pk_fma_f32 v[12:13], v[28:29], v[12:13], v[42:43] op_sel:[0,0,1] op_sel_hi:[1,0,0] neg_lo:[0,0,1] neg_hi:[0,0,1]
	v_mov_b32_e32 v7, v57
	v_pk_mul_f32 v[46:47], v[32:33], v[16:17] op_sel:[0,1]
	v_pk_fma_f32 v[26:27], v[30:31], v[14:15], v[44:45] op_sel:[0,0,1] op_sel_hi:[1,0,0]
	v_pk_fma_f32 v[14:15], v[30:31], v[14:15], v[44:45] op_sel:[0,0,1] op_sel_hi:[1,0,0] neg_lo:[0,0,1] neg_hi:[0,0,1]
	v_mov_b32_e32 v13, v11
	v_pk_add_f32 v[2:3], v[2:3], v[6:7] neg_lo:[0,1] neg_hi:[0,1]
	s_waitcnt lgkmcnt(1)
	v_pk_mul_f32 v[48:49], v[34:35], v[18:19] op_sel:[0,1]
	v_pk_fma_f32 v[28:29], v[32:33], v[16:17], v[46:47] op_sel:[0,0,1] op_sel_hi:[1,0,0]
	v_pk_fma_f32 v[16:17], v[32:33], v[16:17], v[46:47] op_sel:[0,0,1] op_sel_hi:[1,0,0] neg_lo:[0,0,1] neg_hi:[0,0,1]
	v_mov_b32_e32 v15, v27
	v_pk_add_f32 v[2:3], v[2:3], v[12:13] neg_lo:[0,1] neg_hi:[0,1]
	v_pk_mul_f32 v[50:51], v[36:37], v[20:21] op_sel:[0,1]
	v_pk_fma_f32 v[30:31], v[34:35], v[18:19], v[48:49] op_sel:[0,0,1] op_sel_hi:[1,0,0]
	v_pk_fma_f32 v[18:19], v[34:35], v[18:19], v[48:49] op_sel:[0,0,1] op_sel_hi:[1,0,0] neg_lo:[0,0,1] neg_hi:[0,0,1]
	v_mov_b32_e32 v17, v29
	v_pk_add_f32 v[2:3], v[2:3], v[14:15] neg_lo:[0,1] neg_hi:[0,1]
	s_waitcnt lgkmcnt(0)
	v_pk_mul_f32 v[52:53], v[38:39], v[22:23] op_sel:[0,1]
	v_pk_fma_f32 v[32:33], v[36:37], v[20:21], v[50:51] op_sel:[0,0,1] op_sel_hi:[1,0,0]
	v_pk_fma_f32 v[20:21], v[36:37], v[20:21], v[50:51] op_sel:[0,0,1] op_sel_hi:[1,0,0] neg_lo:[0,0,1] neg_hi:[0,0,1]
	v_mov_b32_e32 v19, v31
	v_pk_add_f32 v[2:3], v[2:3], v[16:17] neg_lo:[0,1] neg_hi:[0,1]
	v_pk_mul_f32 v[54:55], v[40:41], v[24:25] op_sel:[0,1]
	v_pk_fma_f32 v[34:35], v[38:39], v[22:23], v[52:53] op_sel:[0,0,1] op_sel_hi:[1,0,0]
	v_pk_fma_f32 v[22:23], v[38:39], v[22:23], v[52:53] op_sel:[0,0,1] op_sel_hi:[1,0,0] neg_lo:[0,0,1] neg_hi:[0,0,1]
	v_mov_b32_e32 v21, v33
	v_pk_add_f32 v[2:3], v[2:3], v[18:19] neg_lo:[0,1] neg_hi:[0,1]
	v_pk_fma_f32 v[36:37], v[40:41], v[24:25], v[54:55] op_sel:[0,0,1] op_sel_hi:[1,0,0]
	v_pk_fma_f32 v[24:25], v[40:41], v[24:25], v[54:55] op_sel:[0,0,1] op_sel_hi:[1,0,0] neg_lo:[0,0,1] neg_hi:[0,0,1]
	v_mov_b32_e32 v23, v35
	v_pk_add_f32 v[2:3], v[2:3], v[20:21] neg_lo:[0,1] neg_hi:[0,1]
	s_add_i32 s7, s7, 64
	v_mov_b32_e32 v25, v37
	v_pk_add_f32 v[2:3], v[2:3], v[22:23] neg_lo:[0,1] neg_hi:[0,1]
	v_add_u32_e32 v5, 0x400, v5
	s_cmp_eq_u32 s0, s1
	v_pk_add_f32 v[2:3], v[2:3], v[24:25] neg_lo:[0,1] neg_hi:[0,1]
	s_cbranch_scc0 .LBB152_179
; %bb.180:                              ;   in Loop: Header=BB152_176 Depth=1
	s_and_b32 s1, s4, 7
	s_cmp_eq_u32 s1, 0
	s_cbranch_scc0 .LBB152_182
	s_branch .LBB152_184
.LBB152_181:                            ;   in Loop: Header=BB152_176 Depth=1
	s_mov_b32 s0, 0
	s_and_b32 s1, s4, 7
	s_cmp_eq_u32 s1, 0
	s_cbranch_scc1 .LBB152_184
.LBB152_182:                            ;   in Loop: Header=BB152_176 Depth=1
	s_and_b32 s1, s6, 7
	s_lshl_b32 s7, s0, 3
	v_lshl_add_u32 v5, s0, 7, v1
.LBB152_183:                            ;   Parent Loop BB152_176 Depth=1
                                        ; =>  This Inner Loop Header: Depth=2
	s_add_i32 s0, s3, s7
	v_mov_b32_e32 v9, s0
	ds_read_b64 v[6:7], v5
	ds_read_b64 v[10:11], v9
	s_add_i32 s7, s7, 8
	s_add_i32 s1, s1, -1
	v_add_u32_e32 v5, 0x80, v5
	s_cmp_lg_u32 s1, 0
	s_waitcnt lgkmcnt(0)
	v_pk_mul_f32 v[12:13], v[10:11], v[6:7] op_sel:[0,1]
	v_pk_fma_f32 v[14:15], v[10:11], v[6:7], v[12:13] op_sel:[0,0,1] op_sel_hi:[1,0,0]
	v_pk_fma_f32 v[6:7], v[10:11], v[6:7], v[12:13] op_sel:[0,0,1] op_sel_hi:[1,0,0] neg_lo:[0,0,1] neg_hi:[0,0,1]
	v_mov_b32_e32 v7, v15
	v_pk_add_f32 v[2:3], v[2:3], v[6:7] neg_lo:[0,1] neg_hi:[0,1]
	s_cbranch_scc1 .LBB152_183
.LBB152_184:                            ;   in Loop: Header=BB152_176 Depth=1
	s_mul_i32 s0, s4, 0x88
	v_add_u32_e32 v9, 0x800, v4
	v_mov_b32_e32 v4, s0
	ds_read_b64 v[4:5], v4
	s_waitcnt lgkmcnt(0)
	v_cmp_gt_f32_e32 vcc, 0, v5
	v_cndmask_b32_e64 v6, v5, -v5, vcc
	v_cmp_gt_f32_e32 vcc, 0, v4
	v_cndmask_b32_e64 v7, v4, -v4, vcc
	v_cmp_ngt_f32_e32 vcc, v7, v6
	s_cbranch_vccz .LBB152_186
; %bb.185:                              ;   in Loop: Header=BB152_176 Depth=1
	v_div_scale_f32 v6, s[0:1], v5, v5, v4
	v_rcp_f32_e32 v7, v6
	v_div_scale_f32 v10, vcc, v4, v5, v4
	v_fma_f32 v11, -v6, v7, 1.0
	v_fmac_f32_e32 v7, v11, v7
	v_mul_f32_e32 v11, v10, v7
	v_fma_f32 v12, -v6, v11, v10
	v_fmac_f32_e32 v11, v12, v7
	v_fma_f32 v6, -v6, v11, v10
	v_div_fmas_f32 v6, v6, v7, v11
	v_div_fixup_f32 v6, v6, v5, v4
	v_fma_f32 v7, v4, v6, v5
	v_div_scale_f32 v10, s[0:1], v7, v7, 1.0
	v_rcp_f32_e32 v11, v10
	v_fma_f32 v12, -v10, v11, 1.0
	v_fmac_f32_e32 v11, v12, v11
	v_div_scale_f32 v12, vcc, 1.0, v7, 1.0
	v_mul_f32_e32 v13, v12, v11
	v_fma_f32 v14, -v10, v13, v12
	v_fmac_f32_e32 v13, v14, v11
	v_fma_f32 v10, -v10, v13, v12
	v_div_fmas_f32 v10, v10, v11, v13
	v_div_fixup_f32 v10, v10, v7, 1.0
	v_pk_fma_f32 v[12:13], v[2:3], v[6:7], v[2:3] op_sel:[0,0,1] op_sel_hi:[1,0,0] neg_lo:[0,0,1] neg_hi:[0,0,1]
	v_pk_fma_f32 v[6:7], v[2:3], v[6:7], v[2:3] op_sel:[0,0,1] op_sel_hi:[1,0,0]
	v_mov_b32_e32 v7, v13
	v_pk_mul_f32 v[6:7], v[6:7], v[10:11] op_sel_hi:[1,0]
	s_cbranch_execnz .LBB152_175
	s_branch .LBB152_187
.LBB152_186:                            ;   in Loop: Header=BB152_176 Depth=1
                                        ; implicit-def: $vgpr6_vgpr7
.LBB152_187:                            ;   in Loop: Header=BB152_176 Depth=1
	v_div_scale_f32 v6, s[0:1], v4, v4, v5
	v_rcp_f32_e32 v7, v6
	v_div_scale_f32 v10, vcc, v5, v4, v5
	v_fma_f32 v11, -v6, v7, 1.0
	v_fmac_f32_e32 v7, v11, v7
	v_mul_f32_e32 v11, v10, v7
	v_fma_f32 v12, -v6, v11, v10
	v_fmac_f32_e32 v11, v12, v7
	v_fma_f32 v6, -v6, v11, v10
	v_div_fmas_f32 v6, v6, v7, v11
	v_div_fixup_f32 v6, v6, v4, v5
	v_fmac_f32_e32 v4, v5, v6
	v_div_scale_f32 v5, s[0:1], v4, v4, 1.0
	v_rcp_f32_e32 v7, v5
	v_fma_f32 v10, -v5, v7, 1.0
	v_fmac_f32_e32 v7, v10, v7
	v_div_scale_f32 v10, vcc, 1.0, v4, 1.0
	v_mul_f32_e32 v11, v10, v7
	v_fma_f32 v12, -v5, v11, v10
	v_fmac_f32_e32 v11, v12, v7
	v_fma_f32 v5, -v5, v11, v10
	v_div_fmas_f32 v5, v5, v7, v11
	v_pk_mul_f32 v[6:7], v[2:3], v[6:7] op_sel_hi:[1,0]
	v_pk_add_f32 v[10:11], v[2:3], v[6:7] op_sel:[0,1] op_sel_hi:[1,0] neg_lo:[0,1] neg_hi:[0,1]
	v_pk_add_f32 v[2:3], v[2:3], v[6:7] op_sel:[0,1] op_sel_hi:[1,0]
	v_div_fixup_f32 v4, v5, v4, 1.0
	v_mov_b32_e32 v3, v11
	v_pk_mul_f32 v[6:7], v[2:3], v[4:5] op_sel_hi:[1,0]
	s_branch .LBB152_175
.LBB152_188:
	s_and_saveexec_b64 s[0:1], s[28:29]
	s_cbranch_execz .LBB152_195
; %bb.189:
	s_ashr_i32 s15, s14, 31
	s_mov_b32 s6, 0
	s_cmp_lt_u32 s16, 4
	v_lshlrev_b32_e32 v4, 3, v0
	s_cbranch_scc1 .LBB152_192
; %bb.190:
	v_mov_b32_e32 v1, s49
	v_add_co_u32_e32 v2, vcc, s48, v4
	v_addc_co_u32_e32 v3, vcc, 0, v1, vcc
	v_mov_b32_e32 v1, 0x800
	s_mul_hi_i32 s9, s14, 24
	s_lshl_b64 s[0:1], s[14:15], 5
	s_lshl_b64 s[2:3], s[14:15], 4
	;; [unrolled: 1-line block ×3, first 2 shown]
	s_and_b32 s6, s16, 0x7ffffffc
	v_lshl_or_b32 v0, v0, 3, v1
	s_mul_i32 s7, s14, 24
	s_mov_b32 s8, 0
	v_mov_b32_e32 v1, s5
	v_mov_b32_e32 v5, s3
	;; [unrolled: 1-line block ×4, first 2 shown]
.LBB152_191:                            ; =>This Inner Loop Header: Depth=1
	v_add_co_u32_e32 v16, vcc, s4, v2
	ds_read2_b64 v[8:11], v0 offset1:16
	v_addc_co_u32_e32 v17, vcc, v3, v1, vcc
	v_add_co_u32_e32 v18, vcc, s2, v2
	v_addc_co_u32_e32 v19, vcc, v3, v5, vcc
	ds_read2_b64 v[12:15], v0 offset0:32 offset1:48
	v_add_co_u32_e32 v20, vcc, s7, v2
	v_addc_co_u32_e32 v21, vcc, v3, v6, vcc
	s_add_i32 s8, s8, 4
	s_waitcnt lgkmcnt(1)
	global_store_dwordx2 v[2:3], v[8:9], off
	global_store_dwordx2 v[16:17], v[10:11], off
	s_waitcnt lgkmcnt(0)
	global_store_dwordx2 v[18:19], v[12:13], off
	global_store_dwordx2 v[20:21], v[14:15], off
	v_add_co_u32_e32 v2, vcc, s0, v2
	v_add_u32_e32 v0, 0x200, v0
	s_cmp_lg_u32 s6, s8
	v_addc_co_u32_e32 v3, vcc, v3, v7, vcc
	s_cbranch_scc1 .LBB152_191
.LBB152_192:
	s_and_b32 s2, s16, 3
	s_cmp_eq_u32 s2, 0
	s_cbranch_scc1 .LBB152_195
; %bb.193:
	s_mul_hi_i32 s1, s14, s6
	s_mul_i32 s0, s14, s6
	s_lshl_b64 s[0:1], s[0:1], 3
	s_add_u32 s0, s24, s0
	s_addc_u32 s1, s25, s1
	s_add_u32 s0, s0, s26
	s_addc_u32 s1, s1, s27
	s_add_u32 s0, s0, s20
	s_addc_u32 s1, s1, s21
	s_add_u32 s0, s22, s0
	s_addc_u32 s1, s23, s1
	v_mov_b32_e32 v1, s1
	v_add_co_u32_e32 v0, vcc, s0, v4
	s_lshl_b64 s[0:1], s[14:15], 3
	v_lshl_or_b32 v2, s6, 7, v4
	v_addc_co_u32_e32 v1, vcc, 0, v1, vcc
	v_add_u32_e32 v2, 0x800, v2
	v_mov_b32_e32 v3, s1
.LBB152_194:                            ; =>This Inner Loop Header: Depth=1
	ds_read_b64 v[4:5], v2
	s_add_i32 s2, s2, -1
	v_add_u32_e32 v2, 0x80, v2
	s_cmp_lg_u32 s2, 0
	s_waitcnt lgkmcnt(0)
	global_store_dwordx2 v[0:1], v[4:5], off
	v_add_co_u32_e32 v0, vcc, s0, v0
	v_addc_co_u32_e32 v1, vcc, v1, v3, vcc
	s_cbranch_scc1 .LBB152_194
.LBB152_195:
	s_endpgm
	.section	.rodata,"a",@progbits
	.p2align	6, 0x0
	.amdhsa_kernel _ZL31rocblas_trsm_small_right_deviceI19rocblas_complex_numIfES1_PKS1_PS1_Li16EEv13rocblas_fill_18rocblas_operation_17rocblas_diagonal_iiT0_T1_lilT2_lili
		.amdhsa_group_segment_fixed_size 4096
		.amdhsa_private_segment_fixed_size 0
		.amdhsa_kernarg_size 360
		.amdhsa_user_sgpr_count 6
		.amdhsa_user_sgpr_private_segment_buffer 1
		.amdhsa_user_sgpr_dispatch_ptr 0
		.amdhsa_user_sgpr_queue_ptr 0
		.amdhsa_user_sgpr_kernarg_segment_ptr 1
		.amdhsa_user_sgpr_dispatch_id 0
		.amdhsa_user_sgpr_flat_scratch_init 0
		.amdhsa_user_sgpr_kernarg_preload_length 0
		.amdhsa_user_sgpr_kernarg_preload_offset 0
		.amdhsa_user_sgpr_private_segment_size 0
		.amdhsa_uses_dynamic_stack 0
		.amdhsa_system_sgpr_private_segment_wavefront_offset 0
		.amdhsa_system_sgpr_workgroup_id_x 1
		.amdhsa_system_sgpr_workgroup_id_y 0
		.amdhsa_system_sgpr_workgroup_id_z 1
		.amdhsa_system_sgpr_workgroup_info 0
		.amdhsa_system_vgpr_workitem_id 0
		.amdhsa_next_free_vgpr 58
		.amdhsa_next_free_sgpr 60
		.amdhsa_accum_offset 60
		.amdhsa_reserve_vcc 1
		.amdhsa_reserve_flat_scratch 0
		.amdhsa_float_round_mode_32 0
		.amdhsa_float_round_mode_16_64 0
		.amdhsa_float_denorm_mode_32 3
		.amdhsa_float_denorm_mode_16_64 3
		.amdhsa_dx10_clamp 1
		.amdhsa_ieee_mode 1
		.amdhsa_fp16_overflow 0
		.amdhsa_tg_split 0
		.amdhsa_exception_fp_ieee_invalid_op 0
		.amdhsa_exception_fp_denorm_src 0
		.amdhsa_exception_fp_ieee_div_zero 0
		.amdhsa_exception_fp_ieee_overflow 0
		.amdhsa_exception_fp_ieee_underflow 0
		.amdhsa_exception_fp_ieee_inexact 0
		.amdhsa_exception_int_div_zero 0
	.end_amdhsa_kernel
	.section	.text._ZL31rocblas_trsm_small_right_deviceI19rocblas_complex_numIfES1_PKS1_PS1_Li16EEv13rocblas_fill_18rocblas_operation_17rocblas_diagonal_iiT0_T1_lilT2_lili,"axG",@progbits,_ZL31rocblas_trsm_small_right_deviceI19rocblas_complex_numIfES1_PKS1_PS1_Li16EEv13rocblas_fill_18rocblas_operation_17rocblas_diagonal_iiT0_T1_lilT2_lili,comdat
.Lfunc_end152:
	.size	_ZL31rocblas_trsm_small_right_deviceI19rocblas_complex_numIfES1_PKS1_PS1_Li16EEv13rocblas_fill_18rocblas_operation_17rocblas_diagonal_iiT0_T1_lilT2_lili, .Lfunc_end152-_ZL31rocblas_trsm_small_right_deviceI19rocblas_complex_numIfES1_PKS1_PS1_Li16EEv13rocblas_fill_18rocblas_operation_17rocblas_diagonal_iiT0_T1_lilT2_lili
                                        ; -- End function
	.section	.AMDGPU.csdata,"",@progbits
; Kernel info:
; codeLenInByte = 15768
; NumSgprs: 64
; NumVgprs: 58
; NumAgprs: 0
; TotalNumVgprs: 58
; ScratchSize: 0
; MemoryBound: 0
; FloatMode: 240
; IeeeMode: 1
; LDSByteSize: 4096 bytes/workgroup (compile time only)
; SGPRBlocks: 7
; VGPRBlocks: 7
; NumSGPRsForWavesPerEU: 64
; NumVGPRsForWavesPerEU: 58
; AccumOffset: 60
; Occupancy: 4
; WaveLimiterHint : 0
; COMPUTE_PGM_RSRC2:SCRATCH_EN: 0
; COMPUTE_PGM_RSRC2:USER_SGPR: 6
; COMPUTE_PGM_RSRC2:TRAP_HANDLER: 0
; COMPUTE_PGM_RSRC2:TGID_X_EN: 1
; COMPUTE_PGM_RSRC2:TGID_Y_EN: 0
; COMPUTE_PGM_RSRC2:TGID_Z_EN: 1
; COMPUTE_PGM_RSRC2:TIDIG_COMP_CNT: 0
; COMPUTE_PGM_RSRC3_GFX90A:ACCUM_OFFSET: 14
; COMPUTE_PGM_RSRC3_GFX90A:TG_SPLIT: 0
	.section	.text._ZL38rocblas_trsm_small_left_device_sharedBILi20ELi20ELb0E19rocblas_complex_numIfES1_PKS1_PS1_Ev13rocblas_fill_18rocblas_operation_17rocblas_diagonal_iiT3_T4_lilT5_lili,"axG",@progbits,_ZL38rocblas_trsm_small_left_device_sharedBILi20ELi20ELb0E19rocblas_complex_numIfES1_PKS1_PS1_Ev13rocblas_fill_18rocblas_operation_17rocblas_diagonal_iiT3_T4_lilT5_lili,comdat
	.globl	_ZL38rocblas_trsm_small_left_device_sharedBILi20ELi20ELb0E19rocblas_complex_numIfES1_PKS1_PS1_Ev13rocblas_fill_18rocblas_operation_17rocblas_diagonal_iiT3_T4_lilT5_lili ; -- Begin function _ZL38rocblas_trsm_small_left_device_sharedBILi20ELi20ELb0E19rocblas_complex_numIfES1_PKS1_PS1_Ev13rocblas_fill_18rocblas_operation_17rocblas_diagonal_iiT3_T4_lilT5_lili
	.p2align	8
	.type	_ZL38rocblas_trsm_small_left_device_sharedBILi20ELi20ELb0E19rocblas_complex_numIfES1_PKS1_PS1_Ev13rocblas_fill_18rocblas_operation_17rocblas_diagonal_iiT3_T4_lilT5_lili,@function
_ZL38rocblas_trsm_small_left_device_sharedBILi20ELi20ELb0E19rocblas_complex_numIfES1_PKS1_PS1_Ev13rocblas_fill_18rocblas_operation_17rocblas_diagonal_iiT3_T4_lilT5_lili: ; @_ZL38rocblas_trsm_small_left_device_sharedBILi20ELi20ELb0E19rocblas_complex_numIfES1_PKS1_PS1_Ev13rocblas_fill_18rocblas_operation_17rocblas_diagonal_iiT3_T4_lilT5_lili
; %bb.0:
	s_add_u32 s0, s0, s10
	s_load_dwordx4 s[20:23], s[4:5], 0x4
	s_load_dwordx2 s[30:31], s[4:5], 0x14
	s_load_dwordx4 s[16:19], s[4:5], 0x38
	s_load_dwordx2 s[24:25], s[4:5], 0x48
	s_load_dword s42, s[4:5], 0x68
	s_addc_u32 s1, s1, 0
	s_waitcnt lgkmcnt(0)
	s_min_i32 s33, s22, 20
	s_mov_b32 s43, 0
	s_add_i32 s44, s33, -1
	v_cmp_gt_i32_e32 vcc, s33, v0
	s_and_saveexec_b64 s[26:27], vcc
	s_cbranch_execz .LBB153_35
; %bb.1:
	s_load_dword s28, s[4:5], 0x30
	s_load_dwordx4 s[12:15], s[4:5], 0x20
	s_mul_i32 s6, s9, s17
	s_mul_hi_u32 s7, s9, s16
	s_mul_i32 s16, s9, s16
	s_waitcnt lgkmcnt(0)
	s_ashr_i32 s29, s28, 31
	s_cmpk_lg_i32 s20, 0x71
	s_cselect_b64 s[34:35], -1, 0
	s_add_i32 s17, s7, s6
	v_cndmask_b32_e64 v1, 0, 1, s[34:35]
	s_cmp_lt_u32 s44, 3
	v_cmp_ne_u32_e64 s[6:7], 1, v1
	s_cbranch_scc1 .LBB153_20
; %bb.2:
	s_lshl_b64 s[10:11], s[16:17], 3
	s_add_u32 s36, s12, s10
	s_addc_u32 s37, s13, s11
	s_lshl_b64 s[10:11], s[14:15], 3
	s_add_u32 s10, s36, s10
	s_addc_u32 s11, s37, s11
	v_lshlrev_b32_e32 v1, 3, v0
	v_mov_b32_e32 v3, s11
	v_add_co_u32_e32 v2, vcc, s10, v1
	s_mul_hi_i32 s10, s28, 24
	s_lshl_b64 s[36:37], s[28:29], 5
	s_lshl_b64 s[38:39], s[28:29], 4
	;; [unrolled: 1-line block ×3, first 2 shown]
	v_addc_co_u32_e32 v3, vcc, 0, v3, vcc
	s_and_b32 s43, s33, -4
	s_mul_i32 s45, s28, 24
	s_mov_b32 s46, 0
	v_mov_b32_e32 v8, s41
	v_mov_b32_e32 v9, s39
	;; [unrolled: 1-line block ×4, first 2 shown]
	s_branch .LBB153_4
.LBB153_3:                              ;   in Loop: Header=BB153_4 Depth=1
	global_load_dword v4, v[6:7], off
	s_add_i32 s46, s46, 4
	v_add_co_u32_e32 v2, vcc, s36, v2
	v_addc_co_u32_e32 v3, vcc, v3, v11, vcc
	s_cmp_eq_u32 s43, s46
	s_waitcnt vmcnt(0)
	ds_write_b64 v1, v[4:5] offset:480
	v_add_u32_e32 v1, 0x280, v1
	s_cbranch_scc1 .LBB153_20
.LBB153_4:                              ; =>This Inner Loop Header: Depth=1
	s_and_b64 vcc, exec, s[34:35]
	s_cbranch_vccz .LBB153_6
; %bb.5:                                ;   in Loop: Header=BB153_4 Depth=1
	global_load_dword v5, v[2:3], off offset:4
	s_cbranch_execz .LBB153_7
	s_branch .LBB153_8
.LBB153_6:                              ;   in Loop: Header=BB153_4 Depth=1
                                        ; implicit-def: $vgpr5
.LBB153_7:                              ;   in Loop: Header=BB153_4 Depth=1
	global_load_dword v4, v[2:3], off offset:4
	s_waitcnt vmcnt(0)
	v_xor_b32_e32 v5, 0x80000000, v4
.LBB153_8:                              ;   in Loop: Header=BB153_4 Depth=1
	global_load_dword v4, v[2:3], off
	v_add_co_u32_e64 v6, s[10:11], s40, v2
	s_and_b64 vcc, exec, s[6:7]
	v_addc_co_u32_e64 v7, s[10:11], v3, v8, s[10:11]
	s_waitcnt vmcnt(0)
	ds_write_b64 v1, v[4:5]
	s_cbranch_vccnz .LBB153_10
; %bb.9:                                ;   in Loop: Header=BB153_4 Depth=1
	global_load_dword v5, v[6:7], off offset:4
	s_cbranch_execz .LBB153_11
	s_branch .LBB153_12
.LBB153_10:                             ;   in Loop: Header=BB153_4 Depth=1
                                        ; implicit-def: $vgpr5
.LBB153_11:                             ;   in Loop: Header=BB153_4 Depth=1
	global_load_dword v4, v[6:7], off offset:4
	s_waitcnt vmcnt(0)
	v_xor_b32_e32 v5, 0x80000000, v4
.LBB153_12:                             ;   in Loop: Header=BB153_4 Depth=1
	global_load_dword v4, v[6:7], off
	v_add_co_u32_e64 v6, s[10:11], s38, v2
	s_and_b64 vcc, exec, s[6:7]
	v_addc_co_u32_e64 v7, s[10:11], v3, v9, s[10:11]
	s_waitcnt vmcnt(0)
	ds_write_b64 v1, v[4:5] offset:160
	s_cbranch_vccnz .LBB153_14
; %bb.13:                               ;   in Loop: Header=BB153_4 Depth=1
	global_load_dword v5, v[6:7], off offset:4
	s_cbranch_execz .LBB153_15
	s_branch .LBB153_16
.LBB153_14:                             ;   in Loop: Header=BB153_4 Depth=1
                                        ; implicit-def: $vgpr5
.LBB153_15:                             ;   in Loop: Header=BB153_4 Depth=1
	global_load_dword v4, v[6:7], off offset:4
	s_waitcnt vmcnt(0)
	v_xor_b32_e32 v5, 0x80000000, v4
.LBB153_16:                             ;   in Loop: Header=BB153_4 Depth=1
	global_load_dword v4, v[6:7], off
	v_add_co_u32_e64 v6, s[10:11], s45, v2
	s_and_b64 vcc, exec, s[6:7]
	v_addc_co_u32_e64 v7, s[10:11], v3, v10, s[10:11]
	s_waitcnt vmcnt(0)
	ds_write_b64 v1, v[4:5] offset:320
	s_cbranch_vccnz .LBB153_18
; %bb.17:                               ;   in Loop: Header=BB153_4 Depth=1
	global_load_dword v5, v[6:7], off offset:4
	s_cbranch_execnz .LBB153_3
	s_branch .LBB153_19
.LBB153_18:                             ;   in Loop: Header=BB153_4 Depth=1
                                        ; implicit-def: $vgpr5
.LBB153_19:                             ;   in Loop: Header=BB153_4 Depth=1
	global_load_dword v4, v[6:7], off offset:4
	s_waitcnt vmcnt(0)
	v_xor_b32_e32 v5, 0x80000000, v4
	s_branch .LBB153_3
.LBB153_20:
	s_and_b32 s34, s33, 3
	s_cmp_eq_u32 s34, 0
	s_cbranch_scc1 .LBB153_27
; %bb.21:
	s_mul_i32 s10, s43, 0xa0
	v_lshl_add_u32 v1, v0, 3, s10
	s_lshl_b64 s[10:11], s[16:17], 3
	s_mul_i32 s16, s29, s43
	s_mul_hi_u32 s17, s28, s43
	s_add_i32 s17, s17, s16
	s_mul_i32 s16, s28, s43
	s_lshl_b64 s[16:17], s[16:17], 3
	s_add_u32 s16, s10, s16
	s_addc_u32 s17, s11, s17
	s_lshl_b64 s[10:11], s[14:15], 3
	s_add_u32 s10, s16, s10
	s_addc_u32 s11, s17, s11
	s_add_u32 s10, s12, s10
	v_lshlrev_b32_e32 v2, 3, v0
	s_addc_u32 s11, s13, s11
	v_mov_b32_e32 v3, s11
	v_add_co_u32_e32 v2, vcc, s10, v2
	v_addc_co_u32_e32 v3, vcc, 0, v3, vcc
	v_add_co_u32_e32 v2, vcc, 4, v2
	s_lshl_b64 s[10:11], s[28:29], 3
	v_addc_co_u32_e32 v3, vcc, 0, v3, vcc
	v_mov_b32_e32 v6, s11
	s_branch .LBB153_23
.LBB153_22:                             ;   in Loop: Header=BB153_23 Depth=1
	global_load_dword v4, v[2:3], off offset:-4
	s_add_i32 s34, s34, -1
	v_add_co_u32_e32 v2, vcc, s10, v2
	s_cmp_lg_u32 s34, 0
	v_addc_co_u32_e32 v3, vcc, v3, v6, vcc
	s_waitcnt vmcnt(0)
	ds_write_b64 v1, v[4:5]
	v_add_u32_e32 v1, 0xa0, v1
	s_cbranch_scc0 .LBB153_27
.LBB153_23:                             ; =>This Inner Loop Header: Depth=1
	s_and_b64 vcc, exec, s[6:7]
	s_cbranch_vccnz .LBB153_25
; %bb.24:                               ;   in Loop: Header=BB153_23 Depth=1
	global_load_dword v5, v[2:3], off
	s_cbranch_execnz .LBB153_22
	s_branch .LBB153_26
.LBB153_25:                             ;   in Loop: Header=BB153_23 Depth=1
                                        ; implicit-def: $vgpr5
.LBB153_26:                             ;   in Loop: Header=BB153_23 Depth=1
	global_load_dword v4, v[2:3], off
	s_waitcnt vmcnt(0)
	v_xor_b32_e32 v5, 0x80000000, v4
	s_branch .LBB153_22
.LBB153_27:
	v_mul_u32_u24_e32 v1, 21, v0
	s_cmpk_lg_i32 s21, 0x84
	v_lshlrev_b32_e32 v1, 3, v1
	s_mov_b64 s[6:7], -1
	s_cbranch_scc0 .LBB153_33
; %bb.28:
	ds_read_b64 v[2:3], v1
	s_mov_b32 s6, 0
	s_waitcnt lgkmcnt(0)
	v_cmp_gt_f32_e32 vcc, 0, v3
	v_cndmask_b32_e64 v4, v3, -v3, vcc
	v_cmp_gt_f32_e32 vcc, 0, v2
	v_cndmask_b32_e64 v5, v2, -v2, vcc
	v_cmp_ngt_f32_e32 vcc, v5, v4
                                        ; implicit-def: $vgpr4_vgpr5
	s_and_saveexec_b64 s[10:11], vcc
	s_xor_b64 s[10:11], exec, s[10:11]
	s_cbranch_execz .LBB153_30
; %bb.29:
	v_div_scale_f32 v4, s[12:13], v3, v3, v2
	v_rcp_f32_e32 v5, v4
	v_div_scale_f32 v6, vcc, v2, v3, v2
	s_mov_b32 s7, -1.0
	v_fma_f32 v7, -v4, v5, 1.0
	v_fmac_f32_e32 v5, v7, v5
	v_mul_f32_e32 v7, v6, v5
	v_fma_f32 v8, -v4, v7, v6
	v_fmac_f32_e32 v7, v8, v5
	v_fma_f32 v4, -v4, v7, v6
	v_div_fmas_f32 v4, v4, v5, v7
	v_div_fixup_f32 v4, v4, v3, v2
	v_fmac_f32_e32 v3, v2, v4
	v_div_scale_f32 v2, s[12:13], v3, v3, 1.0
	v_rcp_f32_e32 v5, v2
	v_fma_f32 v6, -v2, v5, 1.0
	v_fmac_f32_e32 v5, v6, v5
	v_div_scale_f32 v6, vcc, 1.0, v3, 1.0
	v_mul_f32_e32 v7, v6, v5
	v_fma_f32 v8, -v2, v7, v6
	v_fmac_f32_e32 v7, v8, v5
	v_fma_f32 v2, -v2, v7, v6
	v_div_fmas_f32 v2, v2, v5, v7
	v_mul_f32_e32 v5, 0, v4
	v_div_fixup_f32 v2, v2, v3, 1.0
	v_pk_add_f32 v[4:5], v[4:5], s[6:7]
	v_pk_mul_f32 v[4:5], v[4:5], v[2:3] op_sel_hi:[1,0]
                                        ; implicit-def: $vgpr2_vgpr3
.LBB153_30:
	s_andn2_saveexec_b64 s[6:7], s[10:11]
	s_cbranch_execz .LBB153_32
; %bb.31:
	v_div_scale_f32 v4, s[10:11], v2, v2, v3
	v_rcp_f32_e32 v5, v4
	v_div_scale_f32 v6, vcc, v3, v2, v3
	v_fma_f32 v7, -v4, v5, 1.0
	v_fmac_f32_e32 v5, v7, v5
	v_mul_f32_e32 v7, v6, v5
	v_fma_f32 v8, -v4, v7, v6
	v_fmac_f32_e32 v7, v8, v5
	v_fma_f32 v4, -v4, v7, v6
	v_div_fmas_f32 v4, v4, v5, v7
	v_div_fixup_f32 v5, v4, v2, v3
	v_fmac_f32_e32 v2, v3, v5
	v_div_scale_f32 v3, s[10:11], v2, v2, 1.0
	v_rcp_f32_e32 v4, v3
	s_mov_b32 s10, 1.0
	s_mov_b32 s11, 0
	v_fma_f32 v6, -v3, v4, 1.0
	v_fmac_f32_e32 v4, v6, v4
	v_div_scale_f32 v6, vcc, 1.0, v2, 1.0
	v_mul_f32_e32 v7, v6, v4
	v_fma_f32 v8, -v3, v7, v6
	v_fmac_f32_e32 v7, v8, v4
	v_fma_f32 v3, -v3, v7, v6
	v_div_fmas_f32 v3, v3, v4, v7
	v_mul_f32_e32 v4, 0, v5
	v_pk_add_f32 v[6:7], v[4:5], s[10:11]
	v_pk_add_f32 v[4:5], v[4:5], s[10:11] neg_lo:[1,0] neg_hi:[1,0]
	v_div_fixup_f32 v2, v3, v2, 1.0
	v_mov_b32_e32 v7, v5
	v_pk_mul_f32 v[4:5], v[6:7], v[2:3] op_sel_hi:[1,0]
.LBB153_32:
	s_or_b64 exec, exec, s[6:7]
	s_mov_b64 s[6:7], 0
	ds_write_b64 v1, v[4:5]
.LBB153_33:
	s_and_b64 vcc, exec, s[6:7]
	s_cbranch_vccz .LBB153_35
; %bb.34:
	v_mov_b32_e32 v2, 1.0
	v_mov_b32_e32 v3, 0
	ds_write_b64 v1, v[2:3]
.LBB153_35:
	s_or_b64 exec, exec, s[26:27]
	s_load_dword s21, s[4:5], 0x50
	s_load_dwordx2 s[6:7], s[4:5], 0x58
	s_mul_i32 s26, s8, 20
	s_waitcnt lgkmcnt(0)
	s_ashr_i32 s45, s21, 31
	s_mul_i32 s5, s9, s7
	s_mul_hi_u32 s7, s9, s6
	s_mul_i32 s4, s9, s6
	s_add_i32 s5, s7, s5
	s_lshl_b64 s[16:17], s[4:5], 3
	s_add_u32 s4, s18, s16
	s_addc_u32 s5, s19, s17
	s_lshl_b64 s[24:25], s[24:25], 3
	s_add_u32 s6, s4, s24
	s_mul_i32 s4, s8, 0xffffffec
	s_addc_u32 s7, s5, s25
	s_add_i32 s42, s42, -1
	s_add_i32 s4, s4, s23
	s_cmp_ge_u32 s8, s42
	s_cselect_b32 s9, s4, 20
	s_mul_hi_i32 s5, s21, s26
	s_mul_i32 s4, s21, s26
	s_ashr_i32 s27, s26, 31
	s_lshl_b64 s[4:5], s[4:5], 3
	s_add_u32 s23, s6, s4
	s_addc_u32 s46, s7, s5
	s_cmp_gt_i32 s22, 0
	v_cmp_gt_i32_e32 vcc, s9, v0
	s_cselect_b64 s[4:5], -1, 0
	s_mov_b32 s6, 0
	s_and_b64 s[28:29], vcc, s[4:5]
	s_and_saveexec_b64 s[34:35], s[28:29]
	s_cbranch_execz .LBB153_48
; %bb.36:
	s_cmp_lt_i32 s22, 2
	s_mov_b64 s[4:5], -1
	s_cbranch_scc1 .LBB153_45
; %bb.37:
	v_mad_i64_i32 v[2:3], s[4:5], s21, v0, 0
	s_add_i32 s5, s33, -2
	v_lshlrev_b64 v[2:3], 3, v[2:3]
	s_lshr_b32 s47, s5, 1
	v_mov_b32_e32 v4, s46
	v_add_co_u32_e32 v1, vcc, s23, v2
	s_mov_b32 s40, 1
	s_add_i32 s47, s47, 1
	s_mov_b32 s43, 0
	v_addc_co_u32_e32 v2, vcc, v4, v3, vcc
	s_mov_b32 s36, s30
	s_mov_b32 s37, s30
	;; [unrolled: 1-line block ×5, first 2 shown]
	s_cmp_lt_u32 s5, 6
	s_mov_b32 s5, s40
	s_cbranch_scc1 .LBB153_41
; %bb.38:
	s_and_b32 s48, s47, -4
	s_mov_b32 s42, s43
.LBB153_39:                             ; =>This Inner Loop Header: Depth=1
	s_lshl_b64 s[4:5], s[42:43], 3
	s_mov_b32 s41, s43
	s_add_i32 s6, s40, 2
	s_add_i32 s8, s42, 2
	s_mov_b32 s9, s43
	s_mov_b32 s7, s43
	s_add_i32 s10, s40, 4
	s_add_i32 s12, s42, 4
	s_mov_b32 s13, s43
	;; [unrolled: 4-line block ×3, first 2 shown]
	s_mov_b32 s15, s43
	v_mov_b32_e32 v3, s5
	v_add_co_u32_e32 v4, vcc, s4, v1
	s_lshl_b64 s[52:53], s[40:41], 3
	s_lshl_b64 s[8:9], s[8:9], 3
	;; [unrolled: 1-line block ×7, first 2 shown]
	v_addc_co_u32_e32 v5, vcc, v2, v3, vcc
	v_mov_b32_e32 v3, s53
	v_mov_b32_e32 v7, s9
	v_add_co_u32_e32 v6, vcc, s8, v1
	v_mov_b32_e32 v9, s7
	v_add_co_u32_e64 v8, s[4:5], s6, v1
	v_mov_b32_e32 v11, s13
	v_add_co_u32_e64 v10, s[6:7], s12, v1
	;; [unrolled: 2-line block ×5, first 2 shown]
	v_add_co_u32_e64 v18, s[14:15], s52, v1
	v_addc_co_u32_e64 v19, s[14:15], v2, v3, s[14:15]
	v_addc_co_u32_e32 v7, vcc, v2, v7, vcc
	v_addc_co_u32_e64 v9, vcc, v2, v9, s[4:5]
	v_addc_co_u32_e64 v11, vcc, v2, v11, s[6:7]
	;; [unrolled: 1-line block ×5, first 2 shown]
	global_load_dwordx2 v[20:21], v[4:5], off
	global_load_dwordx2 v[22:23], v[18:19], off
	;; [unrolled: 1-line block ×8, first 2 shown]
	s_mul_i32 s4, s40, 20
	s_mul_i32 s5, s42, 20
	s_add_i32 s42, s42, 8
	s_add_i32 s48, s48, -4
	v_add_lshl_u32 v3, s5, v0, 3
	v_add_lshl_u32 v36, s4, v0, 3
	s_add_i32 s6, s4, 40
	s_add_i32 s7, s5, 40
	;; [unrolled: 1-line block ×4, first 2 shown]
	s_addk_i32 s4, 0x78
	s_addk_i32 s5, 0x78
	s_add_i32 s40, s40, 8
	s_cmp_lg_u32 s48, 0
	v_add_lshl_u32 v37, s7, v0, 3
	v_add_lshl_u32 v38, s6, v0, 3
	;; [unrolled: 1-line block ×6, first 2 shown]
	s_waitcnt vmcnt(7)
	v_mov_b32_e32 v4, v20
	s_waitcnt vmcnt(6)
	v_mov_b32_e32 v5, v22
	v_mov_b32_e32 v22, v21
	s_waitcnt vmcnt(4)
	v_mov_b32_e32 v7, v26
	;; [unrolled: 3-line block ×4, first 2 shown]
	v_mov_b32_e32 v34, v33
	v_pk_mul_f32 v[12:13], s[38:39], v[22:23]
	v_pk_mul_f32 v[14:15], s[36:37], v[22:23]
	v_mov_b32_e32 v6, v24
	v_mov_b32_e32 v8, v28
	;; [unrolled: 1-line block ×3, first 2 shown]
	v_pk_mul_f32 v[16:17], s[38:39], v[26:27]
	v_pk_mul_f32 v[18:19], s[36:37], v[26:27]
	;; [unrolled: 1-line block ×6, first 2 shown]
	v_pk_fma_f32 v[12:13], s[36:37], v[4:5], v[12:13] neg_lo:[0,0,1] neg_hi:[0,0,1]
	v_pk_fma_f32 v[4:5], s[38:39], v[4:5], v[14:15]
	v_pk_fma_f32 v[14:15], s[36:37], v[6:7], v[16:17] neg_lo:[0,0,1] neg_hi:[0,0,1]
	v_pk_fma_f32 v[6:7], s[38:39], v[6:7], v[18:19]
	;; [unrolled: 2-line block ×4, first 2 shown]
	v_mov_b32_e32 v20, v12
	v_mov_b32_e32 v21, v4
	;; [unrolled: 1-line block ×12, first 2 shown]
	ds_write_b64 v3, v[20:21] offset:3200
	ds_write_b64 v36, v[4:5] offset:3200
	;; [unrolled: 1-line block ×8, first 2 shown]
	s_cbranch_scc1 .LBB153_39
; %bb.40:
	s_mov_b32 s43, s40
	s_mov_b64 s[4:5], s[42:43]
.LBB153_41:
	s_and_b32 s6, s47, 3
	s_cmp_eq_u32 s6, 0
	s_mov_b32 s7, 0
	s_cbranch_scc1 .LBB153_44
; %bb.42:
	s_sub_i32 s6, 0, s6
	v_mov_b32_e32 v3, s6
.LBB153_43:                             ; =>This Inner Loop Header: Depth=1
	s_mov_b32 s6, s4
	s_lshl_b64 s[8:9], s[6:7], 3
	s_mov_b32 s6, s5
	v_mov_b32_e32 v5, s9
	v_add_co_u32_e32 v4, vcc, s8, v1
	s_lshl_b64 s[10:11], s[6:7], 3
	v_addc_co_u32_e32 v5, vcc, v2, v5, vcc
	v_mov_b32_e32 v7, s11
	v_add_co_u32_e32 v6, vcc, s10, v1
	v_addc_co_u32_e32 v7, vcc, v2, v7, vcc
	global_load_dwordx2 v[8:9], v[4:5], off
	global_load_dwordx2 v[10:11], v[6:7], off
	s_mul_i32 s8, s4, 20
	v_add_co_u32_e32 v3, vcc, 1, v3
	s_mul_i32 s6, s5, 20
	s_add_i32 s4, s4, 2
	v_add_lshl_u32 v12, s8, v0, 3
	s_add_i32 s5, s5, 2
	s_andn2_b64 vcc, exec, vcc
	v_add_lshl_u32 v13, s6, v0, 3
	s_waitcnt vmcnt(1)
	v_mov_b32_e32 v4, v8
	s_waitcnt vmcnt(0)
	v_mov_b32_e32 v5, v10
	v_mov_b32_e32 v10, v9
	v_pk_mul_f32 v[6:7], s[38:39], v[10:11]
	v_pk_mul_f32 v[8:9], s[36:37], v[10:11]
	v_pk_fma_f32 v[6:7], s[36:37], v[4:5], v[6:7] neg_lo:[0,0,1] neg_hi:[0,0,1]
	v_pk_fma_f32 v[4:5], s[38:39], v[4:5], v[8:9]
	v_mov_b32_e32 v8, v6
	v_mov_b32_e32 v9, v4
	;; [unrolled: 1-line block ×3, first 2 shown]
	ds_write_b64 v12, v[8:9] offset:3200
	ds_write_b64 v13, v[4:5] offset:3200
	s_cbranch_vccnz .LBB153_43
.LBB153_44:
	s_and_b32 s6, s33, 30
	s_cmp_lg_u32 s33, s6
	s_cselect_b64 s[4:5], -1, 0
.LBB153_45:
	s_and_b64 vcc, exec, s[4:5]
	s_cbranch_vccz .LBB153_48
; %bb.46:
	s_mul_i32 s5, s6, 0xa0
	s_sub_i32 s4, s33, s6
	v_lshl_add_u32 v1, v0, 3, s5
	s_lshl_b64 s[8:9], s[26:27], 3
	s_lshl_b32 s5, s6, 3
	s_add_u32 s5, s18, s5
	s_addc_u32 s6, s19, 0
	s_add_u32 s5, s5, s24
	s_addc_u32 s7, s6, s25
	v_lshlrev_b32_e32 v2, 3, v0
	s_add_u32 s6, s5, s16
	v_mov_b32_e32 v3, s9
	v_add_co_u32_e32 v4, vcc, s8, v2
	s_addc_u32 s7, s7, s17
	v_addc_co_u32_e32 v5, vcc, 0, v3, vcc
	v_pk_mov_b32 v[2:3], s[6:7], s[6:7] op_sel:[0,1]
	v_mad_u64_u32 v[2:3], s[6:7], v4, s21, v[2:3]
	v_mul_lo_u32 v4, v4, s45
	v_mul_lo_u32 v5, v5, s21
	v_add3_u32 v3, v5, v3, v4
	v_add_co_u32_e32 v2, vcc, 4, v2
	v_add_u32_e32 v1, 0xc80, v1
	v_addc_co_u32_e32 v3, vcc, 0, v3, vcc
.LBB153_47:                             ; =>This Inner Loop Header: Depth=1
	global_load_dwordx2 v[4:5], v[2:3], off offset:-4
	s_add_i32 s4, s4, -1
	v_add_co_u32_e32 v2, vcc, 8, v2
	v_addc_co_u32_e32 v3, vcc, 0, v3, vcc
	s_cmp_lg_u32 s4, 0
	s_waitcnt vmcnt(0)
	v_mul_f32_e32 v6, s31, v5
	v_mul_f32_e32 v7, s30, v5
	v_fma_f32 v6, s30, v4, -v6
	v_fmac_f32_e32 v7, s31, v4
	ds_write_b64 v1, v[6:7]
	v_add_u32_e32 v1, 0xa0, v1
	s_cbranch_scc1 .LBB153_47
.LBB153_48:
	s_or_b64 exec, exec, s[34:35]
	s_cmpk_eq_i32 s20, 0x6f
	s_mov_b64 s[4:5], -1
	s_waitcnt lgkmcnt(0)
	; wave barrier
	s_waitcnt lgkmcnt(0)
	s_cbranch_scc1 .LBB153_77
; %bb.49:
	v_mov_b32_e32 v1, 0xc80
	s_mov_b32 s5, 0
	v_lshl_add_u32 v1, v0, 3, v1
	v_mov_b32_e32 v10, 0
	s_mov_b32 s4, s5
	s_mov_b32 s14, s5
	s_branch .LBB153_51
.LBB153_50:                             ;   in Loop: Header=BB153_51 Depth=1
	s_cmp_ge_i32 s14, s33
	s_cselect_b64 s[6:7], -1, 0
	s_add_i32 s4, s4, 1
	s_cmp_eq_u32 s4, 3
	s_cselect_b64 s[8:9], -1, 0
	s_or_b64 s[6:7], s[6:7], s[8:9]
	s_andn2_b64 vcc, exec, s[6:7]
	s_cbranch_vccz .LBB153_76
.LBB153_51:                             ; =>This Loop Header: Depth=1
                                        ;     Child Loop BB153_54 Depth 2
                                        ;       Child Loop BB153_55 Depth 3
                                        ;       Child Loop BB153_59 Depth 3
                                        ;         Child Loop BB153_61 Depth 4
                                        ;         Child Loop BB153_67 Depth 4
                                        ;       Child Loop BB153_70 Depth 3
                                        ;         Child Loop BB153_72 Depth 4
	s_lshl_b64 s[6:7], s[4:5], 2
	s_getpc_b64 s[8:9]
	s_add_u32 s8, s8, __const._ZL38rocblas_trsm_small_left_device_sharedBILi20ELi20ELb0E19rocblas_complex_numIfES1_PKS1_PS1_Ev13rocblas_fill_18rocblas_operation_17rocblas_diagonal_iiT3_T4_lilT5_lili.step_sizes@rel32@lo+4
	s_addc_u32 s9, s9, __const._ZL38rocblas_trsm_small_left_device_sharedBILi20ELi20ELb0E19rocblas_complex_numIfES1_PKS1_PS1_Ev13rocblas_fill_18rocblas_operation_17rocblas_diagonal_iiT3_T4_lilT5_lili.step_sizes@rel32@hi+12
	s_add_u32 s6, s6, s8
	s_addc_u32 s7, s7, s9
	s_load_dword s15, s[6:7], 0x0
	s_waitcnt lgkmcnt(0)
	s_add_i32 s20, s15, -1
	s_add_i32 s6, s20, s14
	s_cmp_ge_i32 s6, s33
	s_cbranch_scc1 .LBB153_50
; %bb.52:                               ;   in Loop: Header=BB153_51 Depth=1
	s_max_i32 s30, s15, 1
	s_cmp_lg_u32 s4, 2
	s_cselect_b64 s[6:7], -1, 0
	s_and_b32 s31, s30, 0x7ffffffe
	s_cmp_lg_u32 s30, s31
	s_mul_i32 s10, s14, 0xa0
	s_cselect_b64 s[8:9], -1, 0
	v_add_u32_e32 v11, s10, v1
	s_mul_i32 s34, s15, 0xa0
	s_mul_i32 s35, s14, 0xa8
	;; [unrolled: 1-line block ×3, first 2 shown]
	s_branch .LBB153_54
.LBB153_53:                             ;   in Loop: Header=BB153_54 Depth=2
	s_add_i32 s14, s14, s15
	s_add_i32 s10, s20, s14
	s_add_i32 s35, s35, s36
	s_cmp_ge_i32 s10, s33
	v_add_u32_e32 v11, s34, v11
	s_cbranch_scc1 .LBB153_50
.LBB153_54:                             ;   Parent Loop BB153_51 Depth=1
                                        ; =>  This Loop Header: Depth=2
                                        ;       Child Loop BB153_55 Depth 3
                                        ;       Child Loop BB153_59 Depth 3
                                        ;         Child Loop BB153_61 Depth 4
                                        ;         Child Loop BB153_67 Depth 4
                                        ;       Child Loop BB153_70 Depth 3
                                        ;         Child Loop BB153_72 Depth 4
	v_mov_b32_e32 v2, 0
	v_mov_b32_e32 v3, v11
	s_mov_b32 s10, s30
.LBB153_55:                             ;   Parent Loop BB153_51 Depth=1
                                        ;     Parent Loop BB153_54 Depth=2
                                        ; =>    This Inner Loop Header: Depth=3
	ds_read_b64 v[4:5], v3
	s_add_i32 s10, s10, -1
	v_add_u32_e32 v3, 0xa0, v3
	s_cmp_eq_u32 s10, 0
	s_waitcnt lgkmcnt(0)
	buffer_store_dword v5, v2, s[0:3], 0 offen offset:4
	buffer_store_dword v4, v2, s[0:3], 0 offen
	v_add_u32_e32 v2, 8, v2
	s_cbranch_scc0 .LBB153_55
; %bb.56:                               ;   in Loop: Header=BB153_54 Depth=2
	s_cmp_lt_i32 s14, 1
	s_cbranch_scc1 .LBB153_68
; %bb.57:                               ;   in Loop: Header=BB153_54 Depth=2
	s_mov_b32 s37, s14
	s_mov_b32 s38, 0
	;; [unrolled: 1-line block ×3, first 2 shown]
	s_branch .LBB153_59
.LBB153_58:                             ;   in Loop: Header=BB153_59 Depth=3
	s_add_i32 s39, s39, 1
	s_add_i32 s38, s38, 8
	s_cmp_ge_i32 s39, s14
	s_cbranch_scc1 .LBB153_68
.LBB153_59:                             ;   Parent Loop BB153_51 Depth=1
                                        ;     Parent Loop BB153_54 Depth=2
                                        ; =>    This Loop Header: Depth=3
                                        ;         Child Loop BB153_61 Depth 4
                                        ;         Child Loop BB153_67 Depth 4
	s_mul_i32 s10, s39, 20
	s_waitcnt lgkmcnt(0)
	v_add_lshl_u32 v2, s10, v0, 3
	ds_read_b64 v[2:3], v2 offset:3200
	s_and_b64 vcc, exec, s[6:7]
	s_cbranch_vccz .LBB153_63
; %bb.60:                               ;   in Loop: Header=BB153_59 Depth=3
	s_mov_b32 s10, s39
	s_waitcnt lgkmcnt(0)
	v_mov_b32_e32 v6, v2
	v_mov_b32_e32 v7, v2
	;; [unrolled: 1-line block ×6, first 2 shown]
	s_mov_b32 s11, 1
	s_mov_b32 s12, 0
	;; [unrolled: 1-line block ×3, first 2 shown]
.LBB153_61:                             ;   Parent Loop BB153_51 Depth=1
                                        ;     Parent Loop BB153_54 Depth=2
                                        ;       Parent Loop BB153_59 Depth=3
                                        ; =>      This Inner Loop Header: Depth=4
	buffer_load_dword v12, v5, s[0:3], 0 offen
	buffer_load_dword v14, v5, s[0:3], 0 offen offset:4
	buffer_load_dword v13, v5, s[0:3], 0 offen offset:8
	;; [unrolled: 1-line block ×3, first 2 shown]
	s_add_i32 s40, s11, s37
	s_add_i32 s41, s12, s14
	s_mul_i32 s41, s41, 20
	s_mul_i32 s40, s40, 20
	s_add_i32 s40, s40, s10
	s_add_i32 s41, s41, s39
	s_lshl_b32 s41, s41, 3
	s_lshl_b32 s40, s40, 3
	v_mov_b32_e32 v16, s41
	v_mov_b32_e32 v18, s40
	ds_read_b64 v[16:17], v16
	ds_read_b64 v[18:19], v18
	s_add_i32 s12, s12, 2
	s_add_i32 s11, s11, 2
	s_add_i32 s13, s13, -2
	s_waitcnt lgkmcnt(1)
	v_mov_b32_e32 v20, v16
	s_waitcnt lgkmcnt(0)
	v_mov_b32_e32 v21, v18
	v_mov_b32_e32 v18, v17
	v_pk_mul_f32 v[16:17], v[18:19], v[8:9]
	v_pk_mul_f32 v[18:19], v[18:19], v[6:7]
	v_pk_fma_f32 v[16:17], v[20:21], v[6:7], v[16:17] neg_lo:[0,0,1] neg_hi:[0,0,1]
	v_pk_fma_f32 v[18:19], v[20:21], v[8:9], v[18:19]
	s_cmp_lg_u32 s13, 0
	s_waitcnt vmcnt(1)
	v_pk_add_f32 v[12:13], v[12:13], v[16:17] neg_lo:[0,1] neg_hi:[0,1]
	s_waitcnt vmcnt(0)
	v_pk_add_f32 v[14:15], v[14:15], v[18:19] neg_lo:[0,1] neg_hi:[0,1]
	buffer_store_dword v12, v5, s[0:3], 0 offen
	buffer_store_dword v14, v5, s[0:3], 0 offen offset:4
	buffer_store_dword v13, v5, s[0:3], 0 offen offset:8
	;; [unrolled: 1-line block ×3, first 2 shown]
	v_add_u32_e32 v5, 16, v5
	s_cbranch_scc1 .LBB153_61
; %bb.62:                               ;   in Loop: Header=BB153_59 Depth=3
	s_mov_b64 s[10:11], s[8:9]
	s_mov_b32 s12, s31
	s_branch .LBB153_65
.LBB153_63:                             ;   in Loop: Header=BB153_59 Depth=3
	s_mov_b64 s[10:11], 0
                                        ; implicit-def: $vgpr4_vgpr5
	s_mov_b32 s12, s31
	s_cbranch_execz .LBB153_65
; %bb.64:                               ;   in Loop: Header=BB153_59 Depth=3
	s_waitcnt lgkmcnt(0)
	v_mov_b32_e32 v4, v3
	s_mov_b64 s[10:11], -1
	s_mov_b32 s12, 0
.LBB153_65:                             ;   in Loop: Header=BB153_59 Depth=3
	s_andn2_b64 vcc, exec, s[10:11]
	s_cbranch_vccnz .LBB153_58
; %bb.66:                               ;   in Loop: Header=BB153_59 Depth=3
	s_add_i32 s11, s14, s12
	s_sub_i32 s10, s30, s12
	s_mulk_i32 s11, 0xa0
	s_lshl_b32 s12, s12, 3
	s_waitcnt lgkmcnt(0)
	v_mov_b32_e32 v5, v3
	v_mov_b32_e32 v3, v2
	s_add_i32 s11, s38, s11
	v_add_u32_e32 v6, s12, v10
.LBB153_67:                             ;   Parent Loop BB153_51 Depth=1
                                        ;     Parent Loop BB153_54 Depth=2
                                        ;       Parent Loop BB153_59 Depth=3
                                        ; =>      This Inner Loop Header: Depth=4
	buffer_load_dword v8, v6, s[0:3], 0 offen
	buffer_load_dword v9, v6, s[0:3], 0 offen offset:4
	v_mov_b32_e32 v7, s11
	ds_read_b64 v[12:13], v7
	s_add_i32 s10, s10, -1
	s_addk_i32 s11, 0xa0
	s_cmp_eq_u32 s10, 0
	s_waitcnt lgkmcnt(0)
	v_pk_mul_f32 v[14:15], v[12:13], v[4:5]
	v_pk_fma_f32 v[16:17], v[12:13], v[2:3], v[14:15] op_sel:[0,0,1] op_sel_hi:[1,1,0] neg_lo:[0,0,1] neg_hi:[0,0,1]
	v_pk_fma_f32 v[12:13], v[12:13], v[2:3], v[14:15] op_sel:[0,0,1] op_sel_hi:[1,1,0]
	v_mov_b32_e32 v17, v13
	s_waitcnt vmcnt(0)
	v_pk_add_f32 v[8:9], v[8:9], v[16:17] neg_lo:[0,1] neg_hi:[0,1]
	buffer_store_dword v8, v6, s[0:3], 0 offen
	buffer_store_dword v9, v6, s[0:3], 0 offen offset:4
	v_add_u32_e32 v6, 8, v6
	s_cbranch_scc0 .LBB153_67
	s_branch .LBB153_58
.LBB153_68:                             ;   in Loop: Header=BB153_54 Depth=2
	s_mul_i32 s12, s14, 20
	s_mov_b32 s13, 0
	s_mov_b32 s37, s35
	s_branch .LBB153_70
.LBB153_69:                             ;   in Loop: Header=BB153_70 Depth=3
	s_mul_i32 s10, s39, 0xa8
	v_mov_b32_e32 v4, s10
	ds_read_b64 v[4:5], v4
	s_lshl_b32 s10, s13, 3
	s_add_i32 s13, s13, 1
	s_addk_i32 s37, 0xa0
	v_add_u32_e32 v8, s10, v10
	s_waitcnt vmcnt(0) lgkmcnt(0)
	v_mul_f32_e32 v6, v5, v3
	v_mul_f32_e32 v7, v4, v3
	v_fma_f32 v6, v4, v2, -v6
	v_fmac_f32_e32 v7, v5, v2
	v_add_lshl_u32 v2, s38, v0, 3
	s_cmp_eq_u32 s13, s30
	buffer_store_dword v6, v8, s[0:3], 0 offen
	buffer_store_dword v7, v8, s[0:3], 0 offen offset:4
	ds_write_b64 v2, v[6:7] offset:3200
	s_cbranch_scc1 .LBB153_53
.LBB153_70:                             ;   Parent Loop BB153_51 Depth=1
                                        ;     Parent Loop BB153_54 Depth=2
                                        ; =>    This Loop Header: Depth=3
                                        ;         Child Loop BB153_72 Depth 4
	s_cmp_lg_u32 s13, 0
	s_cbranch_scc0 .LBB153_74
; %bb.71:                               ;   in Loop: Header=BB153_70 Depth=3
	s_lshl_b32 s10, s13, 3
	v_add_u32_e32 v4, s10, v10
	s_waitcnt lgkmcnt(0)
	buffer_load_dword v2, v4, s[0:3], 0 offen
	buffer_load_dword v3, v4, s[0:3], 0 offen offset:4
	v_mov_b32_e32 v5, 0
	s_mov_b32 s10, 0
	s_mov_b32 s11, s37
.LBB153_72:                             ;   Parent Loop BB153_51 Depth=1
                                        ;     Parent Loop BB153_54 Depth=2
                                        ;       Parent Loop BB153_70 Depth=3
                                        ; =>      This Inner Loop Header: Depth=4
	buffer_load_dword v7, v5, s[0:3], 0 offen offset:4
	buffer_load_dword v6, v5, s[0:3], 0 offen
	v_mov_b32_e32 v8, s11
	ds_read_b64 v[8:9], v8
	s_add_i32 s10, s10, 1
	s_add_i32 s11, s11, 8
	v_add_u32_e32 v5, 8, v5
	s_cmp_ge_u32 s10, s13
	s_waitcnt vmcnt(1)
	v_mov_b32_e32 v12, v7
	s_waitcnt lgkmcnt(0)
	v_pk_mul_f32 v[12:13], v[8:9], v[12:13] op_sel_hi:[1,0]
	s_waitcnt vmcnt(0)
	v_pk_fma_f32 v[14:15], v[8:9], v[6:7], v[12:13] op_sel:[0,0,1] op_sel_hi:[1,1,0] neg_lo:[0,0,1] neg_hi:[0,0,1]
	v_pk_fma_f32 v[6:7], v[8:9], v[6:7], v[12:13] op_sel:[0,0,1] op_sel_hi:[1,0,0]
	v_mov_b32_e32 v15, v7
	v_pk_add_f32 v[2:3], v[2:3], v[14:15] neg_lo:[0,1] neg_hi:[0,1]
	buffer_store_dword v2, v4, s[0:3], 0 offen
	buffer_store_dword v3, v4, s[0:3], 0 offen offset:4
	s_cbranch_scc0 .LBB153_72
; %bb.73:                               ;   in Loop: Header=BB153_70 Depth=3
	s_add_i32 s39, s13, s14
	s_mul_i32 s38, s39, 20
	s_branch .LBB153_69
.LBB153_74:                             ;   in Loop: Header=BB153_70 Depth=3
                                        ; implicit-def: $vgpr2
                                        ; implicit-def: $sgpr39
                                        ; implicit-def: $sgpr38
	s_cbranch_execz .LBB153_69
; %bb.75:                               ;   in Loop: Header=BB153_70 Depth=3
	s_waitcnt lgkmcnt(0)
	buffer_load_dword v2, off, s[0:3], 0
	buffer_load_dword v3, off, s[0:3], 0 offset:4
	s_mov_b32 s38, s12
	s_mov_b32 s39, s14
	s_branch .LBB153_69
.LBB153_76:
	s_mov_b64 s[4:5], 0
.LBB153_77:
	s_and_b64 vcc, exec, s[4:5]
	s_cbranch_vccz .LBB153_104
; %bb.78:
	v_mov_b32_e32 v1, 0xc80
	s_mul_i32 s14, s33, 0xa0
	s_mov_b32 s5, 0
	v_lshl_add_u32 v1, v0, 3, v1
	s_addk_i32 s14, 0xff60
	v_mov_b32_e32 v10, 0
	s_mov_b32 s4, s5
	s_mov_b32 s15, s44
	s_branch .LBB153_80
.LBB153_79:                             ;   in Loop: Header=BB153_80 Depth=1
	s_cmp_lt_i32 s15, 0
	s_cselect_b64 s[6:7], -1, 0
	s_add_i32 s4, s4, 1
	s_cmp_eq_u32 s4, 3
	s_cselect_b64 s[8:9], -1, 0
	s_or_b64 s[6:7], s[6:7], s[8:9]
	s_and_b64 vcc, exec, s[6:7]
	s_cbranch_vccnz .LBB153_104
.LBB153_80:                             ; =>This Loop Header: Depth=1
                                        ;     Child Loop BB153_83 Depth 2
                                        ;       Child Loop BB153_84 Depth 3
                                        ;       Child Loop BB153_95 Depth 3
                                        ;         Child Loop BB153_97 Depth 4
                                        ;         Child Loop BB153_103 Depth 4
                                        ;       Child Loop BB153_88 Depth 3
                                        ;         Child Loop BB153_90 Depth 4
	s_lshl_b64 s[6:7], s[4:5], 2
	s_getpc_b64 s[8:9]
	s_add_u32 s8, s8, __const._ZL38rocblas_trsm_small_left_device_sharedBILi20ELi20ELb0E19rocblas_complex_numIfES1_PKS1_PS1_Ev13rocblas_fill_18rocblas_operation_17rocblas_diagonal_iiT3_T4_lilT5_lili.step_sizes@rel32@lo+4
	s_addc_u32 s9, s9, __const._ZL38rocblas_trsm_small_left_device_sharedBILi20ELi20ELb0E19rocblas_complex_numIfES1_PKS1_PS1_Ev13rocblas_fill_18rocblas_operation_17rocblas_diagonal_iiT3_T4_lilT5_lili.step_sizes@rel32@hi+12
	s_add_u32 s6, s6, s8
	s_addc_u32 s7, s7, s9
	s_load_dword s20, s[6:7], 0x0
	s_waitcnt lgkmcnt(0)
	s_add_i32 s30, s20, -1
	s_cmp_lt_i32 s15, s30
	s_cbranch_scc1 .LBB153_79
; %bb.81:                               ;   in Loop: Header=BB153_80 Depth=1
	s_max_i32 s31, s20, 1
	s_cmp_lg_u32 s4, 2
	s_cselect_b64 s[6:7], -1, 0
	s_and_b32 s34, s31, 0x7ffffffe
	s_cmp_lg_u32 s31, s34
	s_mul_i32 s10, s15, 0xa0
	s_cselect_b64 s[8:9], -1, 0
	v_add_u32_e32 v11, s10, v1
	s_lshl_b32 s10, s15, 3
	s_add_i32 s36, s14, s10
	s_lshl_b32 s10, s20, 3
	s_mul_i32 s35, s20, 0xffffff60
	s_sub_i32 s37, 0, s10
	s_mul_i32 s38, s15, 0xa8
	s_mul_i32 s39, s20, 0xffffff58
	s_branch .LBB153_83
.LBB153_82:                             ;   in Loop: Header=BB153_83 Depth=2
	s_sub_i32 s15, s15, s20
	s_add_i32 s36, s36, s37
	s_add_i32 s38, s38, s39
	s_cmp_lt_i32 s15, s30
	v_add_u32_e32 v11, s35, v11
	s_cbranch_scc1 .LBB153_79
.LBB153_83:                             ;   Parent Loop BB153_80 Depth=1
                                        ; =>  This Loop Header: Depth=2
                                        ;       Child Loop BB153_84 Depth 3
                                        ;       Child Loop BB153_95 Depth 3
                                        ;         Child Loop BB153_97 Depth 4
                                        ;         Child Loop BB153_103 Depth 4
                                        ;       Child Loop BB153_88 Depth 3
                                        ;         Child Loop BB153_90 Depth 4
	v_mov_b32_e32 v2, 0
	v_mov_b32_e32 v3, v11
	s_mov_b32 s10, s31
.LBB153_84:                             ;   Parent Loop BB153_80 Depth=1
                                        ;     Parent Loop BB153_83 Depth=2
                                        ; =>    This Inner Loop Header: Depth=3
	ds_read_b64 v[4:5], v3
	s_add_i32 s10, s10, -1
	v_add_u32_e32 v3, 0xffffff60, v3
	s_cmp_eq_u32 s10, 0
	s_waitcnt lgkmcnt(0)
	buffer_store_dword v5, v2, s[0:3], 0 offen offset:4
	buffer_store_dword v4, v2, s[0:3], 0 offen
	v_add_u32_e32 v2, 8, v2
	s_cbranch_scc0 .LBB153_84
; %bb.85:                               ;   in Loop: Header=BB153_83 Depth=2
	s_cmp_le_i32 s44, s15
	s_mov_b32 s40, s36
	s_mov_b32 s41, s44
	s_cbranch_scc0 .LBB153_95
.LBB153_86:                             ;   in Loop: Header=BB153_83 Depth=2
	s_mov_b32 s12, 0
	s_mov_b32 s13, s38
	s_branch .LBB153_88
.LBB153_87:                             ;   in Loop: Header=BB153_88 Depth=3
	s_mul_i32 s10, s40, 0xa8
	v_mov_b32_e32 v4, s10
	ds_read_b64 v[4:5], v4
	s_mul_i32 s10, s40, 20
	s_lshl_b32 s11, s12, 3
	s_add_i32 s12, s12, 1
	s_add_i32 s13, s13, -8
	s_waitcnt vmcnt(0) lgkmcnt(0)
	v_mul_f32_e32 v6, v5, v3
	v_mul_f32_e32 v7, v4, v3
	v_add_u32_e32 v8, s11, v10
	v_fma_f32 v6, v4, v2, -v6
	v_fmac_f32_e32 v7, v5, v2
	v_add_lshl_u32 v2, s10, v0, 3
	s_cmp_eq_u32 s12, s31
	buffer_store_dword v6, v8, s[0:3], 0 offen
	buffer_store_dword v7, v8, s[0:3], 0 offen offset:4
	ds_write_b64 v2, v[6:7] offset:3200
	s_cbranch_scc1 .LBB153_82
.LBB153_88:                             ;   Parent Loop BB153_80 Depth=1
                                        ;     Parent Loop BB153_83 Depth=2
                                        ; =>    This Loop Header: Depth=3
                                        ;         Child Loop BB153_90 Depth 4
	s_cmp_lg_u32 s12, 0
	s_cbranch_scc0 .LBB153_92
; %bb.89:                               ;   in Loop: Header=BB153_88 Depth=3
	s_lshl_b32 s10, s12, 3
	v_add_u32_e32 v4, s10, v10
	s_waitcnt lgkmcnt(0)
	buffer_load_dword v2, v4, s[0:3], 0 offen
	buffer_load_dword v3, v4, s[0:3], 0 offen offset:4
	v_mov_b32_e32 v5, 0
	s_mov_b32 s10, 0
	s_mov_b32 s11, s13
.LBB153_90:                             ;   Parent Loop BB153_80 Depth=1
                                        ;     Parent Loop BB153_83 Depth=2
                                        ;       Parent Loop BB153_88 Depth=3
                                        ; =>      This Inner Loop Header: Depth=4
	buffer_load_dword v7, v5, s[0:3], 0 offen offset:4
	buffer_load_dword v6, v5, s[0:3], 0 offen
	v_mov_b32_e32 v8, s11
	ds_read_b64 v[8:9], v8
	s_add_i32 s10, s10, 1
	s_addk_i32 s11, 0xff60
	v_add_u32_e32 v5, 8, v5
	s_cmp_ge_u32 s10, s12
	s_waitcnt vmcnt(1)
	v_mov_b32_e32 v12, v7
	s_waitcnt lgkmcnt(0)
	v_pk_mul_f32 v[12:13], v[8:9], v[12:13] op_sel_hi:[1,0]
	s_waitcnt vmcnt(0)
	v_pk_fma_f32 v[14:15], v[8:9], v[6:7], v[12:13] op_sel:[0,0,1] op_sel_hi:[1,1,0] neg_lo:[0,0,1] neg_hi:[0,0,1]
	v_pk_fma_f32 v[6:7], v[8:9], v[6:7], v[12:13] op_sel:[0,0,1] op_sel_hi:[1,0,0]
	v_mov_b32_e32 v15, v7
	v_pk_add_f32 v[2:3], v[2:3], v[14:15] neg_lo:[0,1] neg_hi:[0,1]
	buffer_store_dword v2, v4, s[0:3], 0 offen
	buffer_store_dword v3, v4, s[0:3], 0 offen offset:4
	s_cbranch_scc0 .LBB153_90
; %bb.91:                               ;   in Loop: Header=BB153_88 Depth=3
	s_sub_i32 s40, s15, s12
	s_branch .LBB153_87
.LBB153_92:                             ;   in Loop: Header=BB153_88 Depth=3
                                        ; implicit-def: $vgpr2
                                        ; implicit-def: $sgpr40
	s_cbranch_execz .LBB153_87
; %bb.93:                               ;   in Loop: Header=BB153_88 Depth=3
	s_waitcnt lgkmcnt(0)
	buffer_load_dword v2, off, s[0:3], 0
	buffer_load_dword v3, off, s[0:3], 0 offset:4
	s_mov_b32 s40, s15
	s_branch .LBB153_87
.LBB153_94:                             ;   in Loop: Header=BB153_95 Depth=3
	s_add_i32 s41, s41, -1
	s_addk_i32 s40, 0xff60
	s_cmp_le_i32 s41, s15
	s_cbranch_scc1 .LBB153_86
.LBB153_95:                             ;   Parent Loop BB153_80 Depth=1
                                        ;     Parent Loop BB153_83 Depth=2
                                        ; =>    This Loop Header: Depth=3
                                        ;         Child Loop BB153_97 Depth 4
                                        ;         Child Loop BB153_103 Depth 4
	s_mul_i32 s10, s41, 20
	s_waitcnt lgkmcnt(0)
	v_add_lshl_u32 v2, s10, v0, 3
	ds_read_b64 v[2:3], v2 offset:3200
	s_and_b64 vcc, exec, s[6:7]
	s_cbranch_vccz .LBB153_99
; %bb.96:                               ;   in Loop: Header=BB153_95 Depth=3
	s_add_i32 s10, s10, s15
	s_mov_b32 s11, s10
	s_waitcnt lgkmcnt(0)
	v_mov_b32_e32 v6, v2
	v_mov_b32_e32 v7, v2
	;; [unrolled: 1-line block ×6, first 2 shown]
	s_mov_b32 s12, 1
	s_mov_b32 s13, 0
	;; [unrolled: 1-line block ×3, first 2 shown]
.LBB153_97:                             ;   Parent Loop BB153_80 Depth=1
                                        ;     Parent Loop BB153_83 Depth=2
                                        ;       Parent Loop BB153_95 Depth=3
                                        ; =>      This Inner Loop Header: Depth=4
	buffer_load_dword v12, v5, s[0:3], 0 offen
	buffer_load_dword v14, v5, s[0:3], 0 offen offset:4
	buffer_load_dword v13, v5, s[0:3], 0 offen offset:8
	;; [unrolled: 1-line block ×3, first 2 shown]
	s_sub_i32 s43, s11, s12
	s_sub_i32 s47, s10, s13
	s_lshl_b32 s47, s47, 3
	s_lshl_b32 s43, s43, 3
	v_mov_b32_e32 v16, s47
	v_mov_b32_e32 v18, s43
	ds_read_b64 v[16:17], v16
	ds_read_b64 v[18:19], v18
	s_add_i32 s13, s13, 2
	s_add_i32 s12, s12, 2
	s_add_i32 s42, s42, -2
	s_waitcnt lgkmcnt(1)
	v_mov_b32_e32 v20, v16
	s_waitcnt lgkmcnt(0)
	v_mov_b32_e32 v21, v18
	v_mov_b32_e32 v18, v17
	v_pk_mul_f32 v[16:17], v[18:19], v[8:9]
	v_pk_mul_f32 v[18:19], v[18:19], v[6:7]
	v_pk_fma_f32 v[16:17], v[20:21], v[6:7], v[16:17] neg_lo:[0,0,1] neg_hi:[0,0,1]
	v_pk_fma_f32 v[18:19], v[20:21], v[8:9], v[18:19]
	s_cmp_lg_u32 s42, 0
	s_waitcnt vmcnt(1)
	v_pk_add_f32 v[12:13], v[12:13], v[16:17] neg_lo:[0,1] neg_hi:[0,1]
	s_waitcnt vmcnt(0)
	v_pk_add_f32 v[14:15], v[14:15], v[18:19] neg_lo:[0,1] neg_hi:[0,1]
	buffer_store_dword v12, v5, s[0:3], 0 offen
	buffer_store_dword v14, v5, s[0:3], 0 offen offset:4
	buffer_store_dword v13, v5, s[0:3], 0 offen offset:8
	;; [unrolled: 1-line block ×3, first 2 shown]
	v_add_u32_e32 v5, 16, v5
	s_cbranch_scc1 .LBB153_97
; %bb.98:                               ;   in Loop: Header=BB153_95 Depth=3
	s_mov_b64 s[10:11], s[8:9]
	s_mov_b32 s12, s34
	s_branch .LBB153_101
.LBB153_99:                             ;   in Loop: Header=BB153_95 Depth=3
	s_mov_b64 s[10:11], 0
                                        ; implicit-def: $vgpr4_vgpr5
	s_mov_b32 s12, s34
	s_cbranch_execz .LBB153_101
; %bb.100:                              ;   in Loop: Header=BB153_95 Depth=3
	s_waitcnt lgkmcnt(0)
	v_mov_b32_e32 v4, v3
	s_mov_b64 s[10:11], -1
	s_mov_b32 s12, 0
.LBB153_101:                            ;   in Loop: Header=BB153_95 Depth=3
	s_andn2_b64 vcc, exec, s[10:11]
	s_cbranch_vccnz .LBB153_94
; %bb.102:                              ;   in Loop: Header=BB153_95 Depth=3
	s_lshl_b32 s13, s12, 3
	s_waitcnt lgkmcnt(0)
	v_mov_b32_e32 v5, v3
	v_mov_b32_e32 v3, v2
	s_sub_i32 s10, s40, s13
	s_sub_i32 s11, s31, s12
	v_add_u32_e32 v6, s13, v10
.LBB153_103:                            ;   Parent Loop BB153_80 Depth=1
                                        ;     Parent Loop BB153_83 Depth=2
                                        ;       Parent Loop BB153_95 Depth=3
                                        ; =>      This Inner Loop Header: Depth=4
	buffer_load_dword v8, v6, s[0:3], 0 offen
	buffer_load_dword v9, v6, s[0:3], 0 offen offset:4
	v_mov_b32_e32 v7, s10
	ds_read_b64 v[12:13], v7
	s_add_i32 s10, s10, -8
	s_add_i32 s11, s11, -1
	s_cmp_eq_u32 s11, 0
	s_waitcnt lgkmcnt(0)
	v_pk_mul_f32 v[14:15], v[12:13], v[4:5]
	v_pk_fma_f32 v[16:17], v[12:13], v[2:3], v[14:15] op_sel:[0,0,1] op_sel_hi:[1,1,0] neg_lo:[0,0,1] neg_hi:[0,0,1]
	v_pk_fma_f32 v[12:13], v[12:13], v[2:3], v[14:15] op_sel:[0,0,1] op_sel_hi:[1,1,0]
	v_mov_b32_e32 v17, v13
	s_waitcnt vmcnt(0)
	v_pk_add_f32 v[8:9], v[8:9], v[16:17] neg_lo:[0,1] neg_hi:[0,1]
	buffer_store_dword v8, v6, s[0:3], 0 offen
	buffer_store_dword v9, v6, s[0:3], 0 offen offset:4
	v_add_u32_e32 v6, 8, v6
	s_cbranch_scc0 .LBB153_103
	s_branch .LBB153_94
.LBB153_104:
	s_waitcnt lgkmcnt(0)
	; wave barrier
	s_waitcnt lgkmcnt(0)
	s_and_saveexec_b64 s[4:5], s[28:29]
	s_cbranch_execz .LBB153_111
; %bb.105:
	s_cmp_lt_i32 s22, 8
	s_mov_b32 s4, 0
	s_cbranch_scc1 .LBB153_108
; %bb.106:
	v_mad_i64_i32 v[2:3], s[4:5], s21, v0, 0
	v_lshlrev_b64 v[2:3], 3, v[2:3]
	v_mov_b32_e32 v4, s46
	v_add_co_u32_e32 v1, vcc, s23, v2
	v_addc_co_u32_e32 v2, vcc, v4, v3, vcc
	v_mov_b32_e32 v3, 0xc80
	s_lshl_b32 s4, s33, 3
	v_lshl_add_u32 v3, v0, 3, v3
	s_and_b32 s5, s4, 0xc0
	s_mov_b32 s4, 0
	s_mov_b64 s[6:7], 0
.LBB153_107:                            ; =>This Inner Loop Header: Depth=1
	ds_read2_b64 v[4:7], v3 offset1:20
	ds_read2_b64 v[8:11], v3 offset0:40 offset1:60
	ds_read2_b64 v[12:15], v3 offset0:80 offset1:100
	ds_read2_b64 v[16:19], v3 offset0:120 offset1:140
	s_add_i32 s4, s4, 8
	v_add_co_u32_e32 v20, vcc, s6, v1
	s_add_u32 s6, s6, 64
	v_mov_b32_e32 v21, s7
	s_addc_u32 s7, s7, 0
	v_add_u32_e32 v3, 0x500, v3
	v_addc_co_u32_e32 v21, vcc, v2, v21, vcc
	s_cmp_lg_u32 s5, s6
	s_waitcnt lgkmcnt(3)
	global_store_dwordx4 v[20:21], v[4:7], off
	s_waitcnt lgkmcnt(2)
	global_store_dwordx4 v[20:21], v[8:11], off offset:16
	s_waitcnt lgkmcnt(1)
	global_store_dwordx4 v[20:21], v[12:15], off offset:32
	s_waitcnt lgkmcnt(0)
	global_store_dwordx4 v[20:21], v[16:19], off offset:48
	s_cbranch_scc1 .LBB153_107
.LBB153_108:
	s_and_b32 s6, s33, 7
	s_cmp_eq_u32 s6, 0
	s_mov_b32 s5, 0
	s_cbranch_scc1 .LBB153_111
; %bb.109:
	s_lshl_b64 s[8:9], s[26:27], 3
	v_lshlrev_b32_e32 v1, 3, v0
	v_mov_b32_e32 v2, s9
	v_add_co_u32_e32 v1, vcc, s8, v1
	s_lshl_b64 s[8:9], s[4:5], 3
	s_add_u32 s5, s18, s8
	s_addc_u32 s7, s19, s9
	s_add_u32 s5, s5, s24
	s_addc_u32 s7, s7, s25
	;; [unrolled: 2-line block ×3, first 2 shown]
	v_addc_co_u32_e32 v4, vcc, 0, v2, vcc
	v_pk_mov_b32 v[2:3], s[8:9], s[8:9] op_sel:[0,1]
	s_mulk_i32 s4, 0xa0
	v_mad_u64_u32 v[2:3], s[8:9], v1, s21, v[2:3]
	v_mul_lo_u32 v1, v1, s45
	v_mul_lo_u32 v4, v4, s21
	v_lshl_add_u32 v0, v0, 3, s4
	v_add3_u32 v3, v4, v3, v1
	v_add_u32_e32 v0, 0xc80, v0
.LBB153_110:                            ; =>This Inner Loop Header: Depth=1
	ds_read_b64 v[4:5], v0
	s_add_i32 s6, s6, -1
	v_add_u32_e32 v0, 0xa0, v0
	s_cmp_lg_u32 s6, 0
	s_waitcnt lgkmcnt(0)
	global_store_dwordx2 v[2:3], v[4:5], off
	v_add_co_u32_e32 v2, vcc, 8, v2
	v_addc_co_u32_e32 v3, vcc, 0, v3, vcc
	s_cbranch_scc1 .LBB153_110
.LBB153_111:
	s_endpgm
	.section	.rodata,"a",@progbits
	.p2align	6, 0x0
	.amdhsa_kernel _ZL38rocblas_trsm_small_left_device_sharedBILi20ELi20ELb0E19rocblas_complex_numIfES1_PKS1_PS1_Ev13rocblas_fill_18rocblas_operation_17rocblas_diagonal_iiT3_T4_lilT5_lili
		.amdhsa_group_segment_fixed_size 6400
		.amdhsa_private_segment_fixed_size 176
		.amdhsa_kernarg_size 360
		.amdhsa_user_sgpr_count 8
		.amdhsa_user_sgpr_private_segment_buffer 1
		.amdhsa_user_sgpr_dispatch_ptr 0
		.amdhsa_user_sgpr_queue_ptr 0
		.amdhsa_user_sgpr_kernarg_segment_ptr 1
		.amdhsa_user_sgpr_dispatch_id 0
		.amdhsa_user_sgpr_flat_scratch_init 1
		.amdhsa_user_sgpr_kernarg_preload_length 0
		.amdhsa_user_sgpr_kernarg_preload_offset 0
		.amdhsa_user_sgpr_private_segment_size 0
		.amdhsa_uses_dynamic_stack 0
		.amdhsa_system_sgpr_private_segment_wavefront_offset 1
		.amdhsa_system_sgpr_workgroup_id_x 1
		.amdhsa_system_sgpr_workgroup_id_y 0
		.amdhsa_system_sgpr_workgroup_id_z 1
		.amdhsa_system_sgpr_workgroup_info 0
		.amdhsa_system_vgpr_workitem_id 0
		.amdhsa_next_free_vgpr 43
		.amdhsa_next_free_sgpr 54
		.amdhsa_accum_offset 44
		.amdhsa_reserve_vcc 1
		.amdhsa_reserve_flat_scratch 0
		.amdhsa_float_round_mode_32 0
		.amdhsa_float_round_mode_16_64 0
		.amdhsa_float_denorm_mode_32 3
		.amdhsa_float_denorm_mode_16_64 3
		.amdhsa_dx10_clamp 1
		.amdhsa_ieee_mode 1
		.amdhsa_fp16_overflow 0
		.amdhsa_tg_split 0
		.amdhsa_exception_fp_ieee_invalid_op 0
		.amdhsa_exception_fp_denorm_src 0
		.amdhsa_exception_fp_ieee_div_zero 0
		.amdhsa_exception_fp_ieee_overflow 0
		.amdhsa_exception_fp_ieee_underflow 0
		.amdhsa_exception_fp_ieee_inexact 0
		.amdhsa_exception_int_div_zero 0
	.end_amdhsa_kernel
	.section	.text._ZL38rocblas_trsm_small_left_device_sharedBILi20ELi20ELb0E19rocblas_complex_numIfES1_PKS1_PS1_Ev13rocblas_fill_18rocblas_operation_17rocblas_diagonal_iiT3_T4_lilT5_lili,"axG",@progbits,_ZL38rocblas_trsm_small_left_device_sharedBILi20ELi20ELb0E19rocblas_complex_numIfES1_PKS1_PS1_Ev13rocblas_fill_18rocblas_operation_17rocblas_diagonal_iiT3_T4_lilT5_lili,comdat
.Lfunc_end153:
	.size	_ZL38rocblas_trsm_small_left_device_sharedBILi20ELi20ELb0E19rocblas_complex_numIfES1_PKS1_PS1_Ev13rocblas_fill_18rocblas_operation_17rocblas_diagonal_iiT3_T4_lilT5_lili, .Lfunc_end153-_ZL38rocblas_trsm_small_left_device_sharedBILi20ELi20ELb0E19rocblas_complex_numIfES1_PKS1_PS1_Ev13rocblas_fill_18rocblas_operation_17rocblas_diagonal_iiT3_T4_lilT5_lili
                                        ; -- End function
	.section	.AMDGPU.csdata,"",@progbits
; Kernel info:
; codeLenInByte = 5364
; NumSgprs: 58
; NumVgprs: 43
; NumAgprs: 0
; TotalNumVgprs: 43
; ScratchSize: 176
; MemoryBound: 0
; FloatMode: 240
; IeeeMode: 1
; LDSByteSize: 6400 bytes/workgroup (compile time only)
; SGPRBlocks: 7
; VGPRBlocks: 5
; NumSGPRsForWavesPerEU: 58
; NumVGPRsForWavesPerEU: 43
; AccumOffset: 44
; Occupancy: 3
; WaveLimiterHint : 0
; COMPUTE_PGM_RSRC2:SCRATCH_EN: 1
; COMPUTE_PGM_RSRC2:USER_SGPR: 8
; COMPUTE_PGM_RSRC2:TRAP_HANDLER: 0
; COMPUTE_PGM_RSRC2:TGID_X_EN: 1
; COMPUTE_PGM_RSRC2:TGID_Y_EN: 0
; COMPUTE_PGM_RSRC2:TGID_Z_EN: 1
; COMPUTE_PGM_RSRC2:TIDIG_COMP_CNT: 0
; COMPUTE_PGM_RSRC3_GFX90A:ACCUM_OFFSET: 10
; COMPUTE_PGM_RSRC3_GFX90A:TG_SPLIT: 0
	.section	.text._ZL30rocblas_trsm_small_left_deviceILi20ELi20ELb0E19rocblas_complex_numIfES1_PKS1_PS1_Ev13rocblas_fill_18rocblas_operation_17rocblas_diagonal_iiT3_T4_lilT5_lili,"axG",@progbits,_ZL30rocblas_trsm_small_left_deviceILi20ELi20ELb0E19rocblas_complex_numIfES1_PKS1_PS1_Ev13rocblas_fill_18rocblas_operation_17rocblas_diagonal_iiT3_T4_lilT5_lili,comdat
	.globl	_ZL30rocblas_trsm_small_left_deviceILi20ELi20ELb0E19rocblas_complex_numIfES1_PKS1_PS1_Ev13rocblas_fill_18rocblas_operation_17rocblas_diagonal_iiT3_T4_lilT5_lili ; -- Begin function _ZL30rocblas_trsm_small_left_deviceILi20ELi20ELb0E19rocblas_complex_numIfES1_PKS1_PS1_Ev13rocblas_fill_18rocblas_operation_17rocblas_diagonal_iiT3_T4_lilT5_lili
	.p2align	8
	.type	_ZL30rocblas_trsm_small_left_deviceILi20ELi20ELb0E19rocblas_complex_numIfES1_PKS1_PS1_Ev13rocblas_fill_18rocblas_operation_17rocblas_diagonal_iiT3_T4_lilT5_lili,@function
_ZL30rocblas_trsm_small_left_deviceILi20ELi20ELb0E19rocblas_complex_numIfES1_PKS1_PS1_Ev13rocblas_fill_18rocblas_operation_17rocblas_diagonal_iiT3_T4_lilT5_lili: ; @_ZL30rocblas_trsm_small_left_deviceILi20ELi20ELb0E19rocblas_complex_numIfES1_PKS1_PS1_Ev13rocblas_fill_18rocblas_operation_17rocblas_diagonal_iiT3_T4_lilT5_lili
; %bb.0:
	s_add_u32 s0, s0, s10
	s_load_dwordx4 s[16:19], s[4:5], 0x4
	s_load_dwordx2 s[24:25], s[4:5], 0x14
	s_load_dwordx4 s[12:15], s[4:5], 0x38
	s_load_dwordx2 s[26:27], s[4:5], 0x48
	s_load_dword s43, s[4:5], 0x68
	s_addc_u32 s1, s1, 0
	s_waitcnt lgkmcnt(0)
	s_min_i32 s42, s18, 20
	s_mov_b32 s44, 0
	s_add_i32 s33, s42, -1
	v_cmp_gt_i32_e32 vcc, s42, v0
	s_and_saveexec_b64 s[28:29], vcc
	s_cbranch_execz .LBB154_35
; %bb.1:
	s_load_dword s30, s[4:5], 0x30
	s_load_dwordx4 s[20:23], s[4:5], 0x20
	s_mul_i32 s6, s9, s13
	s_mul_hi_u32 s7, s9, s12
	s_mul_i32 s12, s9, s12
	s_waitcnt lgkmcnt(0)
	s_ashr_i32 s31, s30, 31
	s_cmpk_lg_i32 s16, 0x71
	s_cselect_b64 s[34:35], -1, 0
	s_add_i32 s13, s7, s6
	v_cndmask_b32_e64 v2, 0, 1, s[34:35]
	s_cmp_lt_u32 s33, 3
	v_lshlrev_b32_e32 v1, 3, v0
	v_cmp_ne_u32_e64 s[6:7], 1, v2
	s_cbranch_scc1 .LBB154_20
; %bb.2:
	s_lshl_b64 s[10:11], s[12:13], 3
	s_add_u32 s18, s20, s10
	s_addc_u32 s36, s21, s11
	s_lshl_b64 s[10:11], s[22:23], 3
	s_add_u32 s10, s18, s10
	s_addc_u32 s11, s36, s11
	v_mov_b32_e32 v3, s11
	v_add_co_u32_e32 v2, vcc, s10, v1
	s_mul_hi_i32 s10, s30, 24
	s_lshl_b64 s[36:37], s[30:31], 5
	s_lshl_b64 s[38:39], s[30:31], 4
	;; [unrolled: 1-line block ×3, first 2 shown]
	v_addc_co_u32_e32 v3, vcc, 0, v3, vcc
	s_and_b32 s44, s42, -4
	s_mul_i32 s18, s30, 24
	s_mov_b32 s45, 0
	v_mov_b32_e32 v8, s41
	v_mov_b32_e32 v9, s39
	v_mov_b32_e32 v10, s10
	v_mov_b32_e32 v11, s37
	v_mov_b32_e32 v12, v1
	s_branch .LBB154_4
.LBB154_3:                              ;   in Loop: Header=BB154_4 Depth=1
	global_load_dword v4, v[6:7], off
	s_add_i32 s45, s45, 4
	v_add_co_u32_e32 v2, vcc, s36, v2
	v_addc_co_u32_e32 v3, vcc, v3, v11, vcc
	s_cmp_eq_u32 s44, s45
	s_waitcnt vmcnt(0)
	ds_write_b64 v12, v[4:5] offset:480
	v_add_u32_e32 v12, 0x280, v12
	s_cbranch_scc1 .LBB154_20
.LBB154_4:                              ; =>This Inner Loop Header: Depth=1
	s_and_b64 vcc, exec, s[34:35]
	s_cbranch_vccz .LBB154_6
; %bb.5:                                ;   in Loop: Header=BB154_4 Depth=1
	global_load_dword v5, v[2:3], off offset:4
	s_cbranch_execz .LBB154_7
	s_branch .LBB154_8
.LBB154_6:                              ;   in Loop: Header=BB154_4 Depth=1
                                        ; implicit-def: $vgpr5
.LBB154_7:                              ;   in Loop: Header=BB154_4 Depth=1
	global_load_dword v4, v[2:3], off offset:4
	s_waitcnt vmcnt(0)
	v_xor_b32_e32 v5, 0x80000000, v4
.LBB154_8:                              ;   in Loop: Header=BB154_4 Depth=1
	global_load_dword v4, v[2:3], off
	v_add_co_u32_e64 v6, s[10:11], s40, v2
	s_and_b64 vcc, exec, s[6:7]
	v_addc_co_u32_e64 v7, s[10:11], v3, v8, s[10:11]
	s_waitcnt vmcnt(0)
	ds_write_b64 v12, v[4:5]
	s_cbranch_vccnz .LBB154_10
; %bb.9:                                ;   in Loop: Header=BB154_4 Depth=1
	global_load_dword v5, v[6:7], off offset:4
	s_cbranch_execz .LBB154_11
	s_branch .LBB154_12
.LBB154_10:                             ;   in Loop: Header=BB154_4 Depth=1
                                        ; implicit-def: $vgpr5
.LBB154_11:                             ;   in Loop: Header=BB154_4 Depth=1
	global_load_dword v4, v[6:7], off offset:4
	s_waitcnt vmcnt(0)
	v_xor_b32_e32 v5, 0x80000000, v4
.LBB154_12:                             ;   in Loop: Header=BB154_4 Depth=1
	global_load_dword v4, v[6:7], off
	v_add_co_u32_e64 v6, s[10:11], s38, v2
	s_and_b64 vcc, exec, s[6:7]
	v_addc_co_u32_e64 v7, s[10:11], v3, v9, s[10:11]
	s_waitcnt vmcnt(0)
	ds_write_b64 v12, v[4:5] offset:160
	s_cbranch_vccnz .LBB154_14
; %bb.13:                               ;   in Loop: Header=BB154_4 Depth=1
	global_load_dword v5, v[6:7], off offset:4
	s_cbranch_execz .LBB154_15
	s_branch .LBB154_16
.LBB154_14:                             ;   in Loop: Header=BB154_4 Depth=1
                                        ; implicit-def: $vgpr5
.LBB154_15:                             ;   in Loop: Header=BB154_4 Depth=1
	global_load_dword v4, v[6:7], off offset:4
	s_waitcnt vmcnt(0)
	v_xor_b32_e32 v5, 0x80000000, v4
.LBB154_16:                             ;   in Loop: Header=BB154_4 Depth=1
	global_load_dword v4, v[6:7], off
	v_add_co_u32_e64 v6, s[10:11], s18, v2
	s_and_b64 vcc, exec, s[6:7]
	v_addc_co_u32_e64 v7, s[10:11], v3, v10, s[10:11]
	s_waitcnt vmcnt(0)
	ds_write_b64 v12, v[4:5] offset:320
	s_cbranch_vccnz .LBB154_18
; %bb.17:                               ;   in Loop: Header=BB154_4 Depth=1
	global_load_dword v5, v[6:7], off offset:4
	s_cbranch_execnz .LBB154_3
	s_branch .LBB154_19
.LBB154_18:                             ;   in Loop: Header=BB154_4 Depth=1
                                        ; implicit-def: $vgpr5
.LBB154_19:                             ;   in Loop: Header=BB154_4 Depth=1
	global_load_dword v4, v[6:7], off offset:4
	s_waitcnt vmcnt(0)
	v_xor_b32_e32 v5, 0x80000000, v4
	s_branch .LBB154_3
.LBB154_20:
	s_and_b32 s18, s42, 3
	s_cmp_eq_u32 s18, 0
	s_cbranch_scc1 .LBB154_27
; %bb.21:
	s_mul_i32 s10, s44, 0xa0
	v_lshl_add_u32 v6, v0, 3, s10
	s_lshl_b64 s[10:11], s[12:13], 3
	s_mul_i32 s12, s31, s44
	s_mul_hi_u32 s13, s30, s44
	s_add_i32 s13, s13, s12
	s_mul_i32 s12, s30, s44
	s_lshl_b64 s[12:13], s[12:13], 3
	s_add_u32 s12, s10, s12
	s_addc_u32 s13, s11, s13
	s_lshl_b64 s[10:11], s[22:23], 3
	s_add_u32 s10, s12, s10
	s_addc_u32 s11, s13, s11
	s_add_u32 s10, s20, s10
	s_addc_u32 s11, s21, s11
	v_mov_b32_e32 v2, s11
	v_add_co_u32_e32 v1, vcc, s10, v1
	v_addc_co_u32_e32 v3, vcc, 0, v2, vcc
	v_add_co_u32_e32 v2, vcc, 4, v1
	s_lshl_b64 s[10:11], s[30:31], 3
	v_addc_co_u32_e32 v3, vcc, 0, v3, vcc
	v_mov_b32_e32 v1, s11
	s_branch .LBB154_23
.LBB154_22:                             ;   in Loop: Header=BB154_23 Depth=1
	global_load_dword v4, v[2:3], off offset:-4
	s_add_i32 s18, s18, -1
	v_add_co_u32_e32 v2, vcc, s10, v2
	s_cmp_lg_u32 s18, 0
	v_addc_co_u32_e32 v3, vcc, v3, v1, vcc
	s_waitcnt vmcnt(0)
	ds_write_b64 v6, v[4:5]
	v_add_u32_e32 v6, 0xa0, v6
	s_cbranch_scc0 .LBB154_27
.LBB154_23:                             ; =>This Inner Loop Header: Depth=1
	s_and_b64 vcc, exec, s[6:7]
	s_cbranch_vccnz .LBB154_25
; %bb.24:                               ;   in Loop: Header=BB154_23 Depth=1
	global_load_dword v5, v[2:3], off
	s_cbranch_execnz .LBB154_22
	s_branch .LBB154_26
.LBB154_25:                             ;   in Loop: Header=BB154_23 Depth=1
                                        ; implicit-def: $vgpr5
.LBB154_26:                             ;   in Loop: Header=BB154_23 Depth=1
	global_load_dword v4, v[2:3], off
	s_waitcnt vmcnt(0)
	v_xor_b32_e32 v5, 0x80000000, v4
	s_branch .LBB154_22
.LBB154_27:
	v_mul_u32_u24_e32 v1, 21, v0
	s_cmpk_lg_i32 s17, 0x84
	v_lshlrev_b32_e32 v1, 3, v1
	s_mov_b64 s[6:7], -1
	s_cbranch_scc0 .LBB154_33
; %bb.28:
	ds_read_b64 v[2:3], v1
	s_mov_b32 s6, 0
	s_waitcnt lgkmcnt(0)
	v_cmp_gt_f32_e32 vcc, 0, v3
	v_cndmask_b32_e64 v4, v3, -v3, vcc
	v_cmp_gt_f32_e32 vcc, 0, v2
	v_cndmask_b32_e64 v5, v2, -v2, vcc
	v_cmp_ngt_f32_e32 vcc, v5, v4
                                        ; implicit-def: $vgpr4_vgpr5
	s_and_saveexec_b64 s[10:11], vcc
	s_xor_b64 s[10:11], exec, s[10:11]
	s_cbranch_execz .LBB154_30
; %bb.29:
	v_div_scale_f32 v4, s[12:13], v3, v3, v2
	v_rcp_f32_e32 v5, v4
	v_div_scale_f32 v6, vcc, v2, v3, v2
	s_mov_b32 s7, -1.0
	v_fma_f32 v7, -v4, v5, 1.0
	v_fmac_f32_e32 v5, v7, v5
	v_mul_f32_e32 v7, v6, v5
	v_fma_f32 v8, -v4, v7, v6
	v_fmac_f32_e32 v7, v8, v5
	v_fma_f32 v4, -v4, v7, v6
	v_div_fmas_f32 v4, v4, v5, v7
	v_div_fixup_f32 v4, v4, v3, v2
	v_fmac_f32_e32 v3, v2, v4
	v_div_scale_f32 v2, s[12:13], v3, v3, 1.0
	v_rcp_f32_e32 v5, v2
	v_fma_f32 v6, -v2, v5, 1.0
	v_fmac_f32_e32 v5, v6, v5
	v_div_scale_f32 v6, vcc, 1.0, v3, 1.0
	v_mul_f32_e32 v7, v6, v5
	v_fma_f32 v8, -v2, v7, v6
	v_fmac_f32_e32 v7, v8, v5
	v_fma_f32 v2, -v2, v7, v6
	v_div_fmas_f32 v2, v2, v5, v7
	v_mul_f32_e32 v5, 0, v4
	v_div_fixup_f32 v2, v2, v3, 1.0
	v_pk_add_f32 v[4:5], v[4:5], s[6:7]
	v_pk_mul_f32 v[4:5], v[4:5], v[2:3] op_sel_hi:[1,0]
                                        ; implicit-def: $vgpr2_vgpr3
.LBB154_30:
	s_andn2_saveexec_b64 s[6:7], s[10:11]
	s_cbranch_execz .LBB154_32
; %bb.31:
	v_div_scale_f32 v4, s[10:11], v2, v2, v3
	v_rcp_f32_e32 v5, v4
	v_div_scale_f32 v6, vcc, v3, v2, v3
	v_fma_f32 v7, -v4, v5, 1.0
	v_fmac_f32_e32 v5, v7, v5
	v_mul_f32_e32 v7, v6, v5
	v_fma_f32 v8, -v4, v7, v6
	v_fmac_f32_e32 v7, v8, v5
	v_fma_f32 v4, -v4, v7, v6
	v_div_fmas_f32 v4, v4, v5, v7
	v_div_fixup_f32 v5, v4, v2, v3
	v_fmac_f32_e32 v2, v3, v5
	v_div_scale_f32 v3, s[10:11], v2, v2, 1.0
	v_rcp_f32_e32 v4, v3
	s_mov_b32 s10, 1.0
	s_mov_b32 s11, 0
	v_fma_f32 v6, -v3, v4, 1.0
	v_fmac_f32_e32 v4, v6, v4
	v_div_scale_f32 v6, vcc, 1.0, v2, 1.0
	v_mul_f32_e32 v7, v6, v4
	v_fma_f32 v8, -v3, v7, v6
	v_fmac_f32_e32 v7, v8, v4
	v_fma_f32 v3, -v3, v7, v6
	v_div_fmas_f32 v3, v3, v4, v7
	v_mul_f32_e32 v4, 0, v5
	v_pk_add_f32 v[6:7], v[4:5], s[10:11]
	v_pk_add_f32 v[4:5], v[4:5], s[10:11] neg_lo:[1,0] neg_hi:[1,0]
	v_div_fixup_f32 v2, v3, v2, 1.0
	v_mov_b32_e32 v7, v5
	v_pk_mul_f32 v[4:5], v[6:7], v[2:3] op_sel_hi:[1,0]
.LBB154_32:
	s_or_b64 exec, exec, s[6:7]
	s_mov_b64 s[6:7], 0
	ds_write_b64 v1, v[4:5]
.LBB154_33:
	s_and_b64 vcc, exec, s[6:7]
	s_cbranch_vccz .LBB154_35
; %bb.34:
	v_mov_b32_e32 v2, 1.0
	v_mov_b32_e32 v3, 0
	ds_write_b64 v1, v[2:3]
.LBB154_35:
	s_or_b64 exec, exec, s[28:29]
	s_mul_i32 s6, s8, 0xffffffec
	s_add_i32 s43, s43, -1
	s_add_i32 s6, s6, s19
	s_cmp_ge_u32 s8, s43
	s_cselect_b32 s6, s6, 20
	v_cmp_gt_i32_e32 vcc, s6, v0
	s_waitcnt lgkmcnt(0)
	; wave barrier
	s_waitcnt lgkmcnt(0)
	s_and_saveexec_b64 s[6:7], vcc
	s_cbranch_execz .LBB154_102
; %bb.36:
	s_load_dwordx2 s[6:7], s[4:5], 0x58
	s_load_dword s12, s[4:5], 0x50
	s_waitcnt lgkmcnt(0)
	s_mul_i32 s5, s9, s7
	s_mul_hi_u32 s7, s9, s6
	s_mul_i32 s4, s9, s6
	s_add_i32 s5, s7, s5
	s_lshl_b64 s[6:7], s[4:5], 3
	s_add_u32 s4, s14, s6
	s_addc_u32 s5, s15, s7
	s_lshl_b64 s[10:11], s[26:27], 3
	s_add_u32 s9, s4, s10
	s_addc_u32 s13, s5, s11
	v_mad_u64_u32 v[0:1], s[4:5], s8, 20, v[0:1]
	v_mad_i64_i32 v[0:1], s[4:5], s12, v0, 0
	v_lshlrev_b64 v[0:1], 3, v[0:1]
	v_mov_b32_e32 v2, s13
	v_add_co_u32_e32 v10, vcc, s9, v0
	v_addc_co_u32_e32 v11, vcc, v2, v1, vcc
	s_cmpk_eq_i32 s16, 0x6f
	s_mov_b64 s[4:5], -1
	s_cbranch_scc1 .LBB154_70
; %bb.37:
	s_add_u32 s4, s14, s10
	s_addc_u32 s5, s15, s11
	s_add_u32 s4, s4, s6
	s_addc_u32 s5, s5, s7
	v_mov_b32_e32 v2, s5
	v_add_co_u32_e32 v3, vcc, s4, v0
	v_addc_co_u32_e32 v2, vcc, v2, v1, vcc
	v_add_co_u32_e32 v12, vcc, 4, v3
	s_mov_b32 s17, 0
	s_mov_b32 s8, s24
	;; [unrolled: 1-line block ×5, first 2 shown]
	v_addc_co_u32_e32 v13, vcc, 0, v2, vcc
	v_mov_b32_e32 v14, 0
	s_mov_b32 s16, s17
	s_mov_b32 s28, s17
	s_branch .LBB154_39
.LBB154_38:                             ;   in Loop: Header=BB154_39 Depth=1
	s_cmp_ge_i32 s28, s42
	s_cselect_b64 s[4:5], -1, 0
	s_add_i32 s16, s16, 1
	s_cmp_eq_u32 s16, 3
	s_cselect_b64 s[18:19], -1, 0
	s_or_b64 s[4:5], s[4:5], s[18:19]
	s_andn2_b64 vcc, exec, s[4:5]
	s_cbranch_vccz .LBB154_69
.LBB154_39:                             ; =>This Loop Header: Depth=1
                                        ;     Child Loop BB154_42 Depth 2
                                        ;       Child Loop BB154_44 Depth 3
                                        ;       Child Loop BB154_48 Depth 3
	;; [unrolled: 1-line block ×3, first 2 shown]
                                        ;         Child Loop BB154_54 Depth 4
                                        ;         Child Loop BB154_60 Depth 4
                                        ;       Child Loop BB154_63 Depth 3
                                        ;         Child Loop BB154_65 Depth 4
	s_lshl_b64 s[4:5], s[16:17], 2
	s_getpc_b64 s[18:19]
	s_add_u32 s18, s18, __const._ZL30rocblas_trsm_small_left_deviceILi20ELi20ELb0E19rocblas_complex_numIfES1_PKS1_PS1_Ev13rocblas_fill_18rocblas_operation_17rocblas_diagonal_iiT3_T4_lilT5_lili.step_sizes@rel32@lo+4
	s_addc_u32 s19, s19, __const._ZL30rocblas_trsm_small_left_deviceILi20ELi20ELb0E19rocblas_complex_numIfES1_PKS1_PS1_Ev13rocblas_fill_18rocblas_operation_17rocblas_diagonal_iiT3_T4_lilT5_lili.step_sizes@rel32@hi+12
	s_add_u32 s4, s4, s18
	s_addc_u32 s5, s5, s19
	s_load_dword s29, s[4:5], 0x0
	s_waitcnt lgkmcnt(0)
	s_add_i32 s30, s29, -1
	s_add_i32 s4, s30, s28
	s_cmp_ge_i32 s4, s42
	s_cbranch_scc1 .LBB154_38
; %bb.40:                               ;   in Loop: Header=BB154_39 Depth=1
	s_max_i32 s31, s29, 1
	s_cmp_lg_u32 s16, 2
	s_cselect_b64 s[18:19], -1, 0
	s_and_b32 s34, s31, 0x7ffffffe
	s_cmp_lg_u32 s31, s34
	s_cselect_b64 s[20:21], -1, 0
	s_ashr_i32 s35, s28, 31
	s_ashr_i32 s36, s29, 31
	s_mul_i32 s37, s28, 0xa8
	s_mul_i32 s38, s29, 0xa8
	s_branch .LBB154_42
.LBB154_41:                             ;   in Loop: Header=BB154_42 Depth=2
	s_add_u32 s28, s28, s29
	s_addc_u32 s35, s35, s36
	s_add_i32 s4, s30, s28
	s_add_i32 s37, s37, s38
	s_cmp_ge_i32 s4, s42
	s_cbranch_scc1 .LBB154_38
.LBB154_42:                             ;   Parent Loop BB154_39 Depth=1
                                        ; =>  This Loop Header: Depth=2
                                        ;       Child Loop BB154_44 Depth 3
                                        ;       Child Loop BB154_48 Depth 3
                                        ;       Child Loop BB154_52 Depth 3
                                        ;         Child Loop BB154_54 Depth 4
                                        ;         Child Loop BB154_60 Depth 4
                                        ;       Child Loop BB154_63 Depth 3
                                        ;         Child Loop BB154_65 Depth 4
	s_and_b64 vcc, exec, s[18:19]
	s_cbranch_vccz .LBB154_46
; %bb.43:                               ;   in Loop: Header=BB154_42 Depth=2
	v_mov_b32_e32 v2, 0
	s_mov_b32 s22, s28
	s_mov_b32 s23, s28
	;; [unrolled: 1-line block ×5, first 2 shown]
.LBB154_44:                             ;   Parent Loop BB154_39 Depth=1
                                        ;     Parent Loop BB154_42 Depth=2
                                        ; =>    This Inner Loop Header: Depth=3
	s_add_i32 s4, s27, s22
	s_add_i32 s40, s26, s23
	s_ashr_i32 s5, s4, 31
	s_ashr_i32 s41, s40, 31
	s_lshl_b64 s[4:5], s[4:5], 3
	s_lshl_b64 s[40:41], s[40:41], 3
	v_mov_b32_e32 v3, s5
	v_add_co_u32_e64 v6, s[4:5], s4, v10
	v_mov_b32_e32 v5, s41
	v_add_co_u32_e32 v4, vcc, s40, v10
	v_addc_co_u32_e64 v7, s[4:5], v11, v3, s[4:5]
	v_addc_co_u32_e32 v5, vcc, v11, v5, vcc
	global_load_dwordx2 v[8:9], v[6:7], off
	global_load_dwordx2 v[16:17], v[4:5], off
	s_add_i32 s27, s27, 2
	s_add_i32 s26, s26, 2
	s_add_i32 s39, s39, -2
	s_mov_b32 s40, s34
	s_mov_b64 s[4:5], s[20:21]
	s_cmp_lg_u32 s39, 0
	s_waitcnt vmcnt(1)
	v_mov_b32_e32 v4, v8
	s_waitcnt vmcnt(0)
	v_mov_b32_e32 v5, v16
	v_mov_b32_e32 v16, v9
	v_pk_mul_f32 v[6:7], v[16:17], s[12:13]
	v_pk_mul_f32 v[8:9], v[16:17], s[8:9]
	v_pk_fma_f32 v[6:7], v[4:5], s[8:9], v[6:7] neg_lo:[0,0,1] neg_hi:[0,0,1]
	v_pk_fma_f32 v[4:5], v[4:5], s[12:13], v[8:9]
	buffer_store_dword v4, v2, s[0:3], 0 offen offset:4
	buffer_store_dword v6, v2, s[0:3], 0 offen
	buffer_store_dword v5, v2, s[0:3], 0 offen offset:12
	buffer_store_dword v7, v2, s[0:3], 0 offen offset:8
	v_add_u32_e32 v2, 16, v2
	s_cbranch_scc1 .LBB154_44
; %bb.45:                               ;   in Loop: Header=BB154_42 Depth=2
	s_and_b64 vcc, exec, s[4:5]
	s_cbranch_vccnz .LBB154_47
	s_branch .LBB154_49
.LBB154_46:                             ;   in Loop: Header=BB154_42 Depth=2
	s_mov_b32 s40, 0
	s_cbranch_execz .LBB154_49
.LBB154_47:                             ;   in Loop: Header=BB154_42 Depth=2
	s_sub_i32 s4, s31, s40
	s_add_u32 s22, s28, s40
	s_addc_u32 s23, s35, 0
	s_lshl_b64 s[22:23], s[22:23], 3
	v_mov_b32_e32 v3, s23
	v_add_co_u32_e32 v2, vcc, s22, v12
	s_lshl_b32 s5, s40, 3
	v_addc_co_u32_e32 v3, vcc, v13, v3, vcc
	v_add_u32_e32 v4, s5, v14
.LBB154_48:                             ;   Parent Loop BB154_39 Depth=1
                                        ;     Parent Loop BB154_42 Depth=2
                                        ; =>    This Inner Loop Header: Depth=3
	global_load_dwordx2 v[6:7], v[2:3], off offset:-4
	s_add_i32 s4, s4, -1
	v_add_co_u32_e32 v2, vcc, 8, v2
	v_addc_co_u32_e32 v3, vcc, 0, v3, vcc
	s_cmp_eq_u32 s4, 0
	s_waitcnt vmcnt(0)
	v_mul_f32_e32 v5, s25, v7
	v_mul_f32_e32 v7, s24, v7
	v_fma_f32 v5, v6, s24, -v5
	v_fmac_f32_e32 v7, s25, v6
	buffer_store_dword v5, v4, s[0:3], 0 offen
	buffer_store_dword v7, v4, s[0:3], 0 offen offset:4
	v_add_u32_e32 v4, 8, v4
	s_cbranch_scc0 .LBB154_48
.LBB154_49:                             ;   in Loop: Header=BB154_42 Depth=2
	s_cmp_lt_i32 s28, 1
	s_cbranch_scc1 .LBB154_61
; %bb.50:                               ;   in Loop: Header=BB154_42 Depth=2
	s_mov_b32 s39, s28
	s_mov_b32 s40, s28
	;; [unrolled: 1-line block ×4, first 2 shown]
	s_branch .LBB154_52
.LBB154_51:                             ;   in Loop: Header=BB154_52 Depth=3
	s_add_i32 s4, s4, 1
	s_add_i32 s41, s41, 8
	s_cmp_ge_i32 s4, s28
	s_cbranch_scc1 .LBB154_61
.LBB154_52:                             ;   Parent Loop BB154_39 Depth=1
                                        ;     Parent Loop BB154_42 Depth=2
                                        ; =>    This Loop Header: Depth=3
                                        ;         Child Loop BB154_54 Depth 4
                                        ;         Child Loop BB154_60 Depth 4
	s_mov_b32 s5, s17
	s_lshl_b64 s[22:23], s[4:5], 3
	s_waitcnt vmcnt(0)
	v_mov_b32_e32 v3, s23
	v_add_co_u32_e32 v2, vcc, s22, v10
	v_addc_co_u32_e32 v3, vcc, v11, v3, vcc
	global_load_dwordx2 v[2:3], v[2:3], off
	s_and_b64 vcc, exec, s[18:19]
	s_cbranch_vccz .LBB154_56
; %bb.53:                               ;   in Loop: Header=BB154_52 Depth=3
	s_mov_b32 s5, s4
	s_waitcnt vmcnt(0)
	v_mov_b32_e32 v6, v2
	v_mov_b32_e32 v7, v2
	;; [unrolled: 1-line block ×6, first 2 shown]
	s_mov_b32 s22, 1
	s_mov_b32 s23, 0
	;; [unrolled: 1-line block ×3, first 2 shown]
.LBB154_54:                             ;   Parent Loop BB154_39 Depth=1
                                        ;     Parent Loop BB154_42 Depth=2
                                        ;       Parent Loop BB154_52 Depth=3
                                        ; =>      This Inner Loop Header: Depth=4
	buffer_load_dword v16, v5, s[0:3], 0 offen
	buffer_load_dword v18, v5, s[0:3], 0 offen offset:4
	buffer_load_dword v17, v5, s[0:3], 0 offen offset:8
	;; [unrolled: 1-line block ×3, first 2 shown]
	s_add_i32 s27, s22, s40
	s_add_i32 s43, s23, s39
	s_mul_i32 s43, s43, 20
	s_mul_i32 s27, s27, 20
	s_add_i32 s27, s27, s5
	s_add_i32 s43, s43, s4
	s_lshl_b32 s43, s43, 3
	s_lshl_b32 s27, s27, 3
	v_mov_b32_e32 v15, s43
	v_mov_b32_e32 v22, s27
	ds_read_b64 v[20:21], v15
	ds_read_b64 v[22:23], v22
	s_add_i32 s23, s23, 2
	s_add_i32 s22, s22, 2
	s_add_i32 s26, s26, -2
	s_waitcnt lgkmcnt(1)
	v_mov_b32_e32 v24, v20
	s_waitcnt lgkmcnt(0)
	v_mov_b32_e32 v25, v22
	v_mov_b32_e32 v22, v21
	v_pk_mul_f32 v[20:21], v[22:23], v[8:9]
	v_pk_mul_f32 v[22:23], v[22:23], v[6:7]
	v_pk_fma_f32 v[20:21], v[24:25], v[6:7], v[20:21] neg_lo:[0,0,1] neg_hi:[0,0,1]
	v_pk_fma_f32 v[22:23], v[24:25], v[8:9], v[22:23]
	s_cmp_lg_u32 s26, 0
	s_waitcnt vmcnt(1)
	v_pk_add_f32 v[16:17], v[16:17], v[20:21] neg_lo:[0,1] neg_hi:[0,1]
	s_waitcnt vmcnt(0)
	v_pk_add_f32 v[18:19], v[18:19], v[22:23] neg_lo:[0,1] neg_hi:[0,1]
	buffer_store_dword v16, v5, s[0:3], 0 offen
	buffer_store_dword v18, v5, s[0:3], 0 offen offset:4
	buffer_store_dword v17, v5, s[0:3], 0 offen offset:8
	;; [unrolled: 1-line block ×3, first 2 shown]
	v_add_u32_e32 v5, 16, v5
	s_cbranch_scc1 .LBB154_54
; %bb.55:                               ;   in Loop: Header=BB154_52 Depth=3
	s_mov_b64 s[22:23], s[20:21]
	s_mov_b32 s26, s34
	s_branch .LBB154_58
.LBB154_56:                             ;   in Loop: Header=BB154_52 Depth=3
	s_mov_b64 s[22:23], 0
                                        ; implicit-def: $vgpr4_vgpr5
	s_mov_b32 s26, s34
	s_cbranch_execz .LBB154_58
; %bb.57:                               ;   in Loop: Header=BB154_52 Depth=3
	s_waitcnt vmcnt(0)
	v_mov_b32_e32 v4, v3
	s_mov_b64 s[22:23], -1
	s_mov_b32 s26, 0
.LBB154_58:                             ;   in Loop: Header=BB154_52 Depth=3
	s_andn2_b64 vcc, exec, s[22:23]
	s_cbranch_vccnz .LBB154_51
; %bb.59:                               ;   in Loop: Header=BB154_52 Depth=3
	s_add_i32 s22, s28, s26
	s_mulk_i32 s22, 0xa0
	s_lshl_b32 s23, s26, 3
	s_waitcnt vmcnt(0)
	v_mov_b32_e32 v5, v3
	v_mov_b32_e32 v3, v2
	s_sub_i32 s5, s31, s26
	s_add_i32 s22, s41, s22
	v_add_u32_e32 v6, s23, v14
.LBB154_60:                             ;   Parent Loop BB154_39 Depth=1
                                        ;     Parent Loop BB154_42 Depth=2
                                        ;       Parent Loop BB154_52 Depth=3
                                        ; =>      This Inner Loop Header: Depth=4
	buffer_load_dword v8, v6, s[0:3], 0 offen
	buffer_load_dword v9, v6, s[0:3], 0 offen offset:4
	v_mov_b32_e32 v7, s22
	ds_read_b64 v[16:17], v7
	s_add_i32 s5, s5, -1
	s_addk_i32 s22, 0xa0
	s_cmp_eq_u32 s5, 0
	s_waitcnt lgkmcnt(0)
	v_pk_mul_f32 v[18:19], v[16:17], v[4:5]
	v_pk_fma_f32 v[20:21], v[16:17], v[2:3], v[18:19] op_sel:[0,0,1] op_sel_hi:[1,1,0] neg_lo:[0,0,1] neg_hi:[0,0,1]
	v_pk_fma_f32 v[16:17], v[16:17], v[2:3], v[18:19] op_sel:[0,0,1] op_sel_hi:[1,1,0]
	v_mov_b32_e32 v21, v17
	s_waitcnt vmcnt(0)
	v_pk_add_f32 v[8:9], v[8:9], v[20:21] neg_lo:[0,1] neg_hi:[0,1]
	buffer_store_dword v8, v6, s[0:3], 0 offen
	buffer_store_dword v9, v6, s[0:3], 0 offen offset:4
	v_add_u32_e32 v6, 8, v6
	s_cbranch_scc0 .LBB154_60
	s_branch .LBB154_51
.LBB154_61:                             ;   in Loop: Header=BB154_42 Depth=2
	s_mov_b32 s26, 0
	s_mov_b32 s27, s37
	s_branch .LBB154_63
.LBB154_62:                             ;   in Loop: Header=BB154_63 Depth=3
	s_mul_i32 s5, s4, 0xa8
	v_mov_b32_e32 v4, s5
	ds_read_b64 v[4:5], v4
	s_lshl_b32 s5, s26, 3
	v_add_u32_e32 v8, s5, v14
	s_ashr_i32 s5, s4, 31
	s_lshl_b64 s[4:5], s[4:5], 3
	s_waitcnt vmcnt(0) lgkmcnt(0)
	v_mul_f32_e32 v6, v5, v3
	v_mul_f32_e32 v7, v4, v3
	v_fma_f32 v6, v4, v2, -v6
	v_fmac_f32_e32 v7, v5, v2
	v_mov_b32_e32 v3, s5
	v_add_co_u32_e32 v2, vcc, s4, v10
	s_add_i32 s26, s26, 1
	s_addk_i32 s27, 0xa0
	v_addc_co_u32_e32 v3, vcc, v11, v3, vcc
	s_cmp_eq_u32 s26, s31
	buffer_store_dword v6, v8, s[0:3], 0 offen
	buffer_store_dword v7, v8, s[0:3], 0 offen offset:4
	global_store_dwordx2 v[2:3], v[6:7], off
	s_cbranch_scc1 .LBB154_41
.LBB154_63:                             ;   Parent Loop BB154_39 Depth=1
                                        ;     Parent Loop BB154_42 Depth=2
                                        ; =>    This Loop Header: Depth=3
                                        ;         Child Loop BB154_65 Depth 4
	s_cmp_lg_u32 s26, 0
	s_cbranch_scc0 .LBB154_67
; %bb.64:                               ;   in Loop: Header=BB154_63 Depth=3
	s_lshl_b32 s4, s26, 3
	v_add_u32_e32 v4, s4, v14
	buffer_load_dword v2, v4, s[0:3], 0 offen
	buffer_load_dword v3, v4, s[0:3], 0 offen offset:4
	v_mov_b32_e32 v5, 0
	s_mov_b32 s4, 0
	s_mov_b32 s5, s27
.LBB154_65:                             ;   Parent Loop BB154_39 Depth=1
                                        ;     Parent Loop BB154_42 Depth=2
                                        ;       Parent Loop BB154_63 Depth=3
                                        ; =>      This Inner Loop Header: Depth=4
	buffer_load_dword v7, v5, s[0:3], 0 offen offset:4
	buffer_load_dword v6, v5, s[0:3], 0 offen
	v_mov_b32_e32 v8, s5
	ds_read_b64 v[8:9], v8
	s_add_i32 s4, s4, 1
	s_add_i32 s5, s5, 8
	v_add_u32_e32 v5, 8, v5
	s_cmp_ge_u32 s4, s26
	s_waitcnt vmcnt(1)
	v_mov_b32_e32 v16, v7
	s_waitcnt lgkmcnt(0)
	v_pk_mul_f32 v[16:17], v[8:9], v[16:17] op_sel_hi:[1,0]
	s_waitcnt vmcnt(0)
	v_pk_fma_f32 v[18:19], v[8:9], v[6:7], v[16:17] op_sel:[0,0,1] op_sel_hi:[1,1,0] neg_lo:[0,0,1] neg_hi:[0,0,1]
	v_pk_fma_f32 v[6:7], v[8:9], v[6:7], v[16:17] op_sel:[0,0,1] op_sel_hi:[1,0,0]
	v_mov_b32_e32 v19, v7
	v_pk_add_f32 v[2:3], v[2:3], v[18:19] neg_lo:[0,1] neg_hi:[0,1]
	buffer_store_dword v2, v4, s[0:3], 0 offen
	buffer_store_dword v3, v4, s[0:3], 0 offen offset:4
	s_cbranch_scc0 .LBB154_65
; %bb.66:                               ;   in Loop: Header=BB154_63 Depth=3
	s_add_i32 s4, s26, s28
	s_branch .LBB154_62
.LBB154_67:                             ;   in Loop: Header=BB154_63 Depth=3
                                        ; implicit-def: $vgpr2
                                        ; implicit-def: $sgpr4
	s_cbranch_execz .LBB154_62
; %bb.68:                               ;   in Loop: Header=BB154_63 Depth=3
	buffer_load_dword v2, off, s[0:3], 0
	buffer_load_dword v3, off, s[0:3], 0 offset:4
	s_mov_b32 s4, s28
	s_branch .LBB154_62
.LBB154_69:
	s_mov_b64 s[4:5], 0
.LBB154_70:
	s_and_b64 vcc, exec, s[4:5]
	s_cbranch_vccz .LBB154_102
; %bb.71:
	s_add_u32 s4, s14, s10
	s_addc_u32 s5, s15, s11
	s_add_u32 s4, s4, s6
	s_addc_u32 s5, s5, s7
	v_mov_b32_e32 v2, s5
	v_add_co_u32_e32 v0, vcc, s4, v0
	v_addc_co_u32_e32 v1, vcc, v2, v1, vcc
	v_add_co_u32_e32 v8, vcc, 4, v0
	s_mul_i32 s26, s42, 0xa0
	s_mov_b32 s7, 0
	s_mov_b32 s8, s24
	;; [unrolled: 1-line block ×5, first 2 shown]
	v_addc_co_u32_e32 v9, vcc, 0, v1, vcc
	s_addk_i32 s26, 0xff60
	v_mov_b32_e32 v12, 0
	s_mov_b32 s10, s33
	s_mov_b32 s14, s7
	s_branch .LBB154_73
.LBB154_72:                             ;   in Loop: Header=BB154_73 Depth=1
	s_cmp_lt_i32 s10, 0
	s_cselect_b64 s[4:5], -1, 0
	s_add_i32 s14, s14, 1
	s_cmp_eq_u32 s14, 3
	s_cselect_b64 s[16:17], -1, 0
	s_or_b64 s[4:5], s[4:5], s[16:17]
	s_and_b64 vcc, exec, s[4:5]
	s_cbranch_vccnz .LBB154_102
.LBB154_73:                             ; =>This Loop Header: Depth=1
                                        ;     Child Loop BB154_76 Depth 2
                                        ;       Child Loop BB154_78 Depth 3
                                        ;       Child Loop BB154_82 Depth 3
	;; [unrolled: 1-line block ×3, first 2 shown]
                                        ;         Child Loop BB154_95 Depth 4
                                        ;         Child Loop BB154_101 Depth 4
                                        ;       Child Loop BB154_86 Depth 3
                                        ;         Child Loop BB154_88 Depth 4
	s_mov_b32 s15, s7
	s_lshl_b64 s[4:5], s[14:15], 2
	s_getpc_b64 s[16:17]
	s_add_u32 s16, s16, __const._ZL30rocblas_trsm_small_left_deviceILi20ELi20ELb0E19rocblas_complex_numIfES1_PKS1_PS1_Ev13rocblas_fill_18rocblas_operation_17rocblas_diagonal_iiT3_T4_lilT5_lili.step_sizes@rel32@lo+4
	s_addc_u32 s17, s17, __const._ZL30rocblas_trsm_small_left_deviceILi20ELi20ELb0E19rocblas_complex_numIfES1_PKS1_PS1_Ev13rocblas_fill_18rocblas_operation_17rocblas_diagonal_iiT3_T4_lilT5_lili.step_sizes@rel32@hi+12
	s_add_u32 s4, s4, s16
	s_addc_u32 s5, s5, s17
	s_load_dword s15, s[4:5], 0x0
	s_waitcnt lgkmcnt(0)
	s_add_i32 s27, s15, -1
	s_cmp_lt_i32 s10, s27
	s_cbranch_scc1 .LBB154_72
; %bb.74:                               ;   in Loop: Header=BB154_73 Depth=1
	s_max_i32 s28, s15, 1
	s_cmp_lg_u32 s14, 2
	s_cselect_b64 s[16:17], -1, 0
	s_and_b32 s29, s28, 0x7ffffffe
	s_cmp_lg_u32 s28, s29
	s_cselect_b64 s[18:19], -1, 0
	s_lshl_b32 s4, s10, 3
	s_add_i32 s30, s26, s4
	s_lshl_b32 s4, s15, 3
	s_sub_i32 s31, 0, s4
	s_mul_i32 s34, s10, 0xa8
	s_mul_i32 s35, s15, 0xffffff58
	s_branch .LBB154_76
.LBB154_75:                             ;   in Loop: Header=BB154_76 Depth=2
	s_sub_i32 s10, s10, s15
	s_add_i32 s30, s30, s31
	s_add_i32 s34, s34, s35
	s_cmp_lt_i32 s10, s27
	s_cbranch_scc1 .LBB154_72
.LBB154_76:                             ;   Parent Loop BB154_73 Depth=1
                                        ; =>  This Loop Header: Depth=2
                                        ;       Child Loop BB154_78 Depth 3
                                        ;       Child Loop BB154_82 Depth 3
	;; [unrolled: 1-line block ×3, first 2 shown]
                                        ;         Child Loop BB154_95 Depth 4
                                        ;         Child Loop BB154_101 Depth 4
                                        ;       Child Loop BB154_86 Depth 3
                                        ;         Child Loop BB154_88 Depth 4
	s_and_b64 vcc, exec, s[16:17]
	s_cbranch_vccz .LBB154_80
; %bb.77:                               ;   in Loop: Header=BB154_76 Depth=2
	v_mov_b32_e32 v0, 0
	s_mov_b32 s11, s10
	s_mov_b32 s20, 1
	;; [unrolled: 1-line block ×4, first 2 shown]
.LBB154_78:                             ;   Parent Loop BB154_73 Depth=1
                                        ;     Parent Loop BB154_76 Depth=2
                                        ; =>    This Inner Loop Header: Depth=3
	s_sub_i32 s4, s10, s21
	s_sub_i32 s36, s11, s20
	s_ashr_i32 s5, s4, 31
	s_ashr_i32 s37, s36, 31
	s_lshl_b64 s[4:5], s[4:5], 3
	s_lshl_b64 s[36:37], s[36:37], 3
	v_mov_b32_e32 v1, s5
	v_add_co_u32_e64 v4, s[4:5], s4, v10
	v_mov_b32_e32 v3, s37
	v_add_co_u32_e32 v2, vcc, s36, v10
	v_addc_co_u32_e64 v5, s[4:5], v11, v1, s[4:5]
	v_addc_co_u32_e32 v3, vcc, v11, v3, vcc
	global_load_dwordx2 v[6:7], v[4:5], off
	global_load_dwordx2 v[14:15], v[2:3], off
	s_add_i32 s21, s21, 2
	s_add_i32 s20, s20, 2
	s_add_i32 s22, s22, -2
	s_mov_b32 s6, s29
	s_mov_b64 s[4:5], s[18:19]
	s_cmp_lg_u32 s22, 0
	s_waitcnt vmcnt(1)
	v_mov_b32_e32 v2, v6
	s_waitcnt vmcnt(0)
	v_mov_b32_e32 v3, v14
	v_mov_b32_e32 v14, v7
	v_pk_mul_f32 v[4:5], v[14:15], s[12:13]
	v_pk_mul_f32 v[6:7], v[14:15], s[8:9]
	v_pk_fma_f32 v[4:5], v[2:3], s[8:9], v[4:5] neg_lo:[0,0,1] neg_hi:[0,0,1]
	v_pk_fma_f32 v[2:3], v[2:3], s[12:13], v[6:7]
	buffer_store_dword v2, v0, s[0:3], 0 offen offset:4
	buffer_store_dword v4, v0, s[0:3], 0 offen
	buffer_store_dword v3, v0, s[0:3], 0 offen offset:12
	buffer_store_dword v5, v0, s[0:3], 0 offen offset:8
	v_add_u32_e32 v0, 16, v0
	s_cbranch_scc1 .LBB154_78
; %bb.79:                               ;   in Loop: Header=BB154_76 Depth=2
	s_ashr_i32 s11, s10, 31
	s_and_b64 vcc, exec, s[4:5]
	s_cbranch_vccnz .LBB154_81
	s_branch .LBB154_83
.LBB154_80:                             ;   in Loop: Header=BB154_76 Depth=2
	s_mov_b32 s6, 0
	s_ashr_i32 s11, s10, 31
	s_cbranch_execz .LBB154_83
.LBB154_81:                             ;   in Loop: Header=BB154_76 Depth=2
	s_lshl_b64 s[20:21], s[10:11], 3
	s_sub_i32 s4, s28, s6
	s_lshl_b64 s[22:23], s[6:7], 3
	s_sub_u32 s5, s20, s22
	s_subb_u32 s20, s21, s23
	v_mov_b32_e32 v1, s20
	v_add_co_u32_e32 v0, vcc, s5, v8
	s_lshl_b32 s5, s6, 3
	v_addc_co_u32_e32 v1, vcc, v9, v1, vcc
	v_add_u32_e32 v2, s5, v12
.LBB154_82:                             ;   Parent Loop BB154_73 Depth=1
                                        ;     Parent Loop BB154_76 Depth=2
                                        ; =>    This Inner Loop Header: Depth=3
	global_load_dwordx2 v[4:5], v[0:1], off offset:-4
	s_add_i32 s4, s4, -1
	v_add_co_u32_e32 v0, vcc, -8, v0
	v_addc_co_u32_e32 v1, vcc, -1, v1, vcc
	s_cmp_eq_u32 s4, 0
	s_waitcnt vmcnt(0)
	v_mul_f32_e32 v3, s25, v5
	v_mul_f32_e32 v5, s24, v5
	v_fma_f32 v3, v4, s24, -v3
	v_fmac_f32_e32 v5, s25, v4
	buffer_store_dword v3, v2, s[0:3], 0 offen
	buffer_store_dword v5, v2, s[0:3], 0 offen offset:4
	v_add_u32_e32 v2, 8, v2
	s_cbranch_scc0 .LBB154_82
.LBB154_83:                             ;   in Loop: Header=BB154_76 Depth=2
	s_cmp_le_i32 s33, s10
	s_mov_b32 s6, s30
	s_mov_b32 s4, s33
	s_cbranch_scc0 .LBB154_93
.LBB154_84:                             ;   in Loop: Header=BB154_76 Depth=2
	s_mov_b32 s6, 0
	s_mov_b32 s36, s34
	s_branch .LBB154_86
.LBB154_85:                             ;   in Loop: Header=BB154_86 Depth=3
	s_mulk_i32 s20, 0xa8
	v_mov_b32_e32 v2, s20
	ds_read_b64 v[2:3], v2
	s_lshl_b64 s[4:5], s[4:5], 3
	s_lshl_b32 s20, s6, 3
	s_add_i32 s6, s6, 1
	s_add_i32 s36, s36, -8
	s_waitcnt vmcnt(0) lgkmcnt(0)
	v_mul_f32_e32 v4, v3, v1
	v_mul_f32_e32 v5, v2, v1
	v_fma_f32 v4, v2, v0, -v4
	v_fmac_f32_e32 v5, v3, v0
	v_mov_b32_e32 v1, s5
	v_add_co_u32_e32 v0, vcc, s4, v10
	v_add_u32_e32 v6, s20, v12
	v_addc_co_u32_e32 v1, vcc, v11, v1, vcc
	s_cmp_eq_u32 s6, s28
	buffer_store_dword v4, v6, s[0:3], 0 offen
	buffer_store_dword v5, v6, s[0:3], 0 offen offset:4
	global_store_dwordx2 v[0:1], v[4:5], off
	s_cbranch_scc1 .LBB154_75
.LBB154_86:                             ;   Parent Loop BB154_73 Depth=1
                                        ;     Parent Loop BB154_76 Depth=2
                                        ; =>    This Loop Header: Depth=3
                                        ;         Child Loop BB154_88 Depth 4
	s_cmp_lg_u32 s6, 0
	s_cbranch_scc0 .LBB154_90
; %bb.87:                               ;   in Loop: Header=BB154_86 Depth=3
	s_lshl_b32 s4, s6, 3
	v_add_u32_e32 v2, s4, v12
	buffer_load_dword v0, v2, s[0:3], 0 offen
	buffer_load_dword v1, v2, s[0:3], 0 offen offset:4
	v_mov_b32_e32 v3, 0
	s_mov_b32 s4, 0
	s_mov_b32 s5, s36
.LBB154_88:                             ;   Parent Loop BB154_73 Depth=1
                                        ;     Parent Loop BB154_76 Depth=2
                                        ;       Parent Loop BB154_86 Depth=3
                                        ; =>      This Inner Loop Header: Depth=4
	buffer_load_dword v5, v3, s[0:3], 0 offen offset:4
	buffer_load_dword v4, v3, s[0:3], 0 offen
	v_mov_b32_e32 v6, s5
	ds_read_b64 v[6:7], v6
	s_add_i32 s4, s4, 1
	s_addk_i32 s5, 0xff60
	v_add_u32_e32 v3, 8, v3
	s_cmp_ge_u32 s4, s6
	s_waitcnt vmcnt(1)
	v_mov_b32_e32 v14, v5
	s_waitcnt lgkmcnt(0)
	v_pk_mul_f32 v[14:15], v[6:7], v[14:15] op_sel_hi:[1,0]
	s_waitcnt vmcnt(0)
	v_pk_fma_f32 v[16:17], v[6:7], v[4:5], v[14:15] op_sel:[0,0,1] op_sel_hi:[1,1,0] neg_lo:[0,0,1] neg_hi:[0,0,1]
	v_pk_fma_f32 v[4:5], v[6:7], v[4:5], v[14:15] op_sel:[0,0,1] op_sel_hi:[1,0,0]
	v_mov_b32_e32 v17, v5
	v_pk_add_f32 v[0:1], v[0:1], v[16:17] neg_lo:[0,1] neg_hi:[0,1]
	buffer_store_dword v0, v2, s[0:3], 0 offen
	buffer_store_dword v1, v2, s[0:3], 0 offen offset:4
	s_cbranch_scc0 .LBB154_88
; %bb.89:                               ;   in Loop: Header=BB154_86 Depth=3
	s_sub_i32 s20, s10, s6
	s_ashr_i32 s21, s20, 31
	s_mov_b64 s[4:5], s[20:21]
	s_branch .LBB154_85
.LBB154_90:                             ;   in Loop: Header=BB154_86 Depth=3
                                        ; implicit-def: $vgpr0
                                        ; implicit-def: $sgpr20
                                        ; implicit-def: $sgpr4_sgpr5
	s_cbranch_execz .LBB154_85
; %bb.91:                               ;   in Loop: Header=BB154_86 Depth=3
	buffer_load_dword v0, off, s[0:3], 0
	buffer_load_dword v1, off, s[0:3], 0 offset:4
	s_mov_b64 s[4:5], s[10:11]
	s_mov_b32 s20, s10
	s_branch .LBB154_85
.LBB154_92:                             ;   in Loop: Header=BB154_93 Depth=3
	s_add_i32 s4, s4, -1
	s_addk_i32 s6, 0xff60
	s_cmp_le_i32 s4, s10
	s_cbranch_scc1 .LBB154_84
.LBB154_93:                             ;   Parent Loop BB154_73 Depth=1
                                        ;     Parent Loop BB154_76 Depth=2
                                        ; =>    This Loop Header: Depth=3
                                        ;         Child Loop BB154_95 Depth 4
                                        ;         Child Loop BB154_101 Depth 4
	s_ashr_i32 s5, s4, 31
	s_lshl_b64 s[20:21], s[4:5], 3
	s_waitcnt vmcnt(0)
	v_mov_b32_e32 v1, s21
	v_add_co_u32_e32 v0, vcc, s20, v10
	v_addc_co_u32_e32 v1, vcc, v11, v1, vcc
	global_load_dwordx2 v[0:1], v[0:1], off
	s_and_b64 vcc, exec, s[16:17]
	s_cbranch_vccz .LBB154_97
; %bb.94:                               ;   in Loop: Header=BB154_93 Depth=3
	s_mul_i32 s5, s4, 20
	s_add_i32 s5, s5, s10
	s_mov_b32 s20, s5
	s_waitcnt vmcnt(0)
	v_mov_b32_e32 v4, v0
	v_mov_b32_e32 v5, v0
	;; [unrolled: 1-line block ×6, first 2 shown]
	s_mov_b32 s21, 1
	s_mov_b32 s22, 0
	s_mov_b32 s23, s29
.LBB154_95:                             ;   Parent Loop BB154_73 Depth=1
                                        ;     Parent Loop BB154_76 Depth=2
                                        ;       Parent Loop BB154_93 Depth=3
                                        ; =>      This Inner Loop Header: Depth=4
	buffer_load_dword v14, v3, s[0:3], 0 offen
	buffer_load_dword v16, v3, s[0:3], 0 offen offset:4
	buffer_load_dword v15, v3, s[0:3], 0 offen offset:8
	;; [unrolled: 1-line block ×3, first 2 shown]
	s_sub_i32 s36, s20, s21
	s_sub_i32 s37, s5, s22
	s_lshl_b32 s37, s37, 3
	s_lshl_b32 s36, s36, 3
	v_mov_b32_e32 v13, s37
	v_mov_b32_e32 v20, s36
	ds_read_b64 v[18:19], v13
	ds_read_b64 v[20:21], v20
	s_add_i32 s22, s22, 2
	s_add_i32 s21, s21, 2
	s_add_i32 s23, s23, -2
	s_waitcnt lgkmcnt(1)
	v_mov_b32_e32 v22, v18
	s_waitcnt lgkmcnt(0)
	v_mov_b32_e32 v23, v20
	v_mov_b32_e32 v20, v19
	v_pk_mul_f32 v[18:19], v[20:21], v[6:7]
	v_pk_mul_f32 v[20:21], v[20:21], v[4:5]
	v_pk_fma_f32 v[18:19], v[22:23], v[4:5], v[18:19] neg_lo:[0,0,1] neg_hi:[0,0,1]
	v_pk_fma_f32 v[20:21], v[22:23], v[6:7], v[20:21]
	s_cmp_lg_u32 s23, 0
	s_waitcnt vmcnt(1)
	v_pk_add_f32 v[14:15], v[14:15], v[18:19] neg_lo:[0,1] neg_hi:[0,1]
	s_waitcnt vmcnt(0)
	v_pk_add_f32 v[16:17], v[16:17], v[20:21] neg_lo:[0,1] neg_hi:[0,1]
	buffer_store_dword v14, v3, s[0:3], 0 offen
	buffer_store_dword v16, v3, s[0:3], 0 offen offset:4
	buffer_store_dword v15, v3, s[0:3], 0 offen offset:8
	;; [unrolled: 1-line block ×3, first 2 shown]
	v_add_u32_e32 v3, 16, v3
	s_cbranch_scc1 .LBB154_95
; %bb.96:                               ;   in Loop: Header=BB154_93 Depth=3
	s_mov_b64 s[20:21], s[18:19]
	s_mov_b32 s22, s29
	s_branch .LBB154_99
.LBB154_97:                             ;   in Loop: Header=BB154_93 Depth=3
	s_mov_b64 s[20:21], 0
                                        ; implicit-def: $vgpr2_vgpr3
	s_mov_b32 s22, s29
	s_cbranch_execz .LBB154_99
; %bb.98:                               ;   in Loop: Header=BB154_93 Depth=3
	s_waitcnt vmcnt(0)
	v_mov_b32_e32 v2, v1
	s_mov_b64 s[20:21], -1
	s_mov_b32 s22, 0
.LBB154_99:                             ;   in Loop: Header=BB154_93 Depth=3
	s_andn2_b64 vcc, exec, s[20:21]
	s_cbranch_vccnz .LBB154_92
; %bb.100:                              ;   in Loop: Header=BB154_93 Depth=3
	s_lshl_b32 s21, s22, 3
	s_waitcnt vmcnt(0)
	v_mov_b32_e32 v3, v1
	v_mov_b32_e32 v1, v0
	s_sub_i32 s5, s6, s21
	s_sub_i32 s20, s28, s22
	v_add_u32_e32 v4, s21, v12
.LBB154_101:                            ;   Parent Loop BB154_73 Depth=1
                                        ;     Parent Loop BB154_76 Depth=2
                                        ;       Parent Loop BB154_93 Depth=3
                                        ; =>      This Inner Loop Header: Depth=4
	buffer_load_dword v6, v4, s[0:3], 0 offen
	buffer_load_dword v7, v4, s[0:3], 0 offen offset:4
	v_mov_b32_e32 v5, s5
	ds_read_b64 v[14:15], v5
	s_add_i32 s5, s5, -8
	s_add_i32 s20, s20, -1
	s_cmp_eq_u32 s20, 0
	s_waitcnt lgkmcnt(0)
	v_pk_mul_f32 v[16:17], v[14:15], v[2:3]
	v_pk_fma_f32 v[18:19], v[14:15], v[0:1], v[16:17] op_sel:[0,0,1] op_sel_hi:[1,1,0] neg_lo:[0,0,1] neg_hi:[0,0,1]
	v_pk_fma_f32 v[14:15], v[14:15], v[0:1], v[16:17] op_sel:[0,0,1] op_sel_hi:[1,1,0]
	v_mov_b32_e32 v19, v15
	s_waitcnt vmcnt(0)
	v_pk_add_f32 v[6:7], v[6:7], v[18:19] neg_lo:[0,1] neg_hi:[0,1]
	buffer_store_dword v6, v4, s[0:3], 0 offen
	buffer_store_dword v7, v4, s[0:3], 0 offen offset:4
	v_add_u32_e32 v4, 8, v4
	s_cbranch_scc0 .LBB154_101
	s_branch .LBB154_92
.LBB154_102:
	s_endpgm
	.section	.rodata,"a",@progbits
	.p2align	6, 0x0
	.amdhsa_kernel _ZL30rocblas_trsm_small_left_deviceILi20ELi20ELb0E19rocblas_complex_numIfES1_PKS1_PS1_Ev13rocblas_fill_18rocblas_operation_17rocblas_diagonal_iiT3_T4_lilT5_lili
		.amdhsa_group_segment_fixed_size 3200
		.amdhsa_private_segment_fixed_size 176
		.amdhsa_kernarg_size 360
		.amdhsa_user_sgpr_count 8
		.amdhsa_user_sgpr_private_segment_buffer 1
		.amdhsa_user_sgpr_dispatch_ptr 0
		.amdhsa_user_sgpr_queue_ptr 0
		.amdhsa_user_sgpr_kernarg_segment_ptr 1
		.amdhsa_user_sgpr_dispatch_id 0
		.amdhsa_user_sgpr_flat_scratch_init 1
		.amdhsa_user_sgpr_kernarg_preload_length 0
		.amdhsa_user_sgpr_kernarg_preload_offset 0
		.amdhsa_user_sgpr_private_segment_size 0
		.amdhsa_uses_dynamic_stack 0
		.amdhsa_system_sgpr_private_segment_wavefront_offset 1
		.amdhsa_system_sgpr_workgroup_id_x 1
		.amdhsa_system_sgpr_workgroup_id_y 0
		.amdhsa_system_sgpr_workgroup_id_z 1
		.amdhsa_system_sgpr_workgroup_info 0
		.amdhsa_system_vgpr_workitem_id 0
		.amdhsa_next_free_vgpr 26
		.amdhsa_next_free_sgpr 46
		.amdhsa_accum_offset 28
		.amdhsa_reserve_vcc 1
		.amdhsa_reserve_flat_scratch 0
		.amdhsa_float_round_mode_32 0
		.amdhsa_float_round_mode_16_64 0
		.amdhsa_float_denorm_mode_32 3
		.amdhsa_float_denorm_mode_16_64 3
		.amdhsa_dx10_clamp 1
		.amdhsa_ieee_mode 1
		.amdhsa_fp16_overflow 0
		.amdhsa_tg_split 0
		.amdhsa_exception_fp_ieee_invalid_op 0
		.amdhsa_exception_fp_denorm_src 0
		.amdhsa_exception_fp_ieee_div_zero 0
		.amdhsa_exception_fp_ieee_overflow 0
		.amdhsa_exception_fp_ieee_underflow 0
		.amdhsa_exception_fp_ieee_inexact 0
		.amdhsa_exception_int_div_zero 0
	.end_amdhsa_kernel
	.section	.text._ZL30rocblas_trsm_small_left_deviceILi20ELi20ELb0E19rocblas_complex_numIfES1_PKS1_PS1_Ev13rocblas_fill_18rocblas_operation_17rocblas_diagonal_iiT3_T4_lilT5_lili,"axG",@progbits,_ZL30rocblas_trsm_small_left_deviceILi20ELi20ELb0E19rocblas_complex_numIfES1_PKS1_PS1_Ev13rocblas_fill_18rocblas_operation_17rocblas_diagonal_iiT3_T4_lilT5_lili,comdat
.Lfunc_end154:
	.size	_ZL30rocblas_trsm_small_left_deviceILi20ELi20ELb0E19rocblas_complex_numIfES1_PKS1_PS1_Ev13rocblas_fill_18rocblas_operation_17rocblas_diagonal_iiT3_T4_lilT5_lili, .Lfunc_end154-_ZL30rocblas_trsm_small_left_deviceILi20ELi20ELb0E19rocblas_complex_numIfES1_PKS1_PS1_Ev13rocblas_fill_18rocblas_operation_17rocblas_diagonal_iiT3_T4_lilT5_lili
                                        ; -- End function
	.section	.AMDGPU.csdata,"",@progbits
; Kernel info:
; codeLenInByte = 4352
; NumSgprs: 50
; NumVgprs: 26
; NumAgprs: 0
; TotalNumVgprs: 26
; ScratchSize: 176
; MemoryBound: 0
; FloatMode: 240
; IeeeMode: 1
; LDSByteSize: 3200 bytes/workgroup (compile time only)
; SGPRBlocks: 6
; VGPRBlocks: 3
; NumSGPRsForWavesPerEU: 50
; NumVGPRsForWavesPerEU: 26
; AccumOffset: 28
; Occupancy: 5
; WaveLimiterHint : 0
; COMPUTE_PGM_RSRC2:SCRATCH_EN: 1
; COMPUTE_PGM_RSRC2:USER_SGPR: 8
; COMPUTE_PGM_RSRC2:TRAP_HANDLER: 0
; COMPUTE_PGM_RSRC2:TGID_X_EN: 1
; COMPUTE_PGM_RSRC2:TGID_Y_EN: 0
; COMPUTE_PGM_RSRC2:TGID_Z_EN: 1
; COMPUTE_PGM_RSRC2:TIDIG_COMP_CNT: 0
; COMPUTE_PGM_RSRC3_GFX90A:ACCUM_OFFSET: 6
; COMPUTE_PGM_RSRC3_GFX90A:TG_SPLIT: 0
	.section	.text._ZL38rocblas_trsm_small_left_device_sharedBILi20ELi20ELb1E19rocblas_complex_numIfES1_PKS1_PS1_Ev13rocblas_fill_18rocblas_operation_17rocblas_diagonal_iiT3_T4_lilT5_lili,"axG",@progbits,_ZL38rocblas_trsm_small_left_device_sharedBILi20ELi20ELb1E19rocblas_complex_numIfES1_PKS1_PS1_Ev13rocblas_fill_18rocblas_operation_17rocblas_diagonal_iiT3_T4_lilT5_lili,comdat
	.globl	_ZL38rocblas_trsm_small_left_device_sharedBILi20ELi20ELb1E19rocblas_complex_numIfES1_PKS1_PS1_Ev13rocblas_fill_18rocblas_operation_17rocblas_diagonal_iiT3_T4_lilT5_lili ; -- Begin function _ZL38rocblas_trsm_small_left_device_sharedBILi20ELi20ELb1E19rocblas_complex_numIfES1_PKS1_PS1_Ev13rocblas_fill_18rocblas_operation_17rocblas_diagonal_iiT3_T4_lilT5_lili
	.p2align	8
	.type	_ZL38rocblas_trsm_small_left_device_sharedBILi20ELi20ELb1E19rocblas_complex_numIfES1_PKS1_PS1_Ev13rocblas_fill_18rocblas_operation_17rocblas_diagonal_iiT3_T4_lilT5_lili,@function
_ZL38rocblas_trsm_small_left_device_sharedBILi20ELi20ELb1E19rocblas_complex_numIfES1_PKS1_PS1_Ev13rocblas_fill_18rocblas_operation_17rocblas_diagonal_iiT3_T4_lilT5_lili: ; @_ZL38rocblas_trsm_small_left_device_sharedBILi20ELi20ELb1E19rocblas_complex_numIfES1_PKS1_PS1_Ev13rocblas_fill_18rocblas_operation_17rocblas_diagonal_iiT3_T4_lilT5_lili
; %bb.0:
	s_add_u32 s0, s0, s10
	s_load_dwordx4 s[20:23], s[4:5], 0x4
	s_load_dwordx2 s[30:31], s[4:5], 0x14
	s_load_dwordx4 s[16:19], s[4:5], 0x38
	s_load_dwordx2 s[24:25], s[4:5], 0x48
	s_load_dword s42, s[4:5], 0x68
	s_addc_u32 s1, s1, 0
	s_waitcnt lgkmcnt(0)
	s_min_i32 s33, s22, 20
	s_mov_b32 s43, 0
	s_add_i32 s45, s33, -1
	v_cmp_gt_i32_e32 vcc, s33, v0
	s_and_saveexec_b64 s[26:27], vcc
	s_cbranch_execz .LBB155_35
; %bb.1:
	s_load_dword s28, s[4:5], 0x30
	s_load_dwordx4 s[12:15], s[4:5], 0x20
	s_mul_i32 s6, s9, s17
	s_mul_hi_u32 s7, s9, s16
	s_mul_i32 s16, s9, s16
	s_waitcnt lgkmcnt(0)
	s_ashr_i32 s29, s28, 31
	s_cmpk_lg_i32 s20, 0x71
	s_cselect_b64 s[34:35], -1, 0
	s_add_i32 s17, s7, s6
	v_cndmask_b32_e64 v1, 0, 1, s[34:35]
	s_cmp_lt_u32 s45, 3
	v_cmp_ne_u32_e64 s[6:7], 1, v1
	s_cbranch_scc1 .LBB155_20
; %bb.2:
	s_lshl_b64 s[10:11], s[16:17], 3
	s_add_u32 s36, s12, s10
	s_addc_u32 s37, s13, s11
	s_lshl_b64 s[10:11], s[14:15], 3
	s_add_u32 s10, s36, s10
	s_addc_u32 s11, s37, s11
	v_lshlrev_b32_e32 v1, 3, v0
	v_mov_b32_e32 v3, s11
	v_add_co_u32_e32 v2, vcc, s10, v1
	s_mul_hi_i32 s10, s28, 24
	s_lshl_b64 s[36:37], s[28:29], 5
	s_lshl_b64 s[38:39], s[28:29], 4
	;; [unrolled: 1-line block ×3, first 2 shown]
	v_addc_co_u32_e32 v3, vcc, 0, v3, vcc
	s_and_b32 s43, s33, -4
	s_mul_i32 s44, s28, 24
	s_mov_b32 s46, 0
	v_mov_b32_e32 v8, s41
	v_mov_b32_e32 v9, s39
	;; [unrolled: 1-line block ×4, first 2 shown]
	s_branch .LBB155_4
.LBB155_3:                              ;   in Loop: Header=BB155_4 Depth=1
	global_load_dword v4, v[6:7], off
	s_add_i32 s46, s46, 4
	v_add_co_u32_e32 v2, vcc, s36, v2
	v_addc_co_u32_e32 v3, vcc, v3, v11, vcc
	s_cmp_eq_u32 s43, s46
	s_waitcnt vmcnt(0)
	ds_write_b64 v1, v[4:5] offset:480
	v_add_u32_e32 v1, 0x280, v1
	s_cbranch_scc1 .LBB155_20
.LBB155_4:                              ; =>This Inner Loop Header: Depth=1
	s_and_b64 vcc, exec, s[34:35]
	s_cbranch_vccz .LBB155_6
; %bb.5:                                ;   in Loop: Header=BB155_4 Depth=1
	global_load_dword v5, v[2:3], off offset:4
	s_cbranch_execz .LBB155_7
	s_branch .LBB155_8
.LBB155_6:                              ;   in Loop: Header=BB155_4 Depth=1
                                        ; implicit-def: $vgpr5
.LBB155_7:                              ;   in Loop: Header=BB155_4 Depth=1
	global_load_dword v4, v[2:3], off offset:4
	s_waitcnt vmcnt(0)
	v_xor_b32_e32 v5, 0x80000000, v4
.LBB155_8:                              ;   in Loop: Header=BB155_4 Depth=1
	global_load_dword v4, v[2:3], off
	v_add_co_u32_e64 v6, s[10:11], s40, v2
	s_and_b64 vcc, exec, s[6:7]
	v_addc_co_u32_e64 v7, s[10:11], v3, v8, s[10:11]
	s_waitcnt vmcnt(0)
	ds_write_b64 v1, v[4:5]
	s_cbranch_vccnz .LBB155_10
; %bb.9:                                ;   in Loop: Header=BB155_4 Depth=1
	global_load_dword v5, v[6:7], off offset:4
	s_cbranch_execz .LBB155_11
	s_branch .LBB155_12
.LBB155_10:                             ;   in Loop: Header=BB155_4 Depth=1
                                        ; implicit-def: $vgpr5
.LBB155_11:                             ;   in Loop: Header=BB155_4 Depth=1
	global_load_dword v4, v[6:7], off offset:4
	s_waitcnt vmcnt(0)
	v_xor_b32_e32 v5, 0x80000000, v4
.LBB155_12:                             ;   in Loop: Header=BB155_4 Depth=1
	global_load_dword v4, v[6:7], off
	v_add_co_u32_e64 v6, s[10:11], s38, v2
	s_and_b64 vcc, exec, s[6:7]
	v_addc_co_u32_e64 v7, s[10:11], v3, v9, s[10:11]
	s_waitcnt vmcnt(0)
	ds_write_b64 v1, v[4:5] offset:160
	s_cbranch_vccnz .LBB155_14
; %bb.13:                               ;   in Loop: Header=BB155_4 Depth=1
	global_load_dword v5, v[6:7], off offset:4
	s_cbranch_execz .LBB155_15
	s_branch .LBB155_16
.LBB155_14:                             ;   in Loop: Header=BB155_4 Depth=1
                                        ; implicit-def: $vgpr5
.LBB155_15:                             ;   in Loop: Header=BB155_4 Depth=1
	global_load_dword v4, v[6:7], off offset:4
	s_waitcnt vmcnt(0)
	v_xor_b32_e32 v5, 0x80000000, v4
.LBB155_16:                             ;   in Loop: Header=BB155_4 Depth=1
	global_load_dword v4, v[6:7], off
	v_add_co_u32_e64 v6, s[10:11], s44, v2
	s_and_b64 vcc, exec, s[6:7]
	v_addc_co_u32_e64 v7, s[10:11], v3, v10, s[10:11]
	s_waitcnt vmcnt(0)
	ds_write_b64 v1, v[4:5] offset:320
	s_cbranch_vccnz .LBB155_18
; %bb.17:                               ;   in Loop: Header=BB155_4 Depth=1
	global_load_dword v5, v[6:7], off offset:4
	s_cbranch_execnz .LBB155_3
	s_branch .LBB155_19
.LBB155_18:                             ;   in Loop: Header=BB155_4 Depth=1
                                        ; implicit-def: $vgpr5
.LBB155_19:                             ;   in Loop: Header=BB155_4 Depth=1
	global_load_dword v4, v[6:7], off offset:4
	s_waitcnt vmcnt(0)
	v_xor_b32_e32 v5, 0x80000000, v4
	s_branch .LBB155_3
.LBB155_20:
	s_and_b32 s34, s33, 3
	s_cmp_eq_u32 s34, 0
	s_cbranch_scc1 .LBB155_27
; %bb.21:
	s_mul_i32 s10, s43, 0xa0
	v_lshl_add_u32 v1, v0, 3, s10
	s_lshl_b64 s[10:11], s[16:17], 3
	s_mul_i32 s16, s29, s43
	s_mul_hi_u32 s17, s28, s43
	s_add_i32 s17, s17, s16
	s_mul_i32 s16, s28, s43
	s_lshl_b64 s[16:17], s[16:17], 3
	s_add_u32 s16, s10, s16
	s_addc_u32 s17, s11, s17
	s_lshl_b64 s[10:11], s[14:15], 3
	s_add_u32 s10, s16, s10
	s_addc_u32 s11, s17, s11
	s_add_u32 s10, s12, s10
	v_lshlrev_b32_e32 v2, 3, v0
	s_addc_u32 s11, s13, s11
	v_mov_b32_e32 v3, s11
	v_add_co_u32_e32 v2, vcc, s10, v2
	v_addc_co_u32_e32 v3, vcc, 0, v3, vcc
	v_add_co_u32_e32 v2, vcc, 4, v2
	s_lshl_b64 s[10:11], s[28:29], 3
	v_addc_co_u32_e32 v3, vcc, 0, v3, vcc
	v_mov_b32_e32 v6, s11
	s_branch .LBB155_23
.LBB155_22:                             ;   in Loop: Header=BB155_23 Depth=1
	global_load_dword v4, v[2:3], off offset:-4
	s_add_i32 s34, s34, -1
	v_add_co_u32_e32 v2, vcc, s10, v2
	s_cmp_lg_u32 s34, 0
	v_addc_co_u32_e32 v3, vcc, v3, v6, vcc
	s_waitcnt vmcnt(0)
	ds_write_b64 v1, v[4:5]
	v_add_u32_e32 v1, 0xa0, v1
	s_cbranch_scc0 .LBB155_27
.LBB155_23:                             ; =>This Inner Loop Header: Depth=1
	s_and_b64 vcc, exec, s[6:7]
	s_cbranch_vccnz .LBB155_25
; %bb.24:                               ;   in Loop: Header=BB155_23 Depth=1
	global_load_dword v5, v[2:3], off
	s_cbranch_execnz .LBB155_22
	s_branch .LBB155_26
.LBB155_25:                             ;   in Loop: Header=BB155_23 Depth=1
                                        ; implicit-def: $vgpr5
.LBB155_26:                             ;   in Loop: Header=BB155_23 Depth=1
	global_load_dword v4, v[2:3], off
	s_waitcnt vmcnt(0)
	v_xor_b32_e32 v5, 0x80000000, v4
	s_branch .LBB155_22
.LBB155_27:
	v_mul_u32_u24_e32 v1, 21, v0
	s_cmpk_lg_i32 s21, 0x84
	v_lshlrev_b32_e32 v1, 3, v1
	s_mov_b64 s[6:7], -1
	s_cbranch_scc0 .LBB155_33
; %bb.28:
	ds_read_b64 v[2:3], v1
	s_mov_b32 s6, 0
	s_waitcnt lgkmcnt(0)
	v_cmp_gt_f32_e32 vcc, 0, v3
	v_cndmask_b32_e64 v4, v3, -v3, vcc
	v_cmp_gt_f32_e32 vcc, 0, v2
	v_cndmask_b32_e64 v5, v2, -v2, vcc
	v_cmp_ngt_f32_e32 vcc, v5, v4
                                        ; implicit-def: $vgpr4_vgpr5
	s_and_saveexec_b64 s[10:11], vcc
	s_xor_b64 s[10:11], exec, s[10:11]
	s_cbranch_execz .LBB155_30
; %bb.29:
	v_div_scale_f32 v4, s[12:13], v3, v3, v2
	v_rcp_f32_e32 v5, v4
	v_div_scale_f32 v6, vcc, v2, v3, v2
	s_mov_b32 s7, -1.0
	v_fma_f32 v7, -v4, v5, 1.0
	v_fmac_f32_e32 v5, v7, v5
	v_mul_f32_e32 v7, v6, v5
	v_fma_f32 v8, -v4, v7, v6
	v_fmac_f32_e32 v7, v8, v5
	v_fma_f32 v4, -v4, v7, v6
	v_div_fmas_f32 v4, v4, v5, v7
	v_div_fixup_f32 v4, v4, v3, v2
	v_fmac_f32_e32 v3, v2, v4
	v_div_scale_f32 v2, s[12:13], v3, v3, 1.0
	v_rcp_f32_e32 v5, v2
	v_fma_f32 v6, -v2, v5, 1.0
	v_fmac_f32_e32 v5, v6, v5
	v_div_scale_f32 v6, vcc, 1.0, v3, 1.0
	v_mul_f32_e32 v7, v6, v5
	v_fma_f32 v8, -v2, v7, v6
	v_fmac_f32_e32 v7, v8, v5
	v_fma_f32 v2, -v2, v7, v6
	v_div_fmas_f32 v2, v2, v5, v7
	v_mul_f32_e32 v5, 0, v4
	v_div_fixup_f32 v2, v2, v3, 1.0
	v_pk_add_f32 v[4:5], v[4:5], s[6:7]
	v_pk_mul_f32 v[4:5], v[4:5], v[2:3] op_sel_hi:[1,0]
                                        ; implicit-def: $vgpr2_vgpr3
.LBB155_30:
	s_andn2_saveexec_b64 s[6:7], s[10:11]
	s_cbranch_execz .LBB155_32
; %bb.31:
	v_div_scale_f32 v4, s[10:11], v2, v2, v3
	v_rcp_f32_e32 v5, v4
	v_div_scale_f32 v6, vcc, v3, v2, v3
	v_fma_f32 v7, -v4, v5, 1.0
	v_fmac_f32_e32 v5, v7, v5
	v_mul_f32_e32 v7, v6, v5
	v_fma_f32 v8, -v4, v7, v6
	v_fmac_f32_e32 v7, v8, v5
	v_fma_f32 v4, -v4, v7, v6
	v_div_fmas_f32 v4, v4, v5, v7
	v_div_fixup_f32 v5, v4, v2, v3
	v_fmac_f32_e32 v2, v3, v5
	v_div_scale_f32 v3, s[10:11], v2, v2, 1.0
	v_rcp_f32_e32 v4, v3
	s_mov_b32 s10, 1.0
	s_mov_b32 s11, 0
	v_fma_f32 v6, -v3, v4, 1.0
	v_fmac_f32_e32 v4, v6, v4
	v_div_scale_f32 v6, vcc, 1.0, v2, 1.0
	v_mul_f32_e32 v7, v6, v4
	v_fma_f32 v8, -v3, v7, v6
	v_fmac_f32_e32 v7, v8, v4
	v_fma_f32 v3, -v3, v7, v6
	v_div_fmas_f32 v3, v3, v4, v7
	v_mul_f32_e32 v4, 0, v5
	v_pk_add_f32 v[6:7], v[4:5], s[10:11]
	v_pk_add_f32 v[4:5], v[4:5], s[10:11] neg_lo:[1,0] neg_hi:[1,0]
	v_div_fixup_f32 v2, v3, v2, 1.0
	v_mov_b32_e32 v7, v5
	v_pk_mul_f32 v[4:5], v[6:7], v[2:3] op_sel_hi:[1,0]
.LBB155_32:
	s_or_b64 exec, exec, s[6:7]
	s_mov_b64 s[6:7], 0
	ds_write_b64 v1, v[4:5]
.LBB155_33:
	s_and_b64 vcc, exec, s[6:7]
	s_cbranch_vccz .LBB155_35
; %bb.34:
	v_mov_b32_e32 v2, 1.0
	v_mov_b32_e32 v3, 0
	ds_write_b64 v1, v[2:3]
.LBB155_35:
	s_or_b64 exec, exec, s[26:27]
	s_load_dword s21, s[4:5], 0x50
	s_load_dwordx2 s[6:7], s[4:5], 0x58
	s_mul_i32 s26, s8, 20
	s_waitcnt lgkmcnt(0)
	s_ashr_i32 s44, s21, 31
	s_mul_i32 s5, s9, s7
	s_mul_hi_u32 s7, s9, s6
	s_mul_i32 s4, s9, s6
	s_add_i32 s5, s7, s5
	s_lshl_b64 s[16:17], s[4:5], 3
	s_add_u32 s4, s18, s16
	s_addc_u32 s5, s19, s17
	s_lshl_b64 s[24:25], s[24:25], 3
	s_add_u32 s6, s4, s24
	s_mul_i32 s4, s8, 0xffffffec
	s_addc_u32 s7, s5, s25
	s_add_i32 s42, s42, -1
	s_add_i32 s4, s4, s23
	s_cmp_ge_u32 s8, s42
	s_cselect_b32 s9, s4, 20
	s_mul_hi_i32 s5, s21, s26
	s_mul_i32 s4, s21, s26
	s_ashr_i32 s27, s26, 31
	s_lshl_b64 s[4:5], s[4:5], 3
	s_add_u32 s23, s6, s4
	s_addc_u32 s46, s7, s5
	s_cmp_gt_i32 s22, 0
	v_cmp_gt_i32_e32 vcc, s9, v0
	s_cselect_b64 s[4:5], -1, 0
	s_mov_b32 s6, 0
	s_and_b64 s[28:29], vcc, s[4:5]
	s_and_saveexec_b64 s[34:35], s[28:29]
	s_cbranch_execz .LBB155_48
; %bb.36:
	s_cmp_lt_i32 s22, 2
	s_mov_b64 s[4:5], -1
	s_cbranch_scc1 .LBB155_45
; %bb.37:
	v_mad_i64_i32 v[2:3], s[4:5], s21, v0, 0
	s_add_i32 s5, s33, -2
	v_lshlrev_b64 v[2:3], 3, v[2:3]
	s_lshr_b32 s47, s5, 1
	v_mov_b32_e32 v4, s46
	v_add_co_u32_e32 v1, vcc, s23, v2
	s_mov_b32 s40, 1
	s_add_i32 s47, s47, 1
	s_mov_b32 s43, 0
	v_addc_co_u32_e32 v2, vcc, v4, v3, vcc
	s_mov_b32 s36, s30
	s_mov_b32 s37, s30
	;; [unrolled: 1-line block ×5, first 2 shown]
	s_cmp_lt_u32 s5, 6
	s_mov_b32 s5, s40
	s_cbranch_scc1 .LBB155_41
; %bb.38:
	s_and_b32 s48, s47, -4
	s_mov_b32 s42, s43
.LBB155_39:                             ; =>This Inner Loop Header: Depth=1
	s_lshl_b64 s[4:5], s[42:43], 3
	s_mov_b32 s41, s43
	s_add_i32 s6, s40, 2
	s_add_i32 s8, s42, 2
	s_mov_b32 s9, s43
	s_mov_b32 s7, s43
	s_add_i32 s10, s40, 4
	s_add_i32 s12, s42, 4
	s_mov_b32 s13, s43
	;; [unrolled: 4-line block ×3, first 2 shown]
	s_mov_b32 s15, s43
	v_mov_b32_e32 v3, s5
	v_add_co_u32_e32 v4, vcc, s4, v1
	s_lshl_b64 s[52:53], s[40:41], 3
	s_lshl_b64 s[8:9], s[8:9], 3
	;; [unrolled: 1-line block ×7, first 2 shown]
	v_addc_co_u32_e32 v5, vcc, v2, v3, vcc
	v_mov_b32_e32 v3, s53
	v_mov_b32_e32 v7, s9
	v_add_co_u32_e32 v6, vcc, s8, v1
	v_mov_b32_e32 v9, s7
	v_add_co_u32_e64 v8, s[4:5], s6, v1
	v_mov_b32_e32 v11, s13
	v_add_co_u32_e64 v10, s[6:7], s12, v1
	;; [unrolled: 2-line block ×5, first 2 shown]
	v_add_co_u32_e64 v18, s[14:15], s52, v1
	v_addc_co_u32_e64 v19, s[14:15], v2, v3, s[14:15]
	v_addc_co_u32_e32 v7, vcc, v2, v7, vcc
	v_addc_co_u32_e64 v9, vcc, v2, v9, s[4:5]
	v_addc_co_u32_e64 v11, vcc, v2, v11, s[6:7]
	;; [unrolled: 1-line block ×5, first 2 shown]
	global_load_dwordx2 v[20:21], v[4:5], off
	global_load_dwordx2 v[22:23], v[18:19], off
	;; [unrolled: 1-line block ×8, first 2 shown]
	s_mul_i32 s4, s40, 20
	s_mul_i32 s5, s42, 20
	s_add_i32 s42, s42, 8
	s_add_i32 s48, s48, -4
	v_add_lshl_u32 v3, s5, v0, 3
	v_add_lshl_u32 v36, s4, v0, 3
	s_add_i32 s6, s4, 40
	s_add_i32 s7, s5, 40
	;; [unrolled: 1-line block ×4, first 2 shown]
	s_addk_i32 s4, 0x78
	s_addk_i32 s5, 0x78
	s_add_i32 s40, s40, 8
	s_cmp_lg_u32 s48, 0
	v_add_lshl_u32 v37, s7, v0, 3
	v_add_lshl_u32 v38, s6, v0, 3
	;; [unrolled: 1-line block ×6, first 2 shown]
	s_waitcnt vmcnt(7)
	v_mov_b32_e32 v4, v20
	s_waitcnt vmcnt(6)
	v_mov_b32_e32 v5, v22
	v_mov_b32_e32 v22, v21
	s_waitcnt vmcnt(4)
	v_mov_b32_e32 v7, v26
	;; [unrolled: 3-line block ×4, first 2 shown]
	v_mov_b32_e32 v34, v33
	v_pk_mul_f32 v[12:13], s[38:39], v[22:23]
	v_pk_mul_f32 v[14:15], s[36:37], v[22:23]
	v_mov_b32_e32 v6, v24
	v_mov_b32_e32 v8, v28
	v_mov_b32_e32 v10, v32
	v_pk_mul_f32 v[16:17], s[38:39], v[26:27]
	v_pk_mul_f32 v[18:19], s[36:37], v[26:27]
	;; [unrolled: 1-line block ×6, first 2 shown]
	v_pk_fma_f32 v[12:13], s[36:37], v[4:5], v[12:13] neg_lo:[0,0,1] neg_hi:[0,0,1]
	v_pk_fma_f32 v[4:5], s[38:39], v[4:5], v[14:15]
	v_pk_fma_f32 v[14:15], s[36:37], v[6:7], v[16:17] neg_lo:[0,0,1] neg_hi:[0,0,1]
	v_pk_fma_f32 v[6:7], s[38:39], v[6:7], v[18:19]
	;; [unrolled: 2-line block ×4, first 2 shown]
	v_mov_b32_e32 v20, v12
	v_mov_b32_e32 v21, v4
	v_mov_b32_e32 v4, v13
	v_mov_b32_e32 v12, v14
	v_mov_b32_e32 v13, v6
	v_mov_b32_e32 v6, v15
	v_mov_b32_e32 v14, v16
	v_mov_b32_e32 v15, v8
	v_mov_b32_e32 v8, v17
	v_mov_b32_e32 v16, v18
	v_mov_b32_e32 v17, v10
	v_mov_b32_e32 v10, v19
	ds_write_b64 v3, v[20:21] offset:3200
	ds_write_b64 v36, v[4:5] offset:3200
	;; [unrolled: 1-line block ×8, first 2 shown]
	s_cbranch_scc1 .LBB155_39
; %bb.40:
	s_mov_b32 s43, s40
	s_mov_b64 s[4:5], s[42:43]
.LBB155_41:
	s_and_b32 s6, s47, 3
	s_cmp_eq_u32 s6, 0
	s_mov_b32 s7, 0
	s_cbranch_scc1 .LBB155_44
; %bb.42:
	s_sub_i32 s6, 0, s6
	v_mov_b32_e32 v3, s6
.LBB155_43:                             ; =>This Inner Loop Header: Depth=1
	s_mov_b32 s6, s4
	s_lshl_b64 s[8:9], s[6:7], 3
	s_mov_b32 s6, s5
	v_mov_b32_e32 v5, s9
	v_add_co_u32_e32 v4, vcc, s8, v1
	s_lshl_b64 s[10:11], s[6:7], 3
	v_addc_co_u32_e32 v5, vcc, v2, v5, vcc
	v_mov_b32_e32 v7, s11
	v_add_co_u32_e32 v6, vcc, s10, v1
	v_addc_co_u32_e32 v7, vcc, v2, v7, vcc
	global_load_dwordx2 v[8:9], v[4:5], off
	global_load_dwordx2 v[10:11], v[6:7], off
	s_mul_i32 s8, s4, 20
	v_add_co_u32_e32 v3, vcc, 1, v3
	s_mul_i32 s6, s5, 20
	s_add_i32 s4, s4, 2
	v_add_lshl_u32 v12, s8, v0, 3
	s_add_i32 s5, s5, 2
	s_andn2_b64 vcc, exec, vcc
	v_add_lshl_u32 v13, s6, v0, 3
	s_waitcnt vmcnt(1)
	v_mov_b32_e32 v4, v8
	s_waitcnt vmcnt(0)
	v_mov_b32_e32 v5, v10
	v_mov_b32_e32 v10, v9
	v_pk_mul_f32 v[6:7], s[38:39], v[10:11]
	v_pk_mul_f32 v[8:9], s[36:37], v[10:11]
	v_pk_fma_f32 v[6:7], s[36:37], v[4:5], v[6:7] neg_lo:[0,0,1] neg_hi:[0,0,1]
	v_pk_fma_f32 v[4:5], s[38:39], v[4:5], v[8:9]
	v_mov_b32_e32 v8, v6
	v_mov_b32_e32 v9, v4
	;; [unrolled: 1-line block ×3, first 2 shown]
	ds_write_b64 v12, v[8:9] offset:3200
	ds_write_b64 v13, v[4:5] offset:3200
	s_cbranch_vccnz .LBB155_43
.LBB155_44:
	s_and_b32 s6, s33, 30
	s_cmp_lg_u32 s33, s6
	s_cselect_b64 s[4:5], -1, 0
.LBB155_45:
	s_and_b64 vcc, exec, s[4:5]
	s_cbranch_vccz .LBB155_48
; %bb.46:
	s_mul_i32 s5, s6, 0xa0
	s_sub_i32 s4, s33, s6
	v_lshl_add_u32 v1, v0, 3, s5
	s_lshl_b64 s[8:9], s[26:27], 3
	s_lshl_b32 s5, s6, 3
	s_add_u32 s5, s18, s5
	s_addc_u32 s6, s19, 0
	s_add_u32 s5, s5, s24
	s_addc_u32 s7, s6, s25
	v_lshlrev_b32_e32 v2, 3, v0
	s_add_u32 s6, s5, s16
	v_mov_b32_e32 v3, s9
	v_add_co_u32_e32 v4, vcc, s8, v2
	s_addc_u32 s7, s7, s17
	v_addc_co_u32_e32 v5, vcc, 0, v3, vcc
	v_pk_mov_b32 v[2:3], s[6:7], s[6:7] op_sel:[0,1]
	v_mad_u64_u32 v[2:3], s[6:7], v4, s21, v[2:3]
	v_mul_lo_u32 v4, v4, s44
	v_mul_lo_u32 v5, v5, s21
	v_add3_u32 v3, v5, v3, v4
	v_add_co_u32_e32 v2, vcc, 4, v2
	v_add_u32_e32 v1, 0xc80, v1
	v_addc_co_u32_e32 v3, vcc, 0, v3, vcc
.LBB155_47:                             ; =>This Inner Loop Header: Depth=1
	global_load_dwordx2 v[4:5], v[2:3], off offset:-4
	s_add_i32 s4, s4, -1
	v_add_co_u32_e32 v2, vcc, 8, v2
	v_addc_co_u32_e32 v3, vcc, 0, v3, vcc
	s_cmp_lg_u32 s4, 0
	s_waitcnt vmcnt(0)
	v_mul_f32_e32 v6, s31, v5
	v_mul_f32_e32 v7, s30, v5
	v_fma_f32 v6, s30, v4, -v6
	v_fmac_f32_e32 v7, s31, v4
	ds_write_b64 v1, v[6:7]
	v_add_u32_e32 v1, 0xa0, v1
	s_cbranch_scc1 .LBB155_47
.LBB155_48:
	s_or_b64 exec, exec, s[34:35]
	s_cmpk_eq_i32 s20, 0x6f
	s_mov_b64 s[4:5], -1
	s_waitcnt lgkmcnt(0)
	; wave barrier
	s_waitcnt lgkmcnt(0)
	s_cbranch_scc1 .LBB155_77
; %bb.49:
	v_mov_b32_e32 v1, 0xc80
	s_lshl_b32 s14, s33, 3
	s_mov_b32 s5, 0
	v_lshl_add_u32 v1, v0, 3, v1
	s_add_i32 s14, s14, -8
	v_mov_b32_e32 v10, 0
	s_mov_b32 s4, s5
	s_mov_b32 s15, s45
	s_branch .LBB155_51
.LBB155_50:                             ;   in Loop: Header=BB155_51 Depth=1
	s_cmp_lt_i32 s15, 0
	s_cselect_b64 s[6:7], -1, 0
	s_add_i32 s4, s4, 1
	s_cmp_eq_u32 s4, 3
	s_cselect_b64 s[8:9], -1, 0
	s_or_b64 s[6:7], s[6:7], s[8:9]
	s_andn2_b64 vcc, exec, s[6:7]
	s_cbranch_vccz .LBB155_76
.LBB155_51:                             ; =>This Loop Header: Depth=1
                                        ;     Child Loop BB155_54 Depth 2
                                        ;       Child Loop BB155_55 Depth 3
                                        ;       Child Loop BB155_59 Depth 3
                                        ;         Child Loop BB155_61 Depth 4
                                        ;         Child Loop BB155_67 Depth 4
                                        ;       Child Loop BB155_70 Depth 3
                                        ;         Child Loop BB155_72 Depth 4
	s_lshl_b64 s[6:7], s[4:5], 2
	s_getpc_b64 s[8:9]
	s_add_u32 s8, s8, __const._ZL38rocblas_trsm_small_left_device_sharedBILi20ELi20ELb1E19rocblas_complex_numIfES1_PKS1_PS1_Ev13rocblas_fill_18rocblas_operation_17rocblas_diagonal_iiT3_T4_lilT5_lili.step_sizes@rel32@lo+4
	s_addc_u32 s9, s9, __const._ZL38rocblas_trsm_small_left_device_sharedBILi20ELi20ELb1E19rocblas_complex_numIfES1_PKS1_PS1_Ev13rocblas_fill_18rocblas_operation_17rocblas_diagonal_iiT3_T4_lilT5_lili.step_sizes@rel32@hi+12
	s_add_u32 s6, s6, s8
	s_addc_u32 s7, s7, s9
	s_load_dword s20, s[6:7], 0x0
	s_waitcnt lgkmcnt(0)
	s_add_i32 s30, s20, -1
	s_cmp_lt_i32 s15, s30
	s_cbranch_scc1 .LBB155_50
; %bb.52:                               ;   in Loop: Header=BB155_51 Depth=1
	s_max_i32 s31, s20, 1
	s_cmp_lg_u32 s4, 2
	s_cselect_b64 s[6:7], -1, 0
	s_and_b32 s34, s31, 0x7ffffffe
	s_cmp_lg_u32 s31, s34
	s_mul_i32 s10, s15, 0xa0
	s_cselect_b64 s[8:9], -1, 0
	v_add_u32_e32 v11, s10, v1
	s_mul_i32 s35, s20, 0xffffff60
	s_add_i32 s36, s14, s10
	s_mul_i32 s37, s15, 0xa8
	s_mul_i32 s38, s20, 0xffffff58
	s_branch .LBB155_54
.LBB155_53:                             ;   in Loop: Header=BB155_54 Depth=2
	s_sub_i32 s15, s15, s20
	s_add_i32 s36, s36, s35
	s_add_i32 s37, s37, s38
	s_cmp_lt_i32 s15, s30
	v_add_u32_e32 v11, s35, v11
	s_cbranch_scc1 .LBB155_50
.LBB155_54:                             ;   Parent Loop BB155_51 Depth=1
                                        ; =>  This Loop Header: Depth=2
                                        ;       Child Loop BB155_55 Depth 3
                                        ;       Child Loop BB155_59 Depth 3
                                        ;         Child Loop BB155_61 Depth 4
                                        ;         Child Loop BB155_67 Depth 4
                                        ;       Child Loop BB155_70 Depth 3
                                        ;         Child Loop BB155_72 Depth 4
	v_mov_b32_e32 v2, 0
	v_mov_b32_e32 v3, v11
	s_mov_b32 s10, s31
.LBB155_55:                             ;   Parent Loop BB155_51 Depth=1
                                        ;     Parent Loop BB155_54 Depth=2
                                        ; =>    This Inner Loop Header: Depth=3
	ds_read_b64 v[4:5], v3
	s_add_i32 s10, s10, -1
	v_add_u32_e32 v3, 0xffffff60, v3
	s_cmp_eq_u32 s10, 0
	s_waitcnt lgkmcnt(0)
	buffer_store_dword v5, v2, s[0:3], 0 offen offset:4
	buffer_store_dword v4, v2, s[0:3], 0 offen
	v_add_u32_e32 v2, 8, v2
	s_cbranch_scc0 .LBB155_55
; %bb.56:                               ;   in Loop: Header=BB155_54 Depth=2
	s_cmp_le_i32 s45, s15
	s_cbranch_scc1 .LBB155_68
; %bb.57:                               ;   in Loop: Header=BB155_54 Depth=2
	s_mov_b32 s39, s15
	s_mov_b32 s40, s36
	;; [unrolled: 1-line block ×3, first 2 shown]
	s_branch .LBB155_59
.LBB155_58:                             ;   in Loop: Header=BB155_59 Depth=3
	s_add_i32 s41, s41, -1
	s_add_i32 s40, s40, -8
	s_cmp_le_i32 s41, s15
	s_cbranch_scc1 .LBB155_68
.LBB155_59:                             ;   Parent Loop BB155_51 Depth=1
                                        ;     Parent Loop BB155_54 Depth=2
                                        ; =>    This Loop Header: Depth=3
                                        ;         Child Loop BB155_61 Depth 4
                                        ;         Child Loop BB155_67 Depth 4
	s_mul_i32 s10, s41, 20
	s_waitcnt lgkmcnt(0)
	v_add_lshl_u32 v2, s10, v0, 3
	ds_read_b64 v[2:3], v2 offset:3200
	s_and_b64 vcc, exec, s[6:7]
	s_cbranch_vccz .LBB155_63
; %bb.60:                               ;   in Loop: Header=BB155_59 Depth=3
	s_mov_b32 s10, s41
	s_waitcnt lgkmcnt(0)
	v_mov_b32_e32 v6, v2
	v_mov_b32_e32 v7, v2
	;; [unrolled: 1-line block ×6, first 2 shown]
	s_mov_b32 s11, 1
	s_mov_b32 s12, 0
	;; [unrolled: 1-line block ×3, first 2 shown]
.LBB155_61:                             ;   Parent Loop BB155_51 Depth=1
                                        ;     Parent Loop BB155_54 Depth=2
                                        ;       Parent Loop BB155_59 Depth=3
                                        ; =>      This Inner Loop Header: Depth=4
	buffer_load_dword v12, v5, s[0:3], 0 offen
	buffer_load_dword v14, v5, s[0:3], 0 offen offset:4
	buffer_load_dword v13, v5, s[0:3], 0 offen offset:8
	;; [unrolled: 1-line block ×3, first 2 shown]
	s_sub_i32 s42, s39, s11
	s_sub_i32 s43, s15, s12
	s_mul_i32 s43, s43, 20
	s_mul_i32 s42, s42, 20
	s_add_i32 s42, s42, s10
	s_add_i32 s43, s43, s41
	s_lshl_b32 s43, s43, 3
	s_lshl_b32 s42, s42, 3
	v_mov_b32_e32 v16, s43
	v_mov_b32_e32 v18, s42
	ds_read_b64 v[16:17], v16
	ds_read_b64 v[18:19], v18
	s_add_i32 s12, s12, 2
	s_add_i32 s11, s11, 2
	s_add_i32 s13, s13, -2
	s_waitcnt lgkmcnt(1)
	v_mov_b32_e32 v20, v16
	s_waitcnt lgkmcnt(0)
	v_mov_b32_e32 v21, v18
	v_mov_b32_e32 v18, v17
	v_pk_mul_f32 v[16:17], v[18:19], v[8:9]
	v_pk_mul_f32 v[18:19], v[18:19], v[6:7]
	v_pk_fma_f32 v[16:17], v[20:21], v[6:7], v[16:17] neg_lo:[0,0,1] neg_hi:[0,0,1]
	v_pk_fma_f32 v[18:19], v[20:21], v[8:9], v[18:19]
	s_cmp_lg_u32 s13, 0
	s_waitcnt vmcnt(1)
	v_pk_add_f32 v[12:13], v[12:13], v[16:17] neg_lo:[0,1] neg_hi:[0,1]
	s_waitcnt vmcnt(0)
	v_pk_add_f32 v[14:15], v[14:15], v[18:19] neg_lo:[0,1] neg_hi:[0,1]
	buffer_store_dword v12, v5, s[0:3], 0 offen
	buffer_store_dword v14, v5, s[0:3], 0 offen offset:4
	buffer_store_dword v13, v5, s[0:3], 0 offen offset:8
	;; [unrolled: 1-line block ×3, first 2 shown]
	v_add_u32_e32 v5, 16, v5
	s_cbranch_scc1 .LBB155_61
; %bb.62:                               ;   in Loop: Header=BB155_59 Depth=3
	s_mov_b64 s[10:11], s[8:9]
	s_mov_b32 s12, s34
	s_branch .LBB155_65
.LBB155_63:                             ;   in Loop: Header=BB155_59 Depth=3
	s_mov_b64 s[10:11], 0
                                        ; implicit-def: $vgpr4_vgpr5
	s_mov_b32 s12, s34
	s_cbranch_execz .LBB155_65
; %bb.64:                               ;   in Loop: Header=BB155_59 Depth=3
	s_waitcnt lgkmcnt(0)
	v_mov_b32_e32 v4, v3
	s_mov_b64 s[10:11], -1
	s_mov_b32 s12, 0
.LBB155_65:                             ;   in Loop: Header=BB155_59 Depth=3
	s_andn2_b64 vcc, exec, s[10:11]
	s_cbranch_vccnz .LBB155_58
; %bb.66:                               ;   in Loop: Header=BB155_59 Depth=3
	s_sub_i32 s10, s31, s12
	s_mul_i32 s11, s12, 0xffffff60
	s_lshl_b32 s12, s12, 3
	s_waitcnt lgkmcnt(0)
	v_mov_b32_e32 v5, v3
	v_mov_b32_e32 v3, v2
	s_add_i32 s11, s40, s11
	v_add_u32_e32 v6, s12, v10
.LBB155_67:                             ;   Parent Loop BB155_51 Depth=1
                                        ;     Parent Loop BB155_54 Depth=2
                                        ;       Parent Loop BB155_59 Depth=3
                                        ; =>      This Inner Loop Header: Depth=4
	buffer_load_dword v8, v6, s[0:3], 0 offen
	buffer_load_dword v9, v6, s[0:3], 0 offen offset:4
	v_mov_b32_e32 v7, s11
	ds_read_b64 v[12:13], v7
	s_add_i32 s10, s10, -1
	s_addk_i32 s11, 0xff60
	s_cmp_eq_u32 s10, 0
	s_waitcnt lgkmcnt(0)
	v_pk_mul_f32 v[14:15], v[12:13], v[4:5]
	v_pk_fma_f32 v[16:17], v[12:13], v[2:3], v[14:15] op_sel:[0,0,1] op_sel_hi:[1,1,0] neg_lo:[0,0,1] neg_hi:[0,0,1]
	v_pk_fma_f32 v[12:13], v[12:13], v[2:3], v[14:15] op_sel:[0,0,1] op_sel_hi:[1,1,0]
	v_mov_b32_e32 v17, v13
	s_waitcnt vmcnt(0)
	v_pk_add_f32 v[8:9], v[8:9], v[16:17] neg_lo:[0,1] neg_hi:[0,1]
	buffer_store_dword v8, v6, s[0:3], 0 offen
	buffer_store_dword v9, v6, s[0:3], 0 offen offset:4
	v_add_u32_e32 v6, 8, v6
	s_cbranch_scc0 .LBB155_67
	s_branch .LBB155_58
.LBB155_68:                             ;   in Loop: Header=BB155_54 Depth=2
	s_mul_i32 s12, s15, 20
	s_mov_b32 s13, 0
	s_mov_b32 s39, s37
	s_branch .LBB155_70
.LBB155_69:                             ;   in Loop: Header=BB155_70 Depth=3
	s_mul_i32 s10, s41, 0xa8
	v_mov_b32_e32 v4, s10
	ds_read_b64 v[4:5], v4
	s_lshl_b32 s10, s13, 3
	s_add_i32 s13, s13, 1
	s_addk_i32 s39, 0xff60
	v_add_u32_e32 v8, s10, v10
	s_waitcnt vmcnt(0) lgkmcnt(0)
	v_mul_f32_e32 v6, v5, v3
	v_mul_f32_e32 v7, v4, v3
	v_fma_f32 v6, v4, v2, -v6
	v_fmac_f32_e32 v7, v5, v2
	v_add_lshl_u32 v2, s40, v0, 3
	s_cmp_eq_u32 s13, s31
	buffer_store_dword v6, v8, s[0:3], 0 offen
	buffer_store_dword v7, v8, s[0:3], 0 offen offset:4
	ds_write_b64 v2, v[6:7] offset:3200
	s_cbranch_scc1 .LBB155_53
.LBB155_70:                             ;   Parent Loop BB155_51 Depth=1
                                        ;     Parent Loop BB155_54 Depth=2
                                        ; =>    This Loop Header: Depth=3
                                        ;         Child Loop BB155_72 Depth 4
	s_cmp_lg_u32 s13, 0
	s_cbranch_scc0 .LBB155_74
; %bb.71:                               ;   in Loop: Header=BB155_70 Depth=3
	s_lshl_b32 s10, s13, 3
	v_add_u32_e32 v4, s10, v10
	s_waitcnt lgkmcnt(0)
	buffer_load_dword v2, v4, s[0:3], 0 offen
	buffer_load_dword v3, v4, s[0:3], 0 offen offset:4
	v_mov_b32_e32 v5, 0
	s_mov_b32 s10, 0
	s_mov_b32 s11, s39
.LBB155_72:                             ;   Parent Loop BB155_51 Depth=1
                                        ;     Parent Loop BB155_54 Depth=2
                                        ;       Parent Loop BB155_70 Depth=3
                                        ; =>      This Inner Loop Header: Depth=4
	buffer_load_dword v7, v5, s[0:3], 0 offen offset:4
	buffer_load_dword v6, v5, s[0:3], 0 offen
	v_mov_b32_e32 v8, s11
	ds_read_b64 v[8:9], v8
	s_add_i32 s10, s10, 1
	s_add_i32 s11, s11, -8
	v_add_u32_e32 v5, 8, v5
	s_cmp_ge_u32 s10, s13
	s_waitcnt vmcnt(1)
	v_mov_b32_e32 v12, v7
	s_waitcnt lgkmcnt(0)
	v_pk_mul_f32 v[12:13], v[8:9], v[12:13] op_sel_hi:[1,0]
	s_waitcnt vmcnt(0)
	v_pk_fma_f32 v[14:15], v[8:9], v[6:7], v[12:13] op_sel:[0,0,1] op_sel_hi:[1,1,0] neg_lo:[0,0,1] neg_hi:[0,0,1]
	v_pk_fma_f32 v[6:7], v[8:9], v[6:7], v[12:13] op_sel:[0,0,1] op_sel_hi:[1,0,0]
	v_mov_b32_e32 v15, v7
	v_pk_add_f32 v[2:3], v[2:3], v[14:15] neg_lo:[0,1] neg_hi:[0,1]
	buffer_store_dword v2, v4, s[0:3], 0 offen
	buffer_store_dword v3, v4, s[0:3], 0 offen offset:4
	s_cbranch_scc0 .LBB155_72
; %bb.73:                               ;   in Loop: Header=BB155_70 Depth=3
	s_sub_i32 s41, s15, s13
	s_mul_i32 s40, s41, 20
	s_branch .LBB155_69
.LBB155_74:                             ;   in Loop: Header=BB155_70 Depth=3
                                        ; implicit-def: $vgpr2
                                        ; implicit-def: $sgpr41
                                        ; implicit-def: $sgpr40
	s_cbranch_execz .LBB155_69
; %bb.75:                               ;   in Loop: Header=BB155_70 Depth=3
	s_waitcnt lgkmcnt(0)
	buffer_load_dword v2, off, s[0:3], 0
	buffer_load_dword v3, off, s[0:3], 0 offset:4
	s_mov_b32 s40, s12
	s_mov_b32 s41, s15
	s_branch .LBB155_69
.LBB155_76:
	s_mov_b64 s[4:5], 0
.LBB155_77:
	s_and_b64 vcc, exec, s[4:5]
	s_cbranch_vccz .LBB155_105
; %bb.78:
	v_mov_b32_e32 v1, 0xc80
	s_mov_b32 s5, 0
	v_lshl_add_u32 v1, v0, 3, v1
	v_mov_b32_e32 v10, 0
	s_mov_b32 s4, s5
	s_mov_b32 s14, s5
	s_branch .LBB155_80
.LBB155_79:                             ;   in Loop: Header=BB155_80 Depth=1
	s_cmp_ge_i32 s14, s33
	s_cselect_b64 s[6:7], -1, 0
	s_add_i32 s4, s4, 1
	s_cmp_eq_u32 s4, 3
	s_cselect_b64 s[8:9], -1, 0
	s_or_b64 s[6:7], s[6:7], s[8:9]
	s_and_b64 vcc, exec, s[6:7]
	s_cbranch_vccnz .LBB155_105
.LBB155_80:                             ; =>This Loop Header: Depth=1
                                        ;     Child Loop BB155_83 Depth 2
                                        ;       Child Loop BB155_84 Depth 3
                                        ;       Child Loop BB155_88 Depth 3
                                        ;         Child Loop BB155_90 Depth 4
                                        ;         Child Loop BB155_96 Depth 4
                                        ;       Child Loop BB155_99 Depth 3
                                        ;         Child Loop BB155_101 Depth 4
	s_lshl_b64 s[6:7], s[4:5], 2
	s_getpc_b64 s[8:9]
	s_add_u32 s8, s8, __const._ZL38rocblas_trsm_small_left_device_sharedBILi20ELi20ELb1E19rocblas_complex_numIfES1_PKS1_PS1_Ev13rocblas_fill_18rocblas_operation_17rocblas_diagonal_iiT3_T4_lilT5_lili.step_sizes@rel32@lo+4
	s_addc_u32 s9, s9, __const._ZL38rocblas_trsm_small_left_device_sharedBILi20ELi20ELb1E19rocblas_complex_numIfES1_PKS1_PS1_Ev13rocblas_fill_18rocblas_operation_17rocblas_diagonal_iiT3_T4_lilT5_lili.step_sizes@rel32@hi+12
	s_add_u32 s6, s6, s8
	s_addc_u32 s7, s7, s9
	s_load_dword s15, s[6:7], 0x0
	s_waitcnt lgkmcnt(0)
	s_add_i32 s20, s15, -1
	s_add_i32 s6, s20, s14
	s_cmp_ge_i32 s6, s33
	s_cbranch_scc1 .LBB155_79
; %bb.81:                               ;   in Loop: Header=BB155_80 Depth=1
	s_max_i32 s30, s15, 1
	s_cmp_lg_u32 s4, 2
	s_cselect_b64 s[6:7], -1, 0
	s_and_b32 s31, s30, 0x7ffffffe
	s_cmp_lg_u32 s30, s31
	s_mul_i32 s10, s14, 0xa0
	s_cselect_b64 s[8:9], -1, 0
	v_add_u32_e32 v11, s10, v1
	s_mul_i32 s34, s15, 0xa0
	s_mul_i32 s35, s14, 0xa8
	;; [unrolled: 1-line block ×3, first 2 shown]
	s_branch .LBB155_83
.LBB155_82:                             ;   in Loop: Header=BB155_83 Depth=2
	s_add_i32 s14, s14, s15
	s_add_i32 s10, s20, s14
	;; [unrolled: 1-line block ×3, first 2 shown]
	s_cmp_ge_i32 s10, s33
	v_add_u32_e32 v11, s34, v11
	s_cbranch_scc1 .LBB155_79
.LBB155_83:                             ;   Parent Loop BB155_80 Depth=1
                                        ; =>  This Loop Header: Depth=2
                                        ;       Child Loop BB155_84 Depth 3
                                        ;       Child Loop BB155_88 Depth 3
                                        ;         Child Loop BB155_90 Depth 4
                                        ;         Child Loop BB155_96 Depth 4
                                        ;       Child Loop BB155_99 Depth 3
                                        ;         Child Loop BB155_101 Depth 4
	v_mov_b32_e32 v2, 0
	v_mov_b32_e32 v3, v11
	s_mov_b32 s10, s30
.LBB155_84:                             ;   Parent Loop BB155_80 Depth=1
                                        ;     Parent Loop BB155_83 Depth=2
                                        ; =>    This Inner Loop Header: Depth=3
	ds_read_b64 v[4:5], v3
	s_add_i32 s10, s10, -1
	v_add_u32_e32 v3, 0xa0, v3
	s_cmp_eq_u32 s10, 0
	s_waitcnt lgkmcnt(0)
	buffer_store_dword v5, v2, s[0:3], 0 offen offset:4
	buffer_store_dword v4, v2, s[0:3], 0 offen
	v_add_u32_e32 v2, 8, v2
	s_cbranch_scc0 .LBB155_84
; %bb.85:                               ;   in Loop: Header=BB155_83 Depth=2
	s_cmp_lt_i32 s14, 1
	s_cbranch_scc1 .LBB155_97
; %bb.86:                               ;   in Loop: Header=BB155_83 Depth=2
	s_mov_b32 s37, 0
	s_mov_b32 s38, s14
	s_branch .LBB155_88
.LBB155_87:                             ;   in Loop: Header=BB155_88 Depth=3
	s_add_i32 s37, s37, 1
	s_add_i32 s38, s38, 20
	s_cmp_ge_i32 s37, s14
	s_cbranch_scc1 .LBB155_97
.LBB155_88:                             ;   Parent Loop BB155_80 Depth=1
                                        ;     Parent Loop BB155_83 Depth=2
                                        ; =>    This Loop Header: Depth=3
                                        ;         Child Loop BB155_90 Depth 4
                                        ;         Child Loop BB155_96 Depth 4
	s_mul_i32 s10, s37, 20
	s_waitcnt lgkmcnt(0)
	v_add_lshl_u32 v2, s10, v0, 3
	ds_read_b64 v[2:3], v2 offset:3200
	s_and_b64 vcc, exec, s[6:7]
	s_cbranch_vccz .LBB155_92
; %bb.89:                               ;   in Loop: Header=BB155_88 Depth=3
	s_add_i32 s10, s10, s14
	s_mov_b32 s11, s10
	s_waitcnt lgkmcnt(0)
	v_mov_b32_e32 v6, v2
	v_mov_b32_e32 v7, v2
	;; [unrolled: 1-line block ×6, first 2 shown]
	s_mov_b32 s12, 1
	s_mov_b32 s13, 0
	;; [unrolled: 1-line block ×3, first 2 shown]
.LBB155_90:                             ;   Parent Loop BB155_80 Depth=1
                                        ;     Parent Loop BB155_83 Depth=2
                                        ;       Parent Loop BB155_88 Depth=3
                                        ; =>      This Inner Loop Header: Depth=4
	buffer_load_dword v12, v5, s[0:3], 0 offen
	buffer_load_dword v14, v5, s[0:3], 0 offen offset:4
	buffer_load_dword v13, v5, s[0:3], 0 offen offset:8
	;; [unrolled: 1-line block ×3, first 2 shown]
	s_add_i32 s40, s11, s12
	s_add_i32 s41, s10, s13
	s_lshl_b32 s41, s41, 3
	s_lshl_b32 s40, s40, 3
	v_mov_b32_e32 v16, s41
	v_mov_b32_e32 v18, s40
	ds_read_b64 v[16:17], v16
	ds_read_b64 v[18:19], v18
	s_add_i32 s13, s13, 2
	s_add_i32 s12, s12, 2
	s_add_i32 s39, s39, -2
	s_waitcnt lgkmcnt(1)
	v_mov_b32_e32 v20, v16
	s_waitcnt lgkmcnt(0)
	v_mov_b32_e32 v21, v18
	v_mov_b32_e32 v18, v17
	v_pk_mul_f32 v[16:17], v[18:19], v[8:9]
	v_pk_mul_f32 v[18:19], v[18:19], v[6:7]
	v_pk_fma_f32 v[16:17], v[20:21], v[6:7], v[16:17] neg_lo:[0,0,1] neg_hi:[0,0,1]
	v_pk_fma_f32 v[18:19], v[20:21], v[8:9], v[18:19]
	s_cmp_lg_u32 s39, 0
	s_waitcnt vmcnt(1)
	v_pk_add_f32 v[12:13], v[12:13], v[16:17] neg_lo:[0,1] neg_hi:[0,1]
	s_waitcnt vmcnt(0)
	v_pk_add_f32 v[14:15], v[14:15], v[18:19] neg_lo:[0,1] neg_hi:[0,1]
	buffer_store_dword v12, v5, s[0:3], 0 offen
	buffer_store_dword v14, v5, s[0:3], 0 offen offset:4
	buffer_store_dword v13, v5, s[0:3], 0 offen offset:8
	;; [unrolled: 1-line block ×3, first 2 shown]
	v_add_u32_e32 v5, 16, v5
	s_cbranch_scc1 .LBB155_90
; %bb.91:                               ;   in Loop: Header=BB155_88 Depth=3
	s_mov_b64 s[10:11], s[8:9]
	s_mov_b32 s12, s31
	s_branch .LBB155_94
.LBB155_92:                             ;   in Loop: Header=BB155_88 Depth=3
	s_mov_b64 s[10:11], 0
                                        ; implicit-def: $vgpr4_vgpr5
	s_mov_b32 s12, s31
	s_cbranch_execz .LBB155_94
; %bb.93:                               ;   in Loop: Header=BB155_88 Depth=3
	s_waitcnt lgkmcnt(0)
	v_mov_b32_e32 v4, v3
	s_mov_b64 s[10:11], -1
	s_mov_b32 s12, 0
.LBB155_94:                             ;   in Loop: Header=BB155_88 Depth=3
	s_andn2_b64 vcc, exec, s[10:11]
	s_cbranch_vccnz .LBB155_87
; %bb.95:                               ;   in Loop: Header=BB155_88 Depth=3
	s_sub_i32 s10, s30, s12
	s_add_i32 s11, s12, s38
	s_lshl_b32 s12, s12, 3
	s_waitcnt lgkmcnt(0)
	v_mov_b32_e32 v5, v3
	v_mov_b32_e32 v3, v2
	s_lshl_b32 s11, s11, 3
	v_add_u32_e32 v6, s12, v10
.LBB155_96:                             ;   Parent Loop BB155_80 Depth=1
                                        ;     Parent Loop BB155_83 Depth=2
                                        ;       Parent Loop BB155_88 Depth=3
                                        ; =>      This Inner Loop Header: Depth=4
	buffer_load_dword v8, v6, s[0:3], 0 offen
	buffer_load_dword v9, v6, s[0:3], 0 offen offset:4
	v_mov_b32_e32 v7, s11
	ds_read_b64 v[12:13], v7
	s_add_i32 s10, s10, -1
	s_add_i32 s11, s11, 8
	s_cmp_eq_u32 s10, 0
	s_waitcnt lgkmcnt(0)
	v_pk_mul_f32 v[14:15], v[12:13], v[4:5]
	v_pk_fma_f32 v[16:17], v[12:13], v[2:3], v[14:15] op_sel:[0,0,1] op_sel_hi:[1,1,0] neg_lo:[0,0,1] neg_hi:[0,0,1]
	v_pk_fma_f32 v[12:13], v[12:13], v[2:3], v[14:15] op_sel:[0,0,1] op_sel_hi:[1,1,0]
	v_mov_b32_e32 v17, v13
	s_waitcnt vmcnt(0)
	v_pk_add_f32 v[8:9], v[8:9], v[16:17] neg_lo:[0,1] neg_hi:[0,1]
	buffer_store_dword v8, v6, s[0:3], 0 offen
	buffer_store_dword v9, v6, s[0:3], 0 offen offset:4
	v_add_u32_e32 v6, 8, v6
	s_cbranch_scc0 .LBB155_96
	s_branch .LBB155_87
.LBB155_97:                             ;   in Loop: Header=BB155_83 Depth=2
	s_mov_b32 s12, 0
	s_mov_b32 s13, s35
	s_branch .LBB155_99
.LBB155_98:                             ;   in Loop: Header=BB155_99 Depth=3
	s_mul_i32 s10, s37, 0xa8
	v_mov_b32_e32 v4, s10
	ds_read_b64 v[4:5], v4
	s_mul_i32 s10, s37, 20
	s_lshl_b32 s11, s12, 3
	s_add_i32 s12, s12, 1
	s_add_i32 s13, s13, 8
	s_waitcnt vmcnt(0) lgkmcnt(0)
	v_mul_f32_e32 v6, v5, v3
	v_mul_f32_e32 v7, v4, v3
	v_add_u32_e32 v8, s11, v10
	v_fma_f32 v6, v4, v2, -v6
	v_fmac_f32_e32 v7, v5, v2
	v_add_lshl_u32 v2, s10, v0, 3
	s_cmp_eq_u32 s12, s30
	buffer_store_dword v6, v8, s[0:3], 0 offen
	buffer_store_dword v7, v8, s[0:3], 0 offen offset:4
	ds_write_b64 v2, v[6:7] offset:3200
	s_cbranch_scc1 .LBB155_82
.LBB155_99:                             ;   Parent Loop BB155_80 Depth=1
                                        ;     Parent Loop BB155_83 Depth=2
                                        ; =>    This Loop Header: Depth=3
                                        ;         Child Loop BB155_101 Depth 4
	s_cmp_lg_u32 s12, 0
	s_cbranch_scc0 .LBB155_103
; %bb.100:                              ;   in Loop: Header=BB155_99 Depth=3
	s_lshl_b32 s10, s12, 3
	v_add_u32_e32 v4, s10, v10
	s_waitcnt lgkmcnt(0)
	buffer_load_dword v2, v4, s[0:3], 0 offen
	buffer_load_dword v3, v4, s[0:3], 0 offen offset:4
	v_mov_b32_e32 v5, 0
	s_mov_b32 s10, 0
	s_mov_b32 s11, s13
.LBB155_101:                            ;   Parent Loop BB155_80 Depth=1
                                        ;     Parent Loop BB155_83 Depth=2
                                        ;       Parent Loop BB155_99 Depth=3
                                        ; =>      This Inner Loop Header: Depth=4
	buffer_load_dword v7, v5, s[0:3], 0 offen offset:4
	buffer_load_dword v6, v5, s[0:3], 0 offen
	v_mov_b32_e32 v8, s11
	ds_read_b64 v[8:9], v8
	s_add_i32 s10, s10, 1
	s_addk_i32 s11, 0xa0
	v_add_u32_e32 v5, 8, v5
	s_cmp_ge_u32 s10, s12
	s_waitcnt vmcnt(1)
	v_mov_b32_e32 v12, v7
	s_waitcnt lgkmcnt(0)
	v_pk_mul_f32 v[12:13], v[8:9], v[12:13] op_sel_hi:[1,0]
	s_waitcnt vmcnt(0)
	v_pk_fma_f32 v[14:15], v[8:9], v[6:7], v[12:13] op_sel:[0,0,1] op_sel_hi:[1,1,0] neg_lo:[0,0,1] neg_hi:[0,0,1]
	v_pk_fma_f32 v[6:7], v[8:9], v[6:7], v[12:13] op_sel:[0,0,1] op_sel_hi:[1,0,0]
	v_mov_b32_e32 v15, v7
	v_pk_add_f32 v[2:3], v[2:3], v[14:15] neg_lo:[0,1] neg_hi:[0,1]
	buffer_store_dword v2, v4, s[0:3], 0 offen
	buffer_store_dword v3, v4, s[0:3], 0 offen offset:4
	s_cbranch_scc0 .LBB155_101
; %bb.102:                              ;   in Loop: Header=BB155_99 Depth=3
	s_add_i32 s37, s12, s14
	s_branch .LBB155_98
.LBB155_103:                            ;   in Loop: Header=BB155_99 Depth=3
                                        ; implicit-def: $vgpr2
                                        ; implicit-def: $sgpr37
	s_cbranch_execz .LBB155_98
; %bb.104:                              ;   in Loop: Header=BB155_99 Depth=3
	s_waitcnt lgkmcnt(0)
	buffer_load_dword v2, off, s[0:3], 0
	buffer_load_dword v3, off, s[0:3], 0 offset:4
	s_mov_b32 s37, s14
	s_branch .LBB155_98
.LBB155_105:
	s_waitcnt lgkmcnt(0)
	; wave barrier
	s_waitcnt lgkmcnt(0)
	s_and_saveexec_b64 s[4:5], s[28:29]
	s_cbranch_execz .LBB155_112
; %bb.106:
	s_cmp_lt_i32 s22, 8
	s_mov_b32 s4, 0
	s_cbranch_scc1 .LBB155_109
; %bb.107:
	v_mad_i64_i32 v[2:3], s[4:5], s21, v0, 0
	v_lshlrev_b64 v[2:3], 3, v[2:3]
	v_mov_b32_e32 v4, s46
	v_add_co_u32_e32 v1, vcc, s23, v2
	v_addc_co_u32_e32 v2, vcc, v4, v3, vcc
	v_mov_b32_e32 v3, 0xc80
	s_lshl_b32 s4, s33, 3
	v_lshl_add_u32 v3, v0, 3, v3
	s_and_b32 s5, s4, 0xc0
	s_mov_b32 s4, 0
	s_mov_b64 s[6:7], 0
.LBB155_108:                            ; =>This Inner Loop Header: Depth=1
	ds_read2_b64 v[4:7], v3 offset1:20
	ds_read2_b64 v[8:11], v3 offset0:40 offset1:60
	ds_read2_b64 v[12:15], v3 offset0:80 offset1:100
	;; [unrolled: 1-line block ×3, first 2 shown]
	s_add_i32 s4, s4, 8
	v_add_co_u32_e32 v20, vcc, s6, v1
	s_add_u32 s6, s6, 64
	v_mov_b32_e32 v21, s7
	s_addc_u32 s7, s7, 0
	v_add_u32_e32 v3, 0x500, v3
	v_addc_co_u32_e32 v21, vcc, v2, v21, vcc
	s_cmp_lg_u32 s5, s6
	s_waitcnt lgkmcnt(3)
	global_store_dwordx4 v[20:21], v[4:7], off
	s_waitcnt lgkmcnt(2)
	global_store_dwordx4 v[20:21], v[8:11], off offset:16
	s_waitcnt lgkmcnt(1)
	global_store_dwordx4 v[20:21], v[12:15], off offset:32
	;; [unrolled: 2-line block ×3, first 2 shown]
	s_cbranch_scc1 .LBB155_108
.LBB155_109:
	s_and_b32 s6, s33, 7
	s_cmp_eq_u32 s6, 0
	s_mov_b32 s5, 0
	s_cbranch_scc1 .LBB155_112
; %bb.110:
	s_lshl_b64 s[8:9], s[26:27], 3
	v_lshlrev_b32_e32 v1, 3, v0
	v_mov_b32_e32 v2, s9
	v_add_co_u32_e32 v1, vcc, s8, v1
	s_lshl_b64 s[8:9], s[4:5], 3
	s_add_u32 s5, s18, s8
	s_addc_u32 s7, s19, s9
	s_add_u32 s5, s5, s24
	s_addc_u32 s7, s7, s25
	s_add_u32 s8, s5, s16
	s_addc_u32 s9, s7, s17
	v_addc_co_u32_e32 v4, vcc, 0, v2, vcc
	v_pk_mov_b32 v[2:3], s[8:9], s[8:9] op_sel:[0,1]
	s_mulk_i32 s4, 0xa0
	v_mad_u64_u32 v[2:3], s[8:9], v1, s21, v[2:3]
	v_mul_lo_u32 v1, v1, s44
	v_mul_lo_u32 v4, v4, s21
	v_lshl_add_u32 v0, v0, 3, s4
	v_add3_u32 v3, v4, v3, v1
	v_add_u32_e32 v0, 0xc80, v0
.LBB155_111:                            ; =>This Inner Loop Header: Depth=1
	ds_read_b64 v[4:5], v0
	s_add_i32 s6, s6, -1
	v_add_u32_e32 v0, 0xa0, v0
	s_cmp_lg_u32 s6, 0
	s_waitcnt lgkmcnt(0)
	global_store_dwordx2 v[2:3], v[4:5], off
	v_add_co_u32_e32 v2, vcc, 8, v2
	v_addc_co_u32_e32 v3, vcc, 0, v3, vcc
	s_cbranch_scc1 .LBB155_111
.LBB155_112:
	s_endpgm
	.section	.rodata,"a",@progbits
	.p2align	6, 0x0
	.amdhsa_kernel _ZL38rocblas_trsm_small_left_device_sharedBILi20ELi20ELb1E19rocblas_complex_numIfES1_PKS1_PS1_Ev13rocblas_fill_18rocblas_operation_17rocblas_diagonal_iiT3_T4_lilT5_lili
		.amdhsa_group_segment_fixed_size 6400
		.amdhsa_private_segment_fixed_size 176
		.amdhsa_kernarg_size 360
		.amdhsa_user_sgpr_count 8
		.amdhsa_user_sgpr_private_segment_buffer 1
		.amdhsa_user_sgpr_dispatch_ptr 0
		.amdhsa_user_sgpr_queue_ptr 0
		.amdhsa_user_sgpr_kernarg_segment_ptr 1
		.amdhsa_user_sgpr_dispatch_id 0
		.amdhsa_user_sgpr_flat_scratch_init 1
		.amdhsa_user_sgpr_kernarg_preload_length 0
		.amdhsa_user_sgpr_kernarg_preload_offset 0
		.amdhsa_user_sgpr_private_segment_size 0
		.amdhsa_uses_dynamic_stack 0
		.amdhsa_system_sgpr_private_segment_wavefront_offset 1
		.amdhsa_system_sgpr_workgroup_id_x 1
		.amdhsa_system_sgpr_workgroup_id_y 0
		.amdhsa_system_sgpr_workgroup_id_z 1
		.amdhsa_system_sgpr_workgroup_info 0
		.amdhsa_system_vgpr_workitem_id 0
		.amdhsa_next_free_vgpr 43
		.amdhsa_next_free_sgpr 54
		.amdhsa_accum_offset 44
		.amdhsa_reserve_vcc 1
		.amdhsa_reserve_flat_scratch 0
		.amdhsa_float_round_mode_32 0
		.amdhsa_float_round_mode_16_64 0
		.amdhsa_float_denorm_mode_32 3
		.amdhsa_float_denorm_mode_16_64 3
		.amdhsa_dx10_clamp 1
		.amdhsa_ieee_mode 1
		.amdhsa_fp16_overflow 0
		.amdhsa_tg_split 0
		.amdhsa_exception_fp_ieee_invalid_op 0
		.amdhsa_exception_fp_denorm_src 0
		.amdhsa_exception_fp_ieee_div_zero 0
		.amdhsa_exception_fp_ieee_overflow 0
		.amdhsa_exception_fp_ieee_underflow 0
		.amdhsa_exception_fp_ieee_inexact 0
		.amdhsa_exception_int_div_zero 0
	.end_amdhsa_kernel
	.section	.text._ZL38rocblas_trsm_small_left_device_sharedBILi20ELi20ELb1E19rocblas_complex_numIfES1_PKS1_PS1_Ev13rocblas_fill_18rocblas_operation_17rocblas_diagonal_iiT3_T4_lilT5_lili,"axG",@progbits,_ZL38rocblas_trsm_small_left_device_sharedBILi20ELi20ELb1E19rocblas_complex_numIfES1_PKS1_PS1_Ev13rocblas_fill_18rocblas_operation_17rocblas_diagonal_iiT3_T4_lilT5_lili,comdat
.Lfunc_end155:
	.size	_ZL38rocblas_trsm_small_left_device_sharedBILi20ELi20ELb1E19rocblas_complex_numIfES1_PKS1_PS1_Ev13rocblas_fill_18rocblas_operation_17rocblas_diagonal_iiT3_T4_lilT5_lili, .Lfunc_end155-_ZL38rocblas_trsm_small_left_device_sharedBILi20ELi20ELb1E19rocblas_complex_numIfES1_PKS1_PS1_Ev13rocblas_fill_18rocblas_operation_17rocblas_diagonal_iiT3_T4_lilT5_lili
                                        ; -- End function
	.section	.AMDGPU.csdata,"",@progbits
; Kernel info:
; codeLenInByte = 5356
; NumSgprs: 58
; NumVgprs: 43
; NumAgprs: 0
; TotalNumVgprs: 43
; ScratchSize: 176
; MemoryBound: 0
; FloatMode: 240
; IeeeMode: 1
; LDSByteSize: 6400 bytes/workgroup (compile time only)
; SGPRBlocks: 7
; VGPRBlocks: 5
; NumSGPRsForWavesPerEU: 58
; NumVGPRsForWavesPerEU: 43
; AccumOffset: 44
; Occupancy: 3
; WaveLimiterHint : 0
; COMPUTE_PGM_RSRC2:SCRATCH_EN: 1
; COMPUTE_PGM_RSRC2:USER_SGPR: 8
; COMPUTE_PGM_RSRC2:TRAP_HANDLER: 0
; COMPUTE_PGM_RSRC2:TGID_X_EN: 1
; COMPUTE_PGM_RSRC2:TGID_Y_EN: 0
; COMPUTE_PGM_RSRC2:TGID_Z_EN: 1
; COMPUTE_PGM_RSRC2:TIDIG_COMP_CNT: 0
; COMPUTE_PGM_RSRC3_GFX90A:ACCUM_OFFSET: 10
; COMPUTE_PGM_RSRC3_GFX90A:TG_SPLIT: 0
	.section	.text._ZL30rocblas_trsm_small_left_deviceILi20ELi20ELb1E19rocblas_complex_numIfES1_PKS1_PS1_Ev13rocblas_fill_18rocblas_operation_17rocblas_diagonal_iiT3_T4_lilT5_lili,"axG",@progbits,_ZL30rocblas_trsm_small_left_deviceILi20ELi20ELb1E19rocblas_complex_numIfES1_PKS1_PS1_Ev13rocblas_fill_18rocblas_operation_17rocblas_diagonal_iiT3_T4_lilT5_lili,comdat
	.globl	_ZL30rocblas_trsm_small_left_deviceILi20ELi20ELb1E19rocblas_complex_numIfES1_PKS1_PS1_Ev13rocblas_fill_18rocblas_operation_17rocblas_diagonal_iiT3_T4_lilT5_lili ; -- Begin function _ZL30rocblas_trsm_small_left_deviceILi20ELi20ELb1E19rocblas_complex_numIfES1_PKS1_PS1_Ev13rocblas_fill_18rocblas_operation_17rocblas_diagonal_iiT3_T4_lilT5_lili
	.p2align	8
	.type	_ZL30rocblas_trsm_small_left_deviceILi20ELi20ELb1E19rocblas_complex_numIfES1_PKS1_PS1_Ev13rocblas_fill_18rocblas_operation_17rocblas_diagonal_iiT3_T4_lilT5_lili,@function
_ZL30rocblas_trsm_small_left_deviceILi20ELi20ELb1E19rocblas_complex_numIfES1_PKS1_PS1_Ev13rocblas_fill_18rocblas_operation_17rocblas_diagonal_iiT3_T4_lilT5_lili: ; @_ZL30rocblas_trsm_small_left_deviceILi20ELi20ELb1E19rocblas_complex_numIfES1_PKS1_PS1_Ev13rocblas_fill_18rocblas_operation_17rocblas_diagonal_iiT3_T4_lilT5_lili
; %bb.0:
	s_add_u32 s0, s0, s10
	s_load_dwordx4 s[16:19], s[4:5], 0x4
	s_load_dwordx2 s[24:25], s[4:5], 0x14
	s_load_dwordx4 s[12:15], s[4:5], 0x38
	s_load_dwordx2 s[26:27], s[4:5], 0x48
	s_load_dword s43, s[4:5], 0x68
	s_addc_u32 s1, s1, 0
	s_waitcnt lgkmcnt(0)
	s_min_i32 s33, s18, 20
	s_mov_b32 s44, 0
	s_add_i32 s42, s33, -1
	v_cmp_gt_i32_e32 vcc, s33, v0
	s_and_saveexec_b64 s[28:29], vcc
	s_cbranch_execz .LBB156_35
; %bb.1:
	s_load_dword s30, s[4:5], 0x30
	s_load_dwordx4 s[20:23], s[4:5], 0x20
	s_mul_i32 s6, s9, s13
	s_mul_hi_u32 s7, s9, s12
	s_mul_i32 s12, s9, s12
	s_waitcnt lgkmcnt(0)
	s_ashr_i32 s31, s30, 31
	s_cmpk_lg_i32 s16, 0x71
	s_cselect_b64 s[34:35], -1, 0
	s_add_i32 s13, s7, s6
	v_cndmask_b32_e64 v2, 0, 1, s[34:35]
	s_cmp_lt_u32 s42, 3
	v_lshlrev_b32_e32 v1, 3, v0
	v_cmp_ne_u32_e64 s[6:7], 1, v2
	s_cbranch_scc1 .LBB156_20
; %bb.2:
	s_lshl_b64 s[10:11], s[12:13], 3
	s_add_u32 s18, s20, s10
	s_addc_u32 s36, s21, s11
	s_lshl_b64 s[10:11], s[22:23], 3
	s_add_u32 s10, s18, s10
	s_addc_u32 s11, s36, s11
	v_mov_b32_e32 v3, s11
	v_add_co_u32_e32 v2, vcc, s10, v1
	s_mul_hi_i32 s10, s30, 24
	s_lshl_b64 s[36:37], s[30:31], 5
	s_lshl_b64 s[38:39], s[30:31], 4
	;; [unrolled: 1-line block ×3, first 2 shown]
	v_addc_co_u32_e32 v3, vcc, 0, v3, vcc
	s_and_b32 s44, s33, -4
	s_mul_i32 s18, s30, 24
	s_mov_b32 s45, 0
	v_mov_b32_e32 v8, s41
	v_mov_b32_e32 v9, s39
	;; [unrolled: 1-line block ×5, first 2 shown]
	s_branch .LBB156_4
.LBB156_3:                              ;   in Loop: Header=BB156_4 Depth=1
	global_load_dword v4, v[6:7], off
	s_add_i32 s45, s45, 4
	v_add_co_u32_e32 v2, vcc, s36, v2
	v_addc_co_u32_e32 v3, vcc, v3, v11, vcc
	s_cmp_eq_u32 s44, s45
	s_waitcnt vmcnt(0)
	ds_write_b64 v12, v[4:5] offset:480
	v_add_u32_e32 v12, 0x280, v12
	s_cbranch_scc1 .LBB156_20
.LBB156_4:                              ; =>This Inner Loop Header: Depth=1
	s_and_b64 vcc, exec, s[34:35]
	s_cbranch_vccz .LBB156_6
; %bb.5:                                ;   in Loop: Header=BB156_4 Depth=1
	global_load_dword v5, v[2:3], off offset:4
	s_cbranch_execz .LBB156_7
	s_branch .LBB156_8
.LBB156_6:                              ;   in Loop: Header=BB156_4 Depth=1
                                        ; implicit-def: $vgpr5
.LBB156_7:                              ;   in Loop: Header=BB156_4 Depth=1
	global_load_dword v4, v[2:3], off offset:4
	s_waitcnt vmcnt(0)
	v_xor_b32_e32 v5, 0x80000000, v4
.LBB156_8:                              ;   in Loop: Header=BB156_4 Depth=1
	global_load_dword v4, v[2:3], off
	v_add_co_u32_e64 v6, s[10:11], s40, v2
	s_and_b64 vcc, exec, s[6:7]
	v_addc_co_u32_e64 v7, s[10:11], v3, v8, s[10:11]
	s_waitcnt vmcnt(0)
	ds_write_b64 v12, v[4:5]
	s_cbranch_vccnz .LBB156_10
; %bb.9:                                ;   in Loop: Header=BB156_4 Depth=1
	global_load_dword v5, v[6:7], off offset:4
	s_cbranch_execz .LBB156_11
	s_branch .LBB156_12
.LBB156_10:                             ;   in Loop: Header=BB156_4 Depth=1
                                        ; implicit-def: $vgpr5
.LBB156_11:                             ;   in Loop: Header=BB156_4 Depth=1
	global_load_dword v4, v[6:7], off offset:4
	s_waitcnt vmcnt(0)
	v_xor_b32_e32 v5, 0x80000000, v4
.LBB156_12:                             ;   in Loop: Header=BB156_4 Depth=1
	global_load_dword v4, v[6:7], off
	v_add_co_u32_e64 v6, s[10:11], s38, v2
	s_and_b64 vcc, exec, s[6:7]
	v_addc_co_u32_e64 v7, s[10:11], v3, v9, s[10:11]
	s_waitcnt vmcnt(0)
	ds_write_b64 v12, v[4:5] offset:160
	s_cbranch_vccnz .LBB156_14
; %bb.13:                               ;   in Loop: Header=BB156_4 Depth=1
	global_load_dword v5, v[6:7], off offset:4
	s_cbranch_execz .LBB156_15
	s_branch .LBB156_16
.LBB156_14:                             ;   in Loop: Header=BB156_4 Depth=1
                                        ; implicit-def: $vgpr5
.LBB156_15:                             ;   in Loop: Header=BB156_4 Depth=1
	global_load_dword v4, v[6:7], off offset:4
	s_waitcnt vmcnt(0)
	v_xor_b32_e32 v5, 0x80000000, v4
.LBB156_16:                             ;   in Loop: Header=BB156_4 Depth=1
	global_load_dword v4, v[6:7], off
	v_add_co_u32_e64 v6, s[10:11], s18, v2
	s_and_b64 vcc, exec, s[6:7]
	v_addc_co_u32_e64 v7, s[10:11], v3, v10, s[10:11]
	s_waitcnt vmcnt(0)
	ds_write_b64 v12, v[4:5] offset:320
	s_cbranch_vccnz .LBB156_18
; %bb.17:                               ;   in Loop: Header=BB156_4 Depth=1
	global_load_dword v5, v[6:7], off offset:4
	s_cbranch_execnz .LBB156_3
	s_branch .LBB156_19
.LBB156_18:                             ;   in Loop: Header=BB156_4 Depth=1
                                        ; implicit-def: $vgpr5
.LBB156_19:                             ;   in Loop: Header=BB156_4 Depth=1
	global_load_dword v4, v[6:7], off offset:4
	s_waitcnt vmcnt(0)
	v_xor_b32_e32 v5, 0x80000000, v4
	s_branch .LBB156_3
.LBB156_20:
	s_and_b32 s18, s33, 3
	s_cmp_eq_u32 s18, 0
	s_cbranch_scc1 .LBB156_27
; %bb.21:
	s_mul_i32 s10, s44, 0xa0
	v_lshl_add_u32 v6, v0, 3, s10
	s_lshl_b64 s[10:11], s[12:13], 3
	s_mul_i32 s12, s31, s44
	s_mul_hi_u32 s13, s30, s44
	s_add_i32 s13, s13, s12
	s_mul_i32 s12, s30, s44
	s_lshl_b64 s[12:13], s[12:13], 3
	s_add_u32 s12, s10, s12
	s_addc_u32 s13, s11, s13
	s_lshl_b64 s[10:11], s[22:23], 3
	s_add_u32 s10, s12, s10
	s_addc_u32 s11, s13, s11
	s_add_u32 s10, s20, s10
	s_addc_u32 s11, s21, s11
	v_mov_b32_e32 v2, s11
	v_add_co_u32_e32 v1, vcc, s10, v1
	v_addc_co_u32_e32 v3, vcc, 0, v2, vcc
	v_add_co_u32_e32 v2, vcc, 4, v1
	s_lshl_b64 s[10:11], s[30:31], 3
	v_addc_co_u32_e32 v3, vcc, 0, v3, vcc
	v_mov_b32_e32 v1, s11
	s_branch .LBB156_23
.LBB156_22:                             ;   in Loop: Header=BB156_23 Depth=1
	global_load_dword v4, v[2:3], off offset:-4
	s_add_i32 s18, s18, -1
	v_add_co_u32_e32 v2, vcc, s10, v2
	s_cmp_lg_u32 s18, 0
	v_addc_co_u32_e32 v3, vcc, v3, v1, vcc
	s_waitcnt vmcnt(0)
	ds_write_b64 v6, v[4:5]
	v_add_u32_e32 v6, 0xa0, v6
	s_cbranch_scc0 .LBB156_27
.LBB156_23:                             ; =>This Inner Loop Header: Depth=1
	s_and_b64 vcc, exec, s[6:7]
	s_cbranch_vccnz .LBB156_25
; %bb.24:                               ;   in Loop: Header=BB156_23 Depth=1
	global_load_dword v5, v[2:3], off
	s_cbranch_execnz .LBB156_22
	s_branch .LBB156_26
.LBB156_25:                             ;   in Loop: Header=BB156_23 Depth=1
                                        ; implicit-def: $vgpr5
.LBB156_26:                             ;   in Loop: Header=BB156_23 Depth=1
	global_load_dword v4, v[2:3], off
	s_waitcnt vmcnt(0)
	v_xor_b32_e32 v5, 0x80000000, v4
	s_branch .LBB156_22
.LBB156_27:
	v_mul_u32_u24_e32 v1, 21, v0
	s_cmpk_lg_i32 s17, 0x84
	v_lshlrev_b32_e32 v1, 3, v1
	s_mov_b64 s[6:7], -1
	s_cbranch_scc0 .LBB156_33
; %bb.28:
	ds_read_b64 v[2:3], v1
	s_mov_b32 s6, 0
	s_waitcnt lgkmcnt(0)
	v_cmp_gt_f32_e32 vcc, 0, v3
	v_cndmask_b32_e64 v4, v3, -v3, vcc
	v_cmp_gt_f32_e32 vcc, 0, v2
	v_cndmask_b32_e64 v5, v2, -v2, vcc
	v_cmp_ngt_f32_e32 vcc, v5, v4
                                        ; implicit-def: $vgpr4_vgpr5
	s_and_saveexec_b64 s[10:11], vcc
	s_xor_b64 s[10:11], exec, s[10:11]
	s_cbranch_execz .LBB156_30
; %bb.29:
	v_div_scale_f32 v4, s[12:13], v3, v3, v2
	v_rcp_f32_e32 v5, v4
	v_div_scale_f32 v6, vcc, v2, v3, v2
	s_mov_b32 s7, -1.0
	v_fma_f32 v7, -v4, v5, 1.0
	v_fmac_f32_e32 v5, v7, v5
	v_mul_f32_e32 v7, v6, v5
	v_fma_f32 v8, -v4, v7, v6
	v_fmac_f32_e32 v7, v8, v5
	v_fma_f32 v4, -v4, v7, v6
	v_div_fmas_f32 v4, v4, v5, v7
	v_div_fixup_f32 v4, v4, v3, v2
	v_fmac_f32_e32 v3, v2, v4
	v_div_scale_f32 v2, s[12:13], v3, v3, 1.0
	v_rcp_f32_e32 v5, v2
	v_fma_f32 v6, -v2, v5, 1.0
	v_fmac_f32_e32 v5, v6, v5
	v_div_scale_f32 v6, vcc, 1.0, v3, 1.0
	v_mul_f32_e32 v7, v6, v5
	v_fma_f32 v8, -v2, v7, v6
	v_fmac_f32_e32 v7, v8, v5
	v_fma_f32 v2, -v2, v7, v6
	v_div_fmas_f32 v2, v2, v5, v7
	v_mul_f32_e32 v5, 0, v4
	v_div_fixup_f32 v2, v2, v3, 1.0
	v_pk_add_f32 v[4:5], v[4:5], s[6:7]
	v_pk_mul_f32 v[4:5], v[4:5], v[2:3] op_sel_hi:[1,0]
                                        ; implicit-def: $vgpr2_vgpr3
.LBB156_30:
	s_andn2_saveexec_b64 s[6:7], s[10:11]
	s_cbranch_execz .LBB156_32
; %bb.31:
	v_div_scale_f32 v4, s[10:11], v2, v2, v3
	v_rcp_f32_e32 v5, v4
	v_div_scale_f32 v6, vcc, v3, v2, v3
	v_fma_f32 v7, -v4, v5, 1.0
	v_fmac_f32_e32 v5, v7, v5
	v_mul_f32_e32 v7, v6, v5
	v_fma_f32 v8, -v4, v7, v6
	v_fmac_f32_e32 v7, v8, v5
	v_fma_f32 v4, -v4, v7, v6
	v_div_fmas_f32 v4, v4, v5, v7
	v_div_fixup_f32 v5, v4, v2, v3
	v_fmac_f32_e32 v2, v3, v5
	v_div_scale_f32 v3, s[10:11], v2, v2, 1.0
	v_rcp_f32_e32 v4, v3
	s_mov_b32 s10, 1.0
	s_mov_b32 s11, 0
	v_fma_f32 v6, -v3, v4, 1.0
	v_fmac_f32_e32 v4, v6, v4
	v_div_scale_f32 v6, vcc, 1.0, v2, 1.0
	v_mul_f32_e32 v7, v6, v4
	v_fma_f32 v8, -v3, v7, v6
	v_fmac_f32_e32 v7, v8, v4
	v_fma_f32 v3, -v3, v7, v6
	v_div_fmas_f32 v3, v3, v4, v7
	v_mul_f32_e32 v4, 0, v5
	v_pk_add_f32 v[6:7], v[4:5], s[10:11]
	v_pk_add_f32 v[4:5], v[4:5], s[10:11] neg_lo:[1,0] neg_hi:[1,0]
	v_div_fixup_f32 v2, v3, v2, 1.0
	v_mov_b32_e32 v7, v5
	v_pk_mul_f32 v[4:5], v[6:7], v[2:3] op_sel_hi:[1,0]
.LBB156_32:
	s_or_b64 exec, exec, s[6:7]
	s_mov_b64 s[6:7], 0
	ds_write_b64 v1, v[4:5]
.LBB156_33:
	s_and_b64 vcc, exec, s[6:7]
	s_cbranch_vccz .LBB156_35
; %bb.34:
	v_mov_b32_e32 v2, 1.0
	v_mov_b32_e32 v3, 0
	ds_write_b64 v1, v[2:3]
.LBB156_35:
	s_or_b64 exec, exec, s[28:29]
	s_mul_i32 s6, s8, 0xffffffec
	s_add_i32 s43, s43, -1
	s_add_i32 s6, s6, s19
	s_cmp_ge_u32 s8, s43
	s_cselect_b32 s6, s6, 20
	v_cmp_gt_i32_e32 vcc, s6, v0
	s_waitcnt lgkmcnt(0)
	; wave barrier
	s_waitcnt lgkmcnt(0)
	s_and_saveexec_b64 s[6:7], vcc
	s_cbranch_execz .LBB156_103
; %bb.36:
	s_load_dwordx2 s[6:7], s[4:5], 0x58
	s_load_dword s12, s[4:5], 0x50
	s_waitcnt lgkmcnt(0)
	s_mul_i32 s5, s9, s7
	s_mul_hi_u32 s7, s9, s6
	s_mul_i32 s4, s9, s6
	s_add_i32 s5, s7, s5
	s_lshl_b64 s[6:7], s[4:5], 3
	s_add_u32 s4, s14, s6
	s_addc_u32 s5, s15, s7
	s_lshl_b64 s[10:11], s[26:27], 3
	s_add_u32 s9, s4, s10
	s_addc_u32 s13, s5, s11
	v_mad_u64_u32 v[0:1], s[4:5], s8, 20, v[0:1]
	v_mad_i64_i32 v[0:1], s[4:5], s12, v0, 0
	v_lshlrev_b64 v[0:1], 3, v[0:1]
	v_mov_b32_e32 v2, s13
	v_add_co_u32_e32 v10, vcc, s9, v0
	v_addc_co_u32_e32 v11, vcc, v2, v1, vcc
	s_cmpk_eq_i32 s16, 0x6f
	s_mov_b64 s[4:5], -1
	s_cbranch_scc1 .LBB156_70
; %bb.37:
	s_add_u32 s4, s14, s10
	s_addc_u32 s5, s15, s11
	s_add_u32 s4, s4, s6
	s_addc_u32 s5, s5, s7
	v_mov_b32_e32 v2, s5
	v_add_co_u32_e32 v3, vcc, s4, v0
	v_addc_co_u32_e32 v2, vcc, v2, v1, vcc
	v_add_co_u32_e32 v12, vcc, 4, v3
	s_lshl_b32 s34, s33, 3
	s_mov_b32 s17, 0
	s_mov_b32 s8, s24
	;; [unrolled: 1-line block ×5, first 2 shown]
	v_addc_co_u32_e32 v13, vcc, 0, v2, vcc
	s_add_i32 s34, s34, -8
	v_mov_b32_e32 v14, 0
	s_mov_b32 s18, s17
	s_mov_b32 s20, s42
	s_branch .LBB156_39
.LBB156_38:                             ;   in Loop: Header=BB156_39 Depth=1
	s_cmp_lt_i32 s20, 0
	s_cselect_b64 s[4:5], -1, 0
	s_add_i32 s18, s18, 1
	s_cmp_eq_u32 s18, 3
	s_cselect_b64 s[22:23], -1, 0
	s_or_b64 s[4:5], s[4:5], s[22:23]
	s_andn2_b64 vcc, exec, s[4:5]
	s_cbranch_vccz .LBB156_69
.LBB156_39:                             ; =>This Loop Header: Depth=1
                                        ;     Child Loop BB156_42 Depth 2
                                        ;       Child Loop BB156_44 Depth 3
                                        ;       Child Loop BB156_48 Depth 3
	;; [unrolled: 1-line block ×3, first 2 shown]
                                        ;         Child Loop BB156_54 Depth 4
                                        ;         Child Loop BB156_60 Depth 4
                                        ;       Child Loop BB156_63 Depth 3
                                        ;         Child Loop BB156_65 Depth 4
	s_mov_b32 s19, s17
	s_lshl_b64 s[4:5], s[18:19], 2
	s_getpc_b64 s[22:23]
	s_add_u32 s22, s22, __const._ZL30rocblas_trsm_small_left_deviceILi20ELi20ELb1E19rocblas_complex_numIfES1_PKS1_PS1_Ev13rocblas_fill_18rocblas_operation_17rocblas_diagonal_iiT3_T4_lilT5_lili.step_sizes@rel32@lo+4
	s_addc_u32 s23, s23, __const._ZL30rocblas_trsm_small_left_deviceILi20ELi20ELb1E19rocblas_complex_numIfES1_PKS1_PS1_Ev13rocblas_fill_18rocblas_operation_17rocblas_diagonal_iiT3_T4_lilT5_lili.step_sizes@rel32@hi+12
	s_add_u32 s4, s4, s22
	s_addc_u32 s5, s5, s23
	s_load_dword s19, s[4:5], 0x0
	s_waitcnt lgkmcnt(0)
	s_add_i32 s35, s19, -1
	s_cmp_lt_i32 s20, s35
	s_cbranch_scc1 .LBB156_38
; %bb.40:                               ;   in Loop: Header=BB156_39 Depth=1
	s_max_i32 s36, s19, 1
	s_cmp_lg_u32 s18, 2
	s_cselect_b64 s[22:23], -1, 0
	s_and_b32 s37, s36, 0x7ffffffe
	s_cmp_lg_u32 s36, s37
	s_mul_i32 s4, s20, 0xa0
	s_cselect_b64 s[26:27], -1, 0
	s_add_i32 s38, s34, s4
	s_mul_i32 s39, s19, 0xffffff60
	s_mul_i32 s40, s20, 0xa8
	;; [unrolled: 1-line block ×3, first 2 shown]
	s_branch .LBB156_42
.LBB156_41:                             ;   in Loop: Header=BB156_42 Depth=2
	s_sub_i32 s20, s20, s19
	s_add_i32 s38, s38, s39
	s_add_i32 s40, s40, s41
	s_cmp_lt_i32 s20, s35
	s_cbranch_scc1 .LBB156_38
.LBB156_42:                             ;   Parent Loop BB156_39 Depth=1
                                        ; =>  This Loop Header: Depth=2
                                        ;       Child Loop BB156_44 Depth 3
                                        ;       Child Loop BB156_48 Depth 3
	;; [unrolled: 1-line block ×3, first 2 shown]
                                        ;         Child Loop BB156_54 Depth 4
                                        ;         Child Loop BB156_60 Depth 4
                                        ;       Child Loop BB156_63 Depth 3
                                        ;         Child Loop BB156_65 Depth 4
	s_and_b64 vcc, exec, s[22:23]
	s_cbranch_vccz .LBB156_46
; %bb.43:                               ;   in Loop: Header=BB156_42 Depth=2
	v_mov_b32_e32 v2, 0
	s_mov_b32 s21, s20
	s_mov_b32 s28, 1
	;; [unrolled: 1-line block ×4, first 2 shown]
.LBB156_44:                             ;   Parent Loop BB156_39 Depth=1
                                        ;     Parent Loop BB156_42 Depth=2
                                        ; =>    This Inner Loop Header: Depth=3
	s_sub_i32 s4, s20, s29
	s_sub_i32 s44, s21, s28
	s_ashr_i32 s5, s4, 31
	s_ashr_i32 s45, s44, 31
	s_lshl_b64 s[4:5], s[4:5], 3
	s_lshl_b64 s[44:45], s[44:45], 3
	v_mov_b32_e32 v3, s5
	v_add_co_u32_e64 v6, s[4:5], s4, v10
	v_mov_b32_e32 v5, s45
	v_add_co_u32_e32 v4, vcc, s44, v10
	v_addc_co_u32_e64 v7, s[4:5], v11, v3, s[4:5]
	v_addc_co_u32_e32 v5, vcc, v11, v5, vcc
	global_load_dwordx2 v[8:9], v[6:7], off
	global_load_dwordx2 v[16:17], v[4:5], off
	s_add_i32 s29, s29, 2
	s_add_i32 s28, s28, 2
	s_add_i32 s30, s30, -2
	s_mov_b32 s16, s37
	s_mov_b64 s[4:5], s[26:27]
	s_cmp_lg_u32 s30, 0
	s_waitcnt vmcnt(1)
	v_mov_b32_e32 v4, v8
	s_waitcnt vmcnt(0)
	v_mov_b32_e32 v5, v16
	v_mov_b32_e32 v16, v9
	v_pk_mul_f32 v[6:7], v[16:17], s[12:13]
	v_pk_mul_f32 v[8:9], v[16:17], s[8:9]
	v_pk_fma_f32 v[6:7], v[4:5], s[8:9], v[6:7] neg_lo:[0,0,1] neg_hi:[0,0,1]
	v_pk_fma_f32 v[4:5], v[4:5], s[12:13], v[8:9]
	buffer_store_dword v4, v2, s[0:3], 0 offen offset:4
	buffer_store_dword v6, v2, s[0:3], 0 offen
	buffer_store_dword v5, v2, s[0:3], 0 offen offset:12
	buffer_store_dword v7, v2, s[0:3], 0 offen offset:8
	v_add_u32_e32 v2, 16, v2
	s_cbranch_scc1 .LBB156_44
; %bb.45:                               ;   in Loop: Header=BB156_42 Depth=2
	s_ashr_i32 s21, s20, 31
	s_and_b64 vcc, exec, s[4:5]
	s_cbranch_vccnz .LBB156_47
	s_branch .LBB156_49
.LBB156_46:                             ;   in Loop: Header=BB156_42 Depth=2
	s_mov_b32 s16, 0
	s_ashr_i32 s21, s20, 31
	s_cbranch_execz .LBB156_49
.LBB156_47:                             ;   in Loop: Header=BB156_42 Depth=2
	s_lshl_b64 s[28:29], s[20:21], 3
	s_sub_i32 s4, s36, s16
	s_lshl_b64 s[30:31], s[16:17], 3
	s_sub_u32 s5, s28, s30
	s_subb_u32 s28, s29, s31
	v_mov_b32_e32 v3, s28
	v_add_co_u32_e32 v2, vcc, s5, v12
	s_lshl_b32 s5, s16, 3
	v_addc_co_u32_e32 v3, vcc, v13, v3, vcc
	v_add_u32_e32 v4, s5, v14
.LBB156_48:                             ;   Parent Loop BB156_39 Depth=1
                                        ;     Parent Loop BB156_42 Depth=2
                                        ; =>    This Inner Loop Header: Depth=3
	global_load_dwordx2 v[6:7], v[2:3], off offset:-4
	s_add_i32 s4, s4, -1
	v_add_co_u32_e32 v2, vcc, -8, v2
	v_addc_co_u32_e32 v3, vcc, -1, v3, vcc
	s_cmp_eq_u32 s4, 0
	s_waitcnt vmcnt(0)
	v_mul_f32_e32 v5, s25, v7
	v_mul_f32_e32 v7, s24, v7
	v_fma_f32 v5, v6, s24, -v5
	v_fmac_f32_e32 v7, s25, v6
	buffer_store_dword v5, v4, s[0:3], 0 offen
	buffer_store_dword v7, v4, s[0:3], 0 offen offset:4
	v_add_u32_e32 v4, 8, v4
	s_cbranch_scc0 .LBB156_48
.LBB156_49:                             ;   in Loop: Header=BB156_42 Depth=2
	s_cmp_le_i32 s42, s20
	s_cbranch_scc1 .LBB156_61
; %bb.50:                               ;   in Loop: Header=BB156_42 Depth=2
	s_mov_b32 s16, s20
	s_mov_b32 s43, s20
	;; [unrolled: 1-line block ×4, first 2 shown]
	s_branch .LBB156_52
.LBB156_51:                             ;   in Loop: Header=BB156_52 Depth=3
	s_add_i32 s4, s4, -1
	s_add_i32 s44, s44, -8
	s_cmp_le_i32 s4, s20
	s_cbranch_scc1 .LBB156_61
.LBB156_52:                             ;   Parent Loop BB156_39 Depth=1
                                        ;     Parent Loop BB156_42 Depth=2
                                        ; =>    This Loop Header: Depth=3
                                        ;         Child Loop BB156_54 Depth 4
                                        ;         Child Loop BB156_60 Depth 4
	s_ashr_i32 s5, s4, 31
	s_lshl_b64 s[28:29], s[4:5], 3
	s_waitcnt vmcnt(0)
	v_mov_b32_e32 v3, s29
	v_add_co_u32_e32 v2, vcc, s28, v10
	v_addc_co_u32_e32 v3, vcc, v11, v3, vcc
	global_load_dwordx2 v[2:3], v[2:3], off
	s_and_b64 vcc, exec, s[22:23]
	s_cbranch_vccz .LBB156_56
; %bb.53:                               ;   in Loop: Header=BB156_52 Depth=3
	s_mov_b32 s5, s4
	s_waitcnt vmcnt(0)
	v_mov_b32_e32 v6, v2
	v_mov_b32_e32 v7, v2
	;; [unrolled: 1-line block ×6, first 2 shown]
	s_mov_b32 s28, 1
	s_mov_b32 s29, 0
	;; [unrolled: 1-line block ×3, first 2 shown]
.LBB156_54:                             ;   Parent Loop BB156_39 Depth=1
                                        ;     Parent Loop BB156_42 Depth=2
                                        ;       Parent Loop BB156_52 Depth=3
                                        ; =>      This Inner Loop Header: Depth=4
	buffer_load_dword v16, v5, s[0:3], 0 offen
	buffer_load_dword v18, v5, s[0:3], 0 offen offset:4
	buffer_load_dword v17, v5, s[0:3], 0 offen offset:8
	buffer_load_dword v19, v5, s[0:3], 0 offen offset:12
	s_sub_i32 s31, s43, s28
	s_sub_i32 s45, s16, s29
	s_mul_i32 s45, s45, 20
	s_mul_i32 s31, s31, 20
	s_add_i32 s31, s31, s5
	s_add_i32 s45, s45, s4
	s_lshl_b32 s45, s45, 3
	s_lshl_b32 s31, s31, 3
	v_mov_b32_e32 v15, s45
	v_mov_b32_e32 v22, s31
	ds_read_b64 v[20:21], v15
	ds_read_b64 v[22:23], v22
	s_add_i32 s29, s29, 2
	s_add_i32 s28, s28, 2
	s_add_i32 s30, s30, -2
	s_waitcnt lgkmcnt(1)
	v_mov_b32_e32 v24, v20
	s_waitcnt lgkmcnt(0)
	v_mov_b32_e32 v25, v22
	v_mov_b32_e32 v22, v21
	v_pk_mul_f32 v[20:21], v[22:23], v[8:9]
	v_pk_mul_f32 v[22:23], v[22:23], v[6:7]
	v_pk_fma_f32 v[20:21], v[24:25], v[6:7], v[20:21] neg_lo:[0,0,1] neg_hi:[0,0,1]
	v_pk_fma_f32 v[22:23], v[24:25], v[8:9], v[22:23]
	s_cmp_lg_u32 s30, 0
	s_waitcnt vmcnt(1)
	v_pk_add_f32 v[16:17], v[16:17], v[20:21] neg_lo:[0,1] neg_hi:[0,1]
	s_waitcnt vmcnt(0)
	v_pk_add_f32 v[18:19], v[18:19], v[22:23] neg_lo:[0,1] neg_hi:[0,1]
	buffer_store_dword v16, v5, s[0:3], 0 offen
	buffer_store_dword v18, v5, s[0:3], 0 offen offset:4
	buffer_store_dword v17, v5, s[0:3], 0 offen offset:8
	;; [unrolled: 1-line block ×3, first 2 shown]
	v_add_u32_e32 v5, 16, v5
	s_cbranch_scc1 .LBB156_54
; %bb.55:                               ;   in Loop: Header=BB156_52 Depth=3
	s_mov_b64 s[28:29], s[26:27]
	s_mov_b32 s30, s37
	s_branch .LBB156_58
.LBB156_56:                             ;   in Loop: Header=BB156_52 Depth=3
	s_mov_b64 s[28:29], 0
                                        ; implicit-def: $vgpr4_vgpr5
	s_mov_b32 s30, s37
	s_cbranch_execz .LBB156_58
; %bb.57:                               ;   in Loop: Header=BB156_52 Depth=3
	s_waitcnt vmcnt(0)
	v_mov_b32_e32 v4, v3
	s_mov_b64 s[28:29], -1
	s_mov_b32 s30, 0
.LBB156_58:                             ;   in Loop: Header=BB156_52 Depth=3
	s_andn2_b64 vcc, exec, s[28:29]
	s_cbranch_vccnz .LBB156_51
; %bb.59:                               ;   in Loop: Header=BB156_52 Depth=3
	s_mul_i32 s28, s30, 0xffffff60
	s_lshl_b32 s29, s30, 3
	s_waitcnt vmcnt(0)
	v_mov_b32_e32 v5, v3
	v_mov_b32_e32 v3, v2
	s_sub_i32 s5, s36, s30
	s_add_i32 s28, s44, s28
	v_add_u32_e32 v6, s29, v14
.LBB156_60:                             ;   Parent Loop BB156_39 Depth=1
                                        ;     Parent Loop BB156_42 Depth=2
                                        ;       Parent Loop BB156_52 Depth=3
                                        ; =>      This Inner Loop Header: Depth=4
	buffer_load_dword v8, v6, s[0:3], 0 offen
	buffer_load_dword v9, v6, s[0:3], 0 offen offset:4
	v_mov_b32_e32 v7, s28
	ds_read_b64 v[16:17], v7
	s_add_i32 s5, s5, -1
	s_addk_i32 s28, 0xff60
	s_cmp_eq_u32 s5, 0
	s_waitcnt lgkmcnt(0)
	v_pk_mul_f32 v[18:19], v[16:17], v[4:5]
	v_pk_fma_f32 v[20:21], v[16:17], v[2:3], v[18:19] op_sel:[0,0,1] op_sel_hi:[1,1,0] neg_lo:[0,0,1] neg_hi:[0,0,1]
	v_pk_fma_f32 v[16:17], v[16:17], v[2:3], v[18:19] op_sel:[0,0,1] op_sel_hi:[1,1,0]
	v_mov_b32_e32 v21, v17
	s_waitcnt vmcnt(0)
	v_pk_add_f32 v[8:9], v[8:9], v[20:21] neg_lo:[0,1] neg_hi:[0,1]
	buffer_store_dword v8, v6, s[0:3], 0 offen
	buffer_store_dword v9, v6, s[0:3], 0 offen offset:4
	v_add_u32_e32 v6, 8, v6
	s_cbranch_scc0 .LBB156_60
	s_branch .LBB156_51
.LBB156_61:                             ;   in Loop: Header=BB156_42 Depth=2
	s_mov_b32 s16, 0
	s_mov_b32 s43, s40
	s_branch .LBB156_63
.LBB156_62:                             ;   in Loop: Header=BB156_63 Depth=3
	s_mulk_i32 s28, 0xa8
	v_mov_b32_e32 v4, s28
	ds_read_b64 v[4:5], v4
	s_lshl_b64 s[4:5], s[4:5], 3
	s_lshl_b32 s28, s16, 3
	s_add_i32 s16, s16, 1
	s_addk_i32 s43, 0xff60
	s_waitcnt vmcnt(0) lgkmcnt(0)
	v_mul_f32_e32 v6, v5, v3
	v_mul_f32_e32 v7, v4, v3
	v_fma_f32 v6, v4, v2, -v6
	v_fmac_f32_e32 v7, v5, v2
	v_mov_b32_e32 v3, s5
	v_add_co_u32_e32 v2, vcc, s4, v10
	v_add_u32_e32 v8, s28, v14
	v_addc_co_u32_e32 v3, vcc, v11, v3, vcc
	s_cmp_eq_u32 s16, s36
	buffer_store_dword v6, v8, s[0:3], 0 offen
	buffer_store_dword v7, v8, s[0:3], 0 offen offset:4
	global_store_dwordx2 v[2:3], v[6:7], off
	s_cbranch_scc1 .LBB156_41
.LBB156_63:                             ;   Parent Loop BB156_39 Depth=1
                                        ;     Parent Loop BB156_42 Depth=2
                                        ; =>    This Loop Header: Depth=3
                                        ;         Child Loop BB156_65 Depth 4
	s_cmp_lg_u32 s16, 0
	s_cbranch_scc0 .LBB156_67
; %bb.64:                               ;   in Loop: Header=BB156_63 Depth=3
	s_lshl_b32 s4, s16, 3
	v_add_u32_e32 v4, s4, v14
	buffer_load_dword v2, v4, s[0:3], 0 offen
	buffer_load_dword v3, v4, s[0:3], 0 offen offset:4
	v_mov_b32_e32 v5, 0
	s_mov_b32 s4, 0
	s_mov_b32 s5, s43
.LBB156_65:                             ;   Parent Loop BB156_39 Depth=1
                                        ;     Parent Loop BB156_42 Depth=2
                                        ;       Parent Loop BB156_63 Depth=3
                                        ; =>      This Inner Loop Header: Depth=4
	buffer_load_dword v7, v5, s[0:3], 0 offen offset:4
	buffer_load_dword v6, v5, s[0:3], 0 offen
	v_mov_b32_e32 v8, s5
	ds_read_b64 v[8:9], v8
	s_add_i32 s4, s4, 1
	s_add_i32 s5, s5, -8
	v_add_u32_e32 v5, 8, v5
	s_cmp_ge_u32 s4, s16
	s_waitcnt vmcnt(1)
	v_mov_b32_e32 v16, v7
	s_waitcnt lgkmcnt(0)
	v_pk_mul_f32 v[16:17], v[8:9], v[16:17] op_sel_hi:[1,0]
	s_waitcnt vmcnt(0)
	v_pk_fma_f32 v[18:19], v[8:9], v[6:7], v[16:17] op_sel:[0,0,1] op_sel_hi:[1,1,0] neg_lo:[0,0,1] neg_hi:[0,0,1]
	v_pk_fma_f32 v[6:7], v[8:9], v[6:7], v[16:17] op_sel:[0,0,1] op_sel_hi:[1,0,0]
	v_mov_b32_e32 v19, v7
	v_pk_add_f32 v[2:3], v[2:3], v[18:19] neg_lo:[0,1] neg_hi:[0,1]
	buffer_store_dword v2, v4, s[0:3], 0 offen
	buffer_store_dword v3, v4, s[0:3], 0 offen offset:4
	s_cbranch_scc0 .LBB156_65
; %bb.66:                               ;   in Loop: Header=BB156_63 Depth=3
	s_sub_i32 s28, s20, s16
	s_ashr_i32 s29, s28, 31
	s_mov_b64 s[4:5], s[28:29]
	s_branch .LBB156_62
.LBB156_67:                             ;   in Loop: Header=BB156_63 Depth=3
                                        ; implicit-def: $vgpr2
                                        ; implicit-def: $sgpr28
                                        ; implicit-def: $sgpr4_sgpr5
	s_cbranch_execz .LBB156_62
; %bb.68:                               ;   in Loop: Header=BB156_63 Depth=3
	buffer_load_dword v2, off, s[0:3], 0
	buffer_load_dword v3, off, s[0:3], 0 offset:4
	s_mov_b64 s[4:5], s[20:21]
	s_mov_b32 s28, s20
	s_branch .LBB156_62
.LBB156_69:
	s_mov_b64 s[4:5], 0
.LBB156_70:
	s_and_b64 vcc, exec, s[4:5]
	s_cbranch_vccz .LBB156_103
; %bb.71:
	s_add_u32 s4, s14, s10
	s_addc_u32 s5, s15, s11
	s_add_u32 s4, s4, s6
	s_addc_u32 s5, s5, s7
	v_mov_b32_e32 v2, s5
	v_add_co_u32_e32 v0, vcc, s4, v0
	v_addc_co_u32_e32 v1, vcc, v2, v1, vcc
	v_add_co_u32_e32 v8, vcc, 4, v0
	s_mov_b32 s7, 0
	s_mov_b32 s8, s24
	;; [unrolled: 1-line block ×5, first 2 shown]
	v_addc_co_u32_e32 v9, vcc, 0, v1, vcc
	v_mov_b32_e32 v12, 0
	s_mov_b32 s20, s7
	s_mov_b32 s10, s7
	s_branch .LBB156_73
.LBB156_72:                             ;   in Loop: Header=BB156_73 Depth=1
	s_cmp_ge_i32 s20, s33
	s_cselect_b64 s[4:5], -1, 0
	s_add_i32 s10, s10, 1
	s_cmp_eq_u32 s10, 3
	s_cselect_b64 s[14:15], -1, 0
	s_or_b64 s[4:5], s[4:5], s[14:15]
	s_and_b64 vcc, exec, s[4:5]
	s_cbranch_vccnz .LBB156_103
.LBB156_73:                             ; =>This Loop Header: Depth=1
                                        ;     Child Loop BB156_76 Depth 2
                                        ;       Child Loop BB156_78 Depth 3
                                        ;       Child Loop BB156_82 Depth 3
	;; [unrolled: 1-line block ×3, first 2 shown]
                                        ;         Child Loop BB156_88 Depth 4
                                        ;         Child Loop BB156_94 Depth 4
                                        ;       Child Loop BB156_97 Depth 3
                                        ;         Child Loop BB156_99 Depth 4
	s_mov_b32 s11, s7
	s_lshl_b64 s[4:5], s[10:11], 2
	s_getpc_b64 s[14:15]
	s_add_u32 s14, s14, __const._ZL30rocblas_trsm_small_left_deviceILi20ELi20ELb1E19rocblas_complex_numIfES1_PKS1_PS1_Ev13rocblas_fill_18rocblas_operation_17rocblas_diagonal_iiT3_T4_lilT5_lili.step_sizes@rel32@lo+4
	s_addc_u32 s15, s15, __const._ZL30rocblas_trsm_small_left_deviceILi20ELi20ELb1E19rocblas_complex_numIfES1_PKS1_PS1_Ev13rocblas_fill_18rocblas_operation_17rocblas_diagonal_iiT3_T4_lilT5_lili.step_sizes@rel32@hi+12
	s_add_u32 s4, s4, s14
	s_addc_u32 s5, s5, s15
	s_load_dword s11, s[4:5], 0x0
	s_waitcnt lgkmcnt(0)
	s_add_i32 s21, s11, -1
	s_add_i32 s4, s21, s20
	s_cmp_ge_i32 s4, s33
	s_cbranch_scc1 .LBB156_72
; %bb.74:                               ;   in Loop: Header=BB156_73 Depth=1
	s_max_i32 s22, s11, 1
	s_cmp_lg_u32 s10, 2
	s_cselect_b64 s[14:15], -1, 0
	s_and_b32 s23, s22, 0x7ffffffe
	s_cmp_lg_u32 s22, s23
	s_cselect_b64 s[16:17], -1, 0
	s_ashr_i32 s26, s20, 31
	s_ashr_i32 s27, s11, 31
	s_mul_i32 s28, s20, 0xa8
	s_mul_i32 s29, s11, 0xa8
	s_branch .LBB156_76
.LBB156_75:                             ;   in Loop: Header=BB156_76 Depth=2
	s_add_u32 s20, s20, s11
	s_addc_u32 s26, s26, s27
	s_add_i32 s4, s21, s20
	s_add_i32 s28, s28, s29
	s_cmp_ge_i32 s4, s33
	s_cbranch_scc1 .LBB156_72
.LBB156_76:                             ;   Parent Loop BB156_73 Depth=1
                                        ; =>  This Loop Header: Depth=2
                                        ;       Child Loop BB156_78 Depth 3
                                        ;       Child Loop BB156_82 Depth 3
                                        ;       Child Loop BB156_86 Depth 3
                                        ;         Child Loop BB156_88 Depth 4
                                        ;         Child Loop BB156_94 Depth 4
                                        ;       Child Loop BB156_97 Depth 3
                                        ;         Child Loop BB156_99 Depth 4
	s_and_b64 vcc, exec, s[14:15]
	s_cbranch_vccz .LBB156_80
; %bb.77:                               ;   in Loop: Header=BB156_76 Depth=2
	v_mov_b32_e32 v0, 0
	s_mov_b32 s6, s20
	s_mov_b32 s18, s20
	;; [unrolled: 1-line block ×5, first 2 shown]
.LBB156_78:                             ;   Parent Loop BB156_73 Depth=1
                                        ;     Parent Loop BB156_76 Depth=2
                                        ; =>    This Inner Loop Header: Depth=3
	s_add_i32 s4, s30, s6
	s_add_i32 s34, s19, s18
	s_ashr_i32 s5, s4, 31
	s_ashr_i32 s35, s34, 31
	s_lshl_b64 s[4:5], s[4:5], 3
	s_lshl_b64 s[34:35], s[34:35], 3
	v_mov_b32_e32 v1, s5
	v_add_co_u32_e64 v4, s[4:5], s4, v10
	v_mov_b32_e32 v3, s35
	v_add_co_u32_e32 v2, vcc, s34, v10
	v_addc_co_u32_e64 v5, s[4:5], v11, v1, s[4:5]
	v_addc_co_u32_e32 v3, vcc, v11, v3, vcc
	global_load_dwordx2 v[6:7], v[4:5], off
	global_load_dwordx2 v[14:15], v[2:3], off
	s_add_i32 s30, s30, 2
	s_add_i32 s19, s19, 2
	s_add_i32 s31, s31, -2
	s_mov_b32 s34, s23
	s_mov_b64 s[4:5], s[16:17]
	s_cmp_lg_u32 s31, 0
	s_waitcnt vmcnt(1)
	v_mov_b32_e32 v2, v6
	s_waitcnt vmcnt(0)
	v_mov_b32_e32 v3, v14
	v_mov_b32_e32 v14, v7
	v_pk_mul_f32 v[4:5], v[14:15], s[12:13]
	v_pk_mul_f32 v[6:7], v[14:15], s[8:9]
	v_pk_fma_f32 v[4:5], v[2:3], s[8:9], v[4:5] neg_lo:[0,0,1] neg_hi:[0,0,1]
	v_pk_fma_f32 v[2:3], v[2:3], s[12:13], v[6:7]
	buffer_store_dword v2, v0, s[0:3], 0 offen offset:4
	buffer_store_dword v4, v0, s[0:3], 0 offen
	buffer_store_dword v3, v0, s[0:3], 0 offen offset:12
	buffer_store_dword v5, v0, s[0:3], 0 offen offset:8
	v_add_u32_e32 v0, 16, v0
	s_cbranch_scc1 .LBB156_78
; %bb.79:                               ;   in Loop: Header=BB156_76 Depth=2
	s_and_b64 vcc, exec, s[4:5]
	s_cbranch_vccnz .LBB156_81
	s_branch .LBB156_83
.LBB156_80:                             ;   in Loop: Header=BB156_76 Depth=2
	s_mov_b32 s34, 0
	s_cbranch_execz .LBB156_83
.LBB156_81:                             ;   in Loop: Header=BB156_76 Depth=2
	s_sub_i32 s4, s22, s34
	s_add_u32 s18, s20, s34
	s_addc_u32 s19, s26, 0
	s_lshl_b64 s[18:19], s[18:19], 3
	v_mov_b32_e32 v1, s19
	v_add_co_u32_e32 v0, vcc, s18, v8
	s_lshl_b32 s5, s34, 3
	v_addc_co_u32_e32 v1, vcc, v9, v1, vcc
	v_add_u32_e32 v2, s5, v12
.LBB156_82:                             ;   Parent Loop BB156_73 Depth=1
                                        ;     Parent Loop BB156_76 Depth=2
                                        ; =>    This Inner Loop Header: Depth=3
	global_load_dwordx2 v[4:5], v[0:1], off offset:-4
	s_add_i32 s4, s4, -1
	v_add_co_u32_e32 v0, vcc, 8, v0
	v_addc_co_u32_e32 v1, vcc, 0, v1, vcc
	s_cmp_eq_u32 s4, 0
	s_waitcnt vmcnt(0)
	v_mul_f32_e32 v3, s25, v5
	v_mul_f32_e32 v5, s24, v5
	v_fma_f32 v3, v4, s24, -v3
	v_fmac_f32_e32 v5, s25, v4
	buffer_store_dword v3, v2, s[0:3], 0 offen
	buffer_store_dword v5, v2, s[0:3], 0 offen offset:4
	v_add_u32_e32 v2, 8, v2
	s_cbranch_scc0 .LBB156_82
.LBB156_83:                             ;   in Loop: Header=BB156_76 Depth=2
	s_cmp_lt_i32 s20, 1
	s_cbranch_scc1 .LBB156_95
; %bb.84:                               ;   in Loop: Header=BB156_76 Depth=2
	s_mov_b32 s6, 0
	s_mov_b32 s30, s20
	s_branch .LBB156_86
.LBB156_85:                             ;   in Loop: Header=BB156_86 Depth=3
	s_add_i32 s6, s6, 1
	s_add_i32 s30, s30, 20
	s_cmp_ge_i32 s6, s20
	s_cbranch_scc1 .LBB156_95
.LBB156_86:                             ;   Parent Loop BB156_73 Depth=1
                                        ;     Parent Loop BB156_76 Depth=2
                                        ; =>    This Loop Header: Depth=3
                                        ;         Child Loop BB156_88 Depth 4
                                        ;         Child Loop BB156_94 Depth 4
	s_lshl_b64 s[4:5], s[6:7], 3
	s_waitcnt vmcnt(0)
	v_mov_b32_e32 v1, s5
	v_add_co_u32_e32 v0, vcc, s4, v10
	v_addc_co_u32_e32 v1, vcc, v11, v1, vcc
	global_load_dwordx2 v[0:1], v[0:1], off
	s_and_b64 vcc, exec, s[14:15]
	s_cbranch_vccz .LBB156_90
; %bb.87:                               ;   in Loop: Header=BB156_86 Depth=3
	s_mul_i32 s4, s6, 20
	s_add_i32 s4, s4, s20
	s_mov_b32 s5, s4
	s_waitcnt vmcnt(0)
	v_mov_b32_e32 v4, v0
	v_mov_b32_e32 v5, v0
	v_mov_b32_e32 v2, v1
	v_mov_b32_e32 v3, 0
	v_mov_b32_e32 v6, v1
	v_mov_b32_e32 v7, v1
	s_mov_b32 s18, 1
	s_mov_b32 s19, 0
	;; [unrolled: 1-line block ×3, first 2 shown]
.LBB156_88:                             ;   Parent Loop BB156_73 Depth=1
                                        ;     Parent Loop BB156_76 Depth=2
                                        ;       Parent Loop BB156_86 Depth=3
                                        ; =>      This Inner Loop Header: Depth=4
	buffer_load_dword v14, v3, s[0:3], 0 offen
	buffer_load_dword v16, v3, s[0:3], 0 offen offset:4
	buffer_load_dword v15, v3, s[0:3], 0 offen offset:8
	;; [unrolled: 1-line block ×3, first 2 shown]
	s_add_i32 s34, s5, s18
	s_add_i32 s35, s4, s19
	s_lshl_b32 s35, s35, 3
	s_lshl_b32 s34, s34, 3
	v_mov_b32_e32 v13, s35
	v_mov_b32_e32 v20, s34
	ds_read_b64 v[18:19], v13
	ds_read_b64 v[20:21], v20
	s_add_i32 s19, s19, 2
	s_add_i32 s18, s18, 2
	s_add_i32 s31, s31, -2
	s_waitcnt lgkmcnt(1)
	v_mov_b32_e32 v22, v18
	s_waitcnt lgkmcnt(0)
	v_mov_b32_e32 v23, v20
	v_mov_b32_e32 v20, v19
	v_pk_mul_f32 v[18:19], v[20:21], v[6:7]
	v_pk_mul_f32 v[20:21], v[20:21], v[4:5]
	v_pk_fma_f32 v[18:19], v[22:23], v[4:5], v[18:19] neg_lo:[0,0,1] neg_hi:[0,0,1]
	v_pk_fma_f32 v[20:21], v[22:23], v[6:7], v[20:21]
	s_cmp_lg_u32 s31, 0
	s_waitcnt vmcnt(1)
	v_pk_add_f32 v[14:15], v[14:15], v[18:19] neg_lo:[0,1] neg_hi:[0,1]
	s_waitcnt vmcnt(0)
	v_pk_add_f32 v[16:17], v[16:17], v[20:21] neg_lo:[0,1] neg_hi:[0,1]
	buffer_store_dword v14, v3, s[0:3], 0 offen
	buffer_store_dword v16, v3, s[0:3], 0 offen offset:4
	buffer_store_dword v15, v3, s[0:3], 0 offen offset:8
	;; [unrolled: 1-line block ×3, first 2 shown]
	v_add_u32_e32 v3, 16, v3
	s_cbranch_scc1 .LBB156_88
; %bb.89:                               ;   in Loop: Header=BB156_86 Depth=3
	s_mov_b64 s[4:5], s[16:17]
	s_mov_b32 s18, s23
	s_branch .LBB156_92
.LBB156_90:                             ;   in Loop: Header=BB156_86 Depth=3
	s_mov_b64 s[4:5], 0
                                        ; implicit-def: $vgpr2_vgpr3
	s_mov_b32 s18, s23
	s_cbranch_execz .LBB156_92
; %bb.91:                               ;   in Loop: Header=BB156_86 Depth=3
	s_waitcnt vmcnt(0)
	v_mov_b32_e32 v2, v1
	s_mov_b64 s[4:5], -1
	s_mov_b32 s18, 0
.LBB156_92:                             ;   in Loop: Header=BB156_86 Depth=3
	s_andn2_b64 vcc, exec, s[4:5]
	s_cbranch_vccnz .LBB156_85
; %bb.93:                               ;   in Loop: Header=BB156_86 Depth=3
	s_sub_i32 s4, s22, s18
	s_add_i32 s5, s18, s30
	s_lshl_b32 s18, s18, 3
	s_waitcnt vmcnt(0)
	v_mov_b32_e32 v3, v1
	v_mov_b32_e32 v1, v0
	s_lshl_b32 s5, s5, 3
	v_add_u32_e32 v4, s18, v12
.LBB156_94:                             ;   Parent Loop BB156_73 Depth=1
                                        ;     Parent Loop BB156_76 Depth=2
                                        ;       Parent Loop BB156_86 Depth=3
                                        ; =>      This Inner Loop Header: Depth=4
	buffer_load_dword v6, v4, s[0:3], 0 offen
	buffer_load_dword v7, v4, s[0:3], 0 offen offset:4
	v_mov_b32_e32 v5, s5
	ds_read_b64 v[14:15], v5
	s_add_i32 s4, s4, -1
	s_add_i32 s5, s5, 8
	s_cmp_eq_u32 s4, 0
	s_waitcnt lgkmcnt(0)
	v_pk_mul_f32 v[16:17], v[14:15], v[2:3]
	v_pk_fma_f32 v[18:19], v[14:15], v[0:1], v[16:17] op_sel:[0,0,1] op_sel_hi:[1,1,0] neg_lo:[0,0,1] neg_hi:[0,0,1]
	v_pk_fma_f32 v[14:15], v[14:15], v[0:1], v[16:17] op_sel:[0,0,1] op_sel_hi:[1,1,0]
	v_mov_b32_e32 v19, v15
	s_waitcnt vmcnt(0)
	v_pk_add_f32 v[6:7], v[6:7], v[18:19] neg_lo:[0,1] neg_hi:[0,1]
	buffer_store_dword v6, v4, s[0:3], 0 offen
	buffer_store_dword v7, v4, s[0:3], 0 offen offset:4
	v_add_u32_e32 v4, 8, v4
	s_cbranch_scc0 .LBB156_94
	s_branch .LBB156_85
.LBB156_95:                             ;   in Loop: Header=BB156_76 Depth=2
	s_mov_b32 s6, 0
	s_mov_b32 s30, s28
	s_branch .LBB156_97
.LBB156_96:                             ;   in Loop: Header=BB156_97 Depth=3
	s_mul_i32 s5, s4, 0xa8
	v_mov_b32_e32 v2, s5
	ds_read_b64 v[2:3], v2
	s_lshl_b32 s5, s6, 3
	v_add_u32_e32 v6, s5, v12
	s_ashr_i32 s5, s4, 31
	s_lshl_b64 s[4:5], s[4:5], 3
	s_waitcnt vmcnt(0) lgkmcnt(0)
	v_mul_f32_e32 v4, v3, v1
	v_mul_f32_e32 v5, v2, v1
	v_fma_f32 v4, v2, v0, -v4
	v_fmac_f32_e32 v5, v3, v0
	v_mov_b32_e32 v1, s5
	v_add_co_u32_e32 v0, vcc, s4, v10
	s_add_i32 s6, s6, 1
	s_add_i32 s30, s30, 8
	v_addc_co_u32_e32 v1, vcc, v11, v1, vcc
	s_cmp_eq_u32 s6, s22
	buffer_store_dword v4, v6, s[0:3], 0 offen
	buffer_store_dword v5, v6, s[0:3], 0 offen offset:4
	global_store_dwordx2 v[0:1], v[4:5], off
	s_cbranch_scc1 .LBB156_75
.LBB156_97:                             ;   Parent Loop BB156_73 Depth=1
                                        ;     Parent Loop BB156_76 Depth=2
                                        ; =>    This Loop Header: Depth=3
                                        ;         Child Loop BB156_99 Depth 4
	s_cmp_lg_u32 s6, 0
	s_cbranch_scc0 .LBB156_101
; %bb.98:                               ;   in Loop: Header=BB156_97 Depth=3
	s_lshl_b32 s4, s6, 3
	v_add_u32_e32 v2, s4, v12
	buffer_load_dword v0, v2, s[0:3], 0 offen
	buffer_load_dword v1, v2, s[0:3], 0 offen offset:4
	v_mov_b32_e32 v3, 0
	s_mov_b32 s4, 0
	s_mov_b32 s5, s30
.LBB156_99:                             ;   Parent Loop BB156_73 Depth=1
                                        ;     Parent Loop BB156_76 Depth=2
                                        ;       Parent Loop BB156_97 Depth=3
                                        ; =>      This Inner Loop Header: Depth=4
	buffer_load_dword v5, v3, s[0:3], 0 offen offset:4
	buffer_load_dword v4, v3, s[0:3], 0 offen
	v_mov_b32_e32 v6, s5
	ds_read_b64 v[6:7], v6
	s_add_i32 s4, s4, 1
	s_addk_i32 s5, 0xa0
	v_add_u32_e32 v3, 8, v3
	s_cmp_ge_u32 s4, s6
	s_waitcnt vmcnt(1)
	v_mov_b32_e32 v14, v5
	s_waitcnt lgkmcnt(0)
	v_pk_mul_f32 v[14:15], v[6:7], v[14:15] op_sel_hi:[1,0]
	s_waitcnt vmcnt(0)
	v_pk_fma_f32 v[16:17], v[6:7], v[4:5], v[14:15] op_sel:[0,0,1] op_sel_hi:[1,1,0] neg_lo:[0,0,1] neg_hi:[0,0,1]
	v_pk_fma_f32 v[4:5], v[6:7], v[4:5], v[14:15] op_sel:[0,0,1] op_sel_hi:[1,0,0]
	v_mov_b32_e32 v17, v5
	v_pk_add_f32 v[0:1], v[0:1], v[16:17] neg_lo:[0,1] neg_hi:[0,1]
	buffer_store_dword v0, v2, s[0:3], 0 offen
	buffer_store_dword v1, v2, s[0:3], 0 offen offset:4
	s_cbranch_scc0 .LBB156_99
; %bb.100:                              ;   in Loop: Header=BB156_97 Depth=3
	s_add_i32 s4, s6, s20
	s_branch .LBB156_96
.LBB156_101:                            ;   in Loop: Header=BB156_97 Depth=3
                                        ; implicit-def: $vgpr0
                                        ; implicit-def: $sgpr4
	s_cbranch_execz .LBB156_96
; %bb.102:                              ;   in Loop: Header=BB156_97 Depth=3
	buffer_load_dword v0, off, s[0:3], 0
	buffer_load_dword v1, off, s[0:3], 0 offset:4
	s_mov_b32 s4, s20
	s_branch .LBB156_96
.LBB156_103:
	s_endpgm
	.section	.rodata,"a",@progbits
	.p2align	6, 0x0
	.amdhsa_kernel _ZL30rocblas_trsm_small_left_deviceILi20ELi20ELb1E19rocblas_complex_numIfES1_PKS1_PS1_Ev13rocblas_fill_18rocblas_operation_17rocblas_diagonal_iiT3_T4_lilT5_lili
		.amdhsa_group_segment_fixed_size 3200
		.amdhsa_private_segment_fixed_size 176
		.amdhsa_kernarg_size 360
		.amdhsa_user_sgpr_count 8
		.amdhsa_user_sgpr_private_segment_buffer 1
		.amdhsa_user_sgpr_dispatch_ptr 0
		.amdhsa_user_sgpr_queue_ptr 0
		.amdhsa_user_sgpr_kernarg_segment_ptr 1
		.amdhsa_user_sgpr_dispatch_id 0
		.amdhsa_user_sgpr_flat_scratch_init 1
		.amdhsa_user_sgpr_kernarg_preload_length 0
		.amdhsa_user_sgpr_kernarg_preload_offset 0
		.amdhsa_user_sgpr_private_segment_size 0
		.amdhsa_uses_dynamic_stack 0
		.amdhsa_system_sgpr_private_segment_wavefront_offset 1
		.amdhsa_system_sgpr_workgroup_id_x 1
		.amdhsa_system_sgpr_workgroup_id_y 0
		.amdhsa_system_sgpr_workgroup_id_z 1
		.amdhsa_system_sgpr_workgroup_info 0
		.amdhsa_system_vgpr_workitem_id 0
		.amdhsa_next_free_vgpr 26
		.amdhsa_next_free_sgpr 46
		.amdhsa_accum_offset 28
		.amdhsa_reserve_vcc 1
		.amdhsa_reserve_flat_scratch 0
		.amdhsa_float_round_mode_32 0
		.amdhsa_float_round_mode_16_64 0
		.amdhsa_float_denorm_mode_32 3
		.amdhsa_float_denorm_mode_16_64 3
		.amdhsa_dx10_clamp 1
		.amdhsa_ieee_mode 1
		.amdhsa_fp16_overflow 0
		.amdhsa_tg_split 0
		.amdhsa_exception_fp_ieee_invalid_op 0
		.amdhsa_exception_fp_denorm_src 0
		.amdhsa_exception_fp_ieee_div_zero 0
		.amdhsa_exception_fp_ieee_overflow 0
		.amdhsa_exception_fp_ieee_underflow 0
		.amdhsa_exception_fp_ieee_inexact 0
		.amdhsa_exception_int_div_zero 0
	.end_amdhsa_kernel
	.section	.text._ZL30rocblas_trsm_small_left_deviceILi20ELi20ELb1E19rocblas_complex_numIfES1_PKS1_PS1_Ev13rocblas_fill_18rocblas_operation_17rocblas_diagonal_iiT3_T4_lilT5_lili,"axG",@progbits,_ZL30rocblas_trsm_small_left_deviceILi20ELi20ELb1E19rocblas_complex_numIfES1_PKS1_PS1_Ev13rocblas_fill_18rocblas_operation_17rocblas_diagonal_iiT3_T4_lilT5_lili,comdat
.Lfunc_end156:
	.size	_ZL30rocblas_trsm_small_left_deviceILi20ELi20ELb1E19rocblas_complex_numIfES1_PKS1_PS1_Ev13rocblas_fill_18rocblas_operation_17rocblas_diagonal_iiT3_T4_lilT5_lili, .Lfunc_end156-_ZL30rocblas_trsm_small_left_deviceILi20ELi20ELb1E19rocblas_complex_numIfES1_PKS1_PS1_Ev13rocblas_fill_18rocblas_operation_17rocblas_diagonal_iiT3_T4_lilT5_lili
                                        ; -- End function
	.section	.AMDGPU.csdata,"",@progbits
; Kernel info:
; codeLenInByte = 4360
; NumSgprs: 50
; NumVgprs: 26
; NumAgprs: 0
; TotalNumVgprs: 26
; ScratchSize: 176
; MemoryBound: 0
; FloatMode: 240
; IeeeMode: 1
; LDSByteSize: 3200 bytes/workgroup (compile time only)
; SGPRBlocks: 6
; VGPRBlocks: 3
; NumSGPRsForWavesPerEU: 50
; NumVGPRsForWavesPerEU: 26
; AccumOffset: 28
; Occupancy: 5
; WaveLimiterHint : 0
; COMPUTE_PGM_RSRC2:SCRATCH_EN: 1
; COMPUTE_PGM_RSRC2:USER_SGPR: 8
; COMPUTE_PGM_RSRC2:TRAP_HANDLER: 0
; COMPUTE_PGM_RSRC2:TGID_X_EN: 1
; COMPUTE_PGM_RSRC2:TGID_Y_EN: 0
; COMPUTE_PGM_RSRC2:TGID_Z_EN: 1
; COMPUTE_PGM_RSRC2:TIDIG_COMP_CNT: 0
; COMPUTE_PGM_RSRC3_GFX90A:ACCUM_OFFSET: 6
; COMPUTE_PGM_RSRC3_GFX90A:TG_SPLIT: 0
	.section	.text._ZL31rocblas_trsm_small_right_deviceI19rocblas_complex_numIfES1_PKS1_PS1_Li20EEv13rocblas_fill_18rocblas_operation_17rocblas_diagonal_iiT0_T1_lilT2_lili,"axG",@progbits,_ZL31rocblas_trsm_small_right_deviceI19rocblas_complex_numIfES1_PKS1_PS1_Li20EEv13rocblas_fill_18rocblas_operation_17rocblas_diagonal_iiT0_T1_lilT2_lili,comdat
	.globl	_ZL31rocblas_trsm_small_right_deviceI19rocblas_complex_numIfES1_PKS1_PS1_Li20EEv13rocblas_fill_18rocblas_operation_17rocblas_diagonal_iiT0_T1_lilT2_lili ; -- Begin function _ZL31rocblas_trsm_small_right_deviceI19rocblas_complex_numIfES1_PKS1_PS1_Li20EEv13rocblas_fill_18rocblas_operation_17rocblas_diagonal_iiT0_T1_lilT2_lili
	.p2align	8
	.type	_ZL31rocblas_trsm_small_right_deviceI19rocblas_complex_numIfES1_PKS1_PS1_Li20EEv13rocblas_fill_18rocblas_operation_17rocblas_diagonal_iiT0_T1_lilT2_lili,@function
_ZL31rocblas_trsm_small_right_deviceI19rocblas_complex_numIfES1_PKS1_PS1_Li20EEv13rocblas_fill_18rocblas_operation_17rocblas_diagonal_iiT0_T1_lilT2_lili: ; @_ZL31rocblas_trsm_small_right_deviceI19rocblas_complex_numIfES1_PKS1_PS1_Li20EEv13rocblas_fill_18rocblas_operation_17rocblas_diagonal_iiT0_T1_lilT2_lili
; %bb.0:
	s_load_dwordx8 s[12:19], s[4:5], 0x0
	s_load_dwordx4 s[20:23], s[4:5], 0x38
	s_load_dwordx2 s[26:27], s[4:5], 0x48
	s_waitcnt lgkmcnt(0)
	s_load_dword s19, s[4:5], 0x68
	s_mov_b32 s40, 0
	s_min_i32 s33, s16, 20
	s_add_i32 s42, s33, -1
	v_cmp_gt_i32_e32 vcc, s33, v0
	s_and_saveexec_b64 s[24:25], vcc
	s_cbranch_execz .LBB157_29
; %bb.1:
	s_load_dword s28, s[4:5], 0x30
	s_load_dwordx4 s[8:11], s[4:5], 0x20
	s_mul_i32 s0, s7, s21
	s_mul_hi_u32 s1, s7, s20
	s_mul_i32 s20, s7, s20
	s_waitcnt lgkmcnt(0)
	s_ashr_i32 s29, s28, 31
	s_cmpk_lg_i32 s13, 0x71
	s_cselect_b64 s[30:31], -1, 0
	s_add_i32 s21, s1, s0
	v_cndmask_b32_e64 v1, 0, 1, s[30:31]
	s_cmp_lt_u32 s42, 3
	v_cmp_ne_u32_e64 s[0:1], 1, v1
	s_cbranch_scc1 .LBB157_20
; %bb.2:
	s_lshl_b64 s[2:3], s[20:21], 3
	s_add_u32 s34, s8, s2
	s_addc_u32 s35, s9, s3
	s_lshl_b64 s[2:3], s[10:11], 3
	s_add_u32 s2, s34, s2
	s_addc_u32 s3, s35, s3
	v_lshlrev_b32_e32 v1, 3, v0
	v_mov_b32_e32 v3, s3
	v_add_co_u32_e32 v2, vcc, s2, v1
	s_mul_hi_i32 s2, s28, 24
	s_lshl_b64 s[34:35], s[28:29], 5
	s_lshl_b64 s[36:37], s[28:29], 4
	;; [unrolled: 1-line block ×3, first 2 shown]
	v_addc_co_u32_e32 v3, vcc, 0, v3, vcc
	s_and_b32 s40, s33, -4
	s_mul_i32 s41, s28, 24
	s_mov_b32 s43, 0
	v_mov_b32_e32 v8, s39
	v_mov_b32_e32 v9, s37
	;; [unrolled: 1-line block ×4, first 2 shown]
	s_branch .LBB157_4
.LBB157_3:                              ;   in Loop: Header=BB157_4 Depth=1
	global_load_dword v4, v[6:7], off
	s_add_i32 s43, s43, 4
	v_add_co_u32_e32 v2, vcc, s34, v2
	v_addc_co_u32_e32 v3, vcc, v3, v11, vcc
	s_cmp_eq_u32 s40, s43
	s_waitcnt vmcnt(0)
	ds_write_b64 v1, v[4:5] offset:480
	v_add_u32_e32 v1, 0x280, v1
	s_cbranch_scc1 .LBB157_20
.LBB157_4:                              ; =>This Inner Loop Header: Depth=1
	s_and_b64 vcc, exec, s[30:31]
	s_cbranch_vccz .LBB157_6
; %bb.5:                                ;   in Loop: Header=BB157_4 Depth=1
	global_load_dword v5, v[2:3], off offset:4
	s_cbranch_execz .LBB157_7
	s_branch .LBB157_8
.LBB157_6:                              ;   in Loop: Header=BB157_4 Depth=1
                                        ; implicit-def: $vgpr5
.LBB157_7:                              ;   in Loop: Header=BB157_4 Depth=1
	global_load_dword v4, v[2:3], off offset:4
	s_waitcnt vmcnt(0)
	v_xor_b32_e32 v5, 0x80000000, v4
.LBB157_8:                              ;   in Loop: Header=BB157_4 Depth=1
	global_load_dword v4, v[2:3], off
	v_add_co_u32_e64 v6, s[2:3], s38, v2
	s_and_b64 vcc, exec, s[0:1]
	v_addc_co_u32_e64 v7, s[2:3], v3, v8, s[2:3]
	s_waitcnt vmcnt(0)
	ds_write_b64 v1, v[4:5]
	s_cbranch_vccnz .LBB157_10
; %bb.9:                                ;   in Loop: Header=BB157_4 Depth=1
	global_load_dword v5, v[6:7], off offset:4
	s_cbranch_execz .LBB157_11
	s_branch .LBB157_12
.LBB157_10:                             ;   in Loop: Header=BB157_4 Depth=1
                                        ; implicit-def: $vgpr5
.LBB157_11:                             ;   in Loop: Header=BB157_4 Depth=1
	global_load_dword v4, v[6:7], off offset:4
	s_waitcnt vmcnt(0)
	v_xor_b32_e32 v5, 0x80000000, v4
.LBB157_12:                             ;   in Loop: Header=BB157_4 Depth=1
	global_load_dword v4, v[6:7], off
	v_add_co_u32_e64 v6, s[2:3], s36, v2
	s_and_b64 vcc, exec, s[0:1]
	v_addc_co_u32_e64 v7, s[2:3], v3, v9, s[2:3]
	s_waitcnt vmcnt(0)
	ds_write_b64 v1, v[4:5] offset:160
	s_cbranch_vccnz .LBB157_14
; %bb.13:                               ;   in Loop: Header=BB157_4 Depth=1
	global_load_dword v5, v[6:7], off offset:4
	s_cbranch_execz .LBB157_15
	s_branch .LBB157_16
.LBB157_14:                             ;   in Loop: Header=BB157_4 Depth=1
                                        ; implicit-def: $vgpr5
.LBB157_15:                             ;   in Loop: Header=BB157_4 Depth=1
	global_load_dword v4, v[6:7], off offset:4
	s_waitcnt vmcnt(0)
	v_xor_b32_e32 v5, 0x80000000, v4
.LBB157_16:                             ;   in Loop: Header=BB157_4 Depth=1
	global_load_dword v4, v[6:7], off
	v_add_co_u32_e64 v6, s[2:3], s41, v2
	s_and_b64 vcc, exec, s[0:1]
	v_addc_co_u32_e64 v7, s[2:3], v3, v10, s[2:3]
	s_waitcnt vmcnt(0)
	ds_write_b64 v1, v[4:5] offset:320
	s_cbranch_vccnz .LBB157_18
; %bb.17:                               ;   in Loop: Header=BB157_4 Depth=1
	global_load_dword v5, v[6:7], off offset:4
	s_cbranch_execnz .LBB157_3
	s_branch .LBB157_19
.LBB157_18:                             ;   in Loop: Header=BB157_4 Depth=1
                                        ; implicit-def: $vgpr5
.LBB157_19:                             ;   in Loop: Header=BB157_4 Depth=1
	global_load_dword v4, v[6:7], off offset:4
	s_waitcnt vmcnt(0)
	v_xor_b32_e32 v5, 0x80000000, v4
	s_branch .LBB157_3
.LBB157_20:
	s_and_b32 s30, s33, 3
	s_cmp_eq_u32 s30, 0
	s_cbranch_scc1 .LBB157_27
; %bb.21:
	s_mul_i32 s2, s40, 0xa0
	v_lshl_add_u32 v1, v0, 3, s2
	s_lshl_b64 s[2:3], s[20:21], 3
	s_mul_i32 s20, s29, s40
	s_mul_hi_u32 s21, s28, s40
	s_add_i32 s21, s21, s20
	s_mul_i32 s20, s28, s40
	s_lshl_b64 s[20:21], s[20:21], 3
	s_add_u32 s20, s2, s20
	s_addc_u32 s21, s3, s21
	s_lshl_b64 s[2:3], s[10:11], 3
	s_add_u32 s2, s20, s2
	s_addc_u32 s3, s21, s3
	s_add_u32 s2, s8, s2
	v_lshlrev_b32_e32 v2, 3, v0
	s_addc_u32 s3, s9, s3
	v_mov_b32_e32 v3, s3
	v_add_co_u32_e32 v2, vcc, s2, v2
	v_addc_co_u32_e32 v3, vcc, 0, v3, vcc
	v_add_co_u32_e32 v2, vcc, 4, v2
	s_lshl_b64 s[2:3], s[28:29], 3
	v_addc_co_u32_e32 v3, vcc, 0, v3, vcc
	v_mov_b32_e32 v6, s3
	s_branch .LBB157_23
.LBB157_22:                             ;   in Loop: Header=BB157_23 Depth=1
	global_load_dword v4, v[2:3], off offset:-4
	s_add_i32 s30, s30, -1
	v_add_co_u32_e32 v2, vcc, s2, v2
	s_cmp_lg_u32 s30, 0
	v_addc_co_u32_e32 v3, vcc, v3, v6, vcc
	s_waitcnt vmcnt(0)
	ds_write_b64 v1, v[4:5]
	v_add_u32_e32 v1, 0xa0, v1
	s_cbranch_scc0 .LBB157_27
.LBB157_23:                             ; =>This Inner Loop Header: Depth=1
	s_and_b64 vcc, exec, s[0:1]
	s_cbranch_vccnz .LBB157_25
; %bb.24:                               ;   in Loop: Header=BB157_23 Depth=1
	global_load_dword v5, v[2:3], off
	s_cbranch_execnz .LBB157_22
	s_branch .LBB157_26
.LBB157_25:                             ;   in Loop: Header=BB157_23 Depth=1
                                        ; implicit-def: $vgpr5
.LBB157_26:                             ;   in Loop: Header=BB157_23 Depth=1
	global_load_dword v4, v[2:3], off
	s_waitcnt vmcnt(0)
	v_xor_b32_e32 v5, 0x80000000, v4
	s_branch .LBB157_22
.LBB157_27:
	s_cmpk_eq_i32 s14, 0x84
	s_cbranch_scc0 .LBB157_29
; %bb.28:
	v_mul_u32_u24_e32 v1, 21, v0
	v_lshlrev_b32_e32 v1, 3, v1
	v_mov_b32_e32 v2, 1.0
	v_mov_b32_e32 v3, 0
	ds_write_b64 v1, v[2:3]
.LBB157_29:
	s_or_b64 exec, exec, s[24:25]
	s_load_dwordx2 s[0:1], s[4:5], 0x58
	s_load_dword s14, s[4:5], 0x50
	s_mul_i32 s39, s6, 0xa0
	s_mul_hi_i32 s38, s6, 0xa0
	s_waitcnt lgkmcnt(0)
	s_mul_i32 s1, s7, s1
	s_mul_hi_u32 s2, s7, s0
	s_mul_i32 s0, s7, s0
	s_add_i32 s1, s2, s1
	s_lshl_b64 s[24:25], s[0:1], 3
	s_add_u32 s0, s22, s24
	s_addc_u32 s1, s23, s25
	s_lshl_b64 s[20:21], s[26:27], 3
	s_add_u32 s0, s0, s20
	s_mul_i32 s2, s6, 0xffffffec
	s_addc_u32 s1, s1, s21
	s_add_i32 s19, s19, -1
	s_add_i32 s2, s2, s15
	s_cmp_ge_u32 s6, s19
	s_cselect_b32 s2, s2, 20
	s_add_u32 s40, s0, s39
	s_addc_u32 s41, s1, s38
	s_cmp_gt_i32 s16, 0
	v_cmp_gt_i32_e32 vcc, s2, v0
	s_cselect_b64 s[2:3], -1, 0
	s_mov_b32 s0, 0
	s_and_b64 s[26:27], vcc, s[2:3]
	s_and_saveexec_b64 s[28:29], s[26:27]
	s_cbranch_execz .LBB157_41
; %bb.30:
	s_cmp_lt_u32 s16, 2
	s_cselect_b64 s[4:5], -1, 0
	s_cmp_lg_u32 s14, 1
	s_cselect_b64 s[6:7], -1, 0
	s_or_b64 s[4:5], s[4:5], s[6:7]
	s_mov_b32 s1, 1
	s_mov_b64 s[2:3], -1
	s_and_b64 vcc, exec, s[4:5]
	s_cbranch_vccnz .LBB157_38
; %bb.31:
	s_add_i32 s0, s16, -2
	v_lshlrev_b32_e32 v1, 3, v0
	s_lshr_b32 s15, s0, 1
	v_mov_b32_e32 v2, s41
	v_add_co_u32_e32 v1, vcc, s40, v1
	s_add_i32 s15, s15, 1
	s_mov_b32 s35, 0
	v_addc_co_u32_e32 v2, vcc, 0, v2, vcc
	s_mov_b32 s30, s17
	s_mov_b32 s31, s17
	;; [unrolled: 1-line block ×3, first 2 shown]
	s_cmp_lt_u32 s0, 6
	s_mov_b32 s0, s35
	s_cbranch_scc1 .LBB157_35
; %bb.32:
	s_and_b32 s43, s15, -4
	s_mov_b32 s36, 1
	s_mov_b32 s34, s35
.LBB157_33:                             ; =>This Inner Loop Header: Depth=1
	s_lshl_b64 s[0:1], s[34:35], 3
	s_mov_b32 s37, s35
	s_add_i32 s2, s36, 2
	s_add_i32 s4, s34, 2
	s_mov_b32 s5, s35
	s_mov_b32 s3, s35
	s_add_i32 s6, s36, 4
	s_add_i32 s8, s34, 4
	s_mov_b32 s9, s35
	;; [unrolled: 4-line block ×3, first 2 shown]
	s_mov_b32 s11, s35
	v_mov_b32_e32 v3, s1
	v_add_co_u32_e32 v4, vcc, s0, v1
	s_lshl_b64 s[46:47], s[36:37], 3
	s_lshl_b64 s[4:5], s[4:5], 3
	;; [unrolled: 1-line block ×7, first 2 shown]
	v_addc_co_u32_e32 v5, vcc, v2, v3, vcc
	v_mov_b32_e32 v3, s47
	v_mov_b32_e32 v7, s5
	v_add_co_u32_e32 v6, vcc, s4, v1
	v_mov_b32_e32 v9, s3
	v_add_co_u32_e64 v8, s[0:1], s2, v1
	v_mov_b32_e32 v11, s9
	v_add_co_u32_e64 v10, s[2:3], s8, v1
	v_mov_b32_e32 v13, s7
	v_add_co_u32_e64 v12, s[4:5], s6, v1
	v_mov_b32_e32 v15, s45
	v_add_co_u32_e64 v14, s[6:7], s44, v1
	v_mov_b32_e32 v17, s11
	v_add_co_u32_e64 v16, s[8:9], s10, v1
	v_add_co_u32_e64 v18, s[10:11], s46, v1
	v_addc_co_u32_e64 v19, s[10:11], v2, v3, s[10:11]
	v_addc_co_u32_e32 v7, vcc, v2, v7, vcc
	v_addc_co_u32_e64 v9, vcc, v2, v9, s[0:1]
	v_addc_co_u32_e64 v11, vcc, v2, v11, s[2:3]
	;; [unrolled: 1-line block ×5, first 2 shown]
	global_load_dwordx2 v[20:21], v[4:5], off
	global_load_dwordx2 v[22:23], v[18:19], off
	;; [unrolled: 1-line block ×8, first 2 shown]
	s_mul_i32 s0, s36, 20
	s_mul_i32 s1, s34, 20
	s_add_i32 s34, s34, 8
	s_add_i32 s43, s43, -4
	v_add_lshl_u32 v3, s1, v0, 3
	v_add_lshl_u32 v36, s0, v0, 3
	s_add_i32 s2, s0, 40
	s_add_i32 s3, s1, 40
	;; [unrolled: 1-line block ×4, first 2 shown]
	s_addk_i32 s0, 0x78
	s_addk_i32 s1, 0x78
	s_add_i32 s36, s36, 8
	s_cmp_lg_u32 s43, 0
	v_add_lshl_u32 v37, s3, v0, 3
	v_add_lshl_u32 v38, s2, v0, 3
	;; [unrolled: 1-line block ×6, first 2 shown]
	s_waitcnt vmcnt(7)
	v_mov_b32_e32 v4, v20
	s_waitcnt vmcnt(6)
	v_mov_b32_e32 v5, v22
	v_mov_b32_e32 v22, v21
	s_waitcnt vmcnt(4)
	v_mov_b32_e32 v7, v26
	;; [unrolled: 3-line block ×4, first 2 shown]
	v_mov_b32_e32 v34, v33
	v_pk_mul_f32 v[12:13], s[18:19], v[22:23]
	v_pk_mul_f32 v[14:15], s[30:31], v[22:23]
	v_mov_b32_e32 v6, v24
	v_mov_b32_e32 v8, v28
	;; [unrolled: 1-line block ×3, first 2 shown]
	v_pk_mul_f32 v[16:17], s[18:19], v[26:27]
	v_pk_mul_f32 v[18:19], s[30:31], v[26:27]
	v_pk_mul_f32 v[20:21], s[18:19], v[30:31]
	v_pk_mul_f32 v[22:23], s[30:31], v[30:31]
	v_pk_mul_f32 v[24:25], s[18:19], v[34:35]
	v_pk_mul_f32 v[26:27], s[30:31], v[34:35]
	v_pk_fma_f32 v[12:13], s[30:31], v[4:5], v[12:13] neg_lo:[0,0,1] neg_hi:[0,0,1]
	v_pk_fma_f32 v[4:5], s[18:19], v[4:5], v[14:15]
	v_pk_fma_f32 v[14:15], s[30:31], v[6:7], v[16:17] neg_lo:[0,0,1] neg_hi:[0,0,1]
	v_pk_fma_f32 v[6:7], s[18:19], v[6:7], v[18:19]
	;; [unrolled: 2-line block ×4, first 2 shown]
	v_mov_b32_e32 v20, v12
	v_mov_b32_e32 v21, v4
	;; [unrolled: 1-line block ×12, first 2 shown]
	ds_write_b64 v3, v[20:21] offset:3200
	ds_write_b64 v36, v[4:5] offset:3200
	;; [unrolled: 1-line block ×8, first 2 shown]
	s_cbranch_scc1 .LBB157_33
; %bb.34:
	s_mov_b32 s35, s36
	s_mov_b64 s[0:1], s[34:35]
.LBB157_35:
	s_and_b32 s4, s15, 3
	s_cmp_eq_u32 s4, 0
	s_mov_b32 s3, 0
	s_cbranch_scc1 .LBB157_37
.LBB157_36:                             ; =>This Inner Loop Header: Depth=1
	s_mov_b32 s2, s0
	s_lshl_b64 s[6:7], s[2:3], 3
	s_mov_b32 s2, s1
	v_mov_b32_e32 v3, s7
	v_add_co_u32_e32 v4, vcc, s6, v1
	s_lshl_b64 s[8:9], s[2:3], 3
	v_addc_co_u32_e32 v5, vcc, v2, v3, vcc
	v_mov_b32_e32 v3, s9
	v_add_co_u32_e32 v6, vcc, s8, v1
	v_addc_co_u32_e32 v7, vcc, v2, v3, vcc
	global_load_dwordx2 v[8:9], v[4:5], off
	global_load_dwordx2 v[10:11], v[6:7], off
	s_mul_i32 s2, s1, 20
	s_mul_i32 s5, s0, 20
	s_add_i32 s0, s0, 2
	s_add_i32 s4, s4, -1
	s_add_i32 s1, s1, 2
	v_add_lshl_u32 v3, s5, v0, 3
	s_cmp_lg_u32 s4, 0
	v_add_lshl_u32 v12, s2, v0, 3
	s_waitcnt vmcnt(1)
	v_mov_b32_e32 v4, v8
	s_waitcnt vmcnt(0)
	v_mov_b32_e32 v5, v10
	v_mov_b32_e32 v10, v9
	v_pk_mul_f32 v[6:7], s[18:19], v[10:11]
	v_pk_mul_f32 v[8:9], s[30:31], v[10:11]
	v_pk_fma_f32 v[6:7], s[30:31], v[4:5], v[6:7] neg_lo:[0,0,1] neg_hi:[0,0,1]
	v_pk_fma_f32 v[4:5], s[18:19], v[4:5], v[8:9]
	v_mov_b32_e32 v8, v6
	v_mov_b32_e32 v9, v4
	;; [unrolled: 1-line block ×3, first 2 shown]
	ds_write_b64 v3, v[8:9] offset:3200
	ds_write_b64 v12, v[4:5] offset:3200
	s_cbranch_scc1 .LBB157_36
.LBB157_37:
	s_and_b32 s0, s16, 0x7ffffffe
	s_cmp_lg_u32 s0, s16
	s_cselect_b64 s[2:3], -1, 0
.LBB157_38:
	s_and_b64 vcc, exec, s[2:3]
	s_cbranch_vccz .LBB157_41
; %bb.39:
	s_mul_i32 s1, s0, 0xa0
	s_sub_i32 s2, s16, s0
	v_lshl_add_u32 v1, v0, 3, s1
	s_mul_hi_i32 s1, s14, s0
	s_mul_i32 s0, s14, s0
	s_ashr_i32 s15, s14, 31
	s_lshl_b64 s[0:1], s[0:1], 3
	s_add_u32 s0, s24, s0
	s_addc_u32 s1, s25, s1
	s_add_u32 s0, s0, s39
	s_addc_u32 s1, s1, s38
	;; [unrolled: 2-line block ×3, first 2 shown]
	s_add_u32 s0, s22, s0
	v_lshlrev_b32_e32 v2, 3, v0
	s_addc_u32 s1, s23, s1
	v_mov_b32_e32 v3, s1
	v_add_co_u32_e32 v2, vcc, s0, v2
	v_addc_co_u32_e32 v3, vcc, 0, v3, vcc
	v_add_co_u32_e32 v2, vcc, 4, v2
	s_lshl_b64 s[0:1], s[14:15], 3
	v_add_u32_e32 v1, 0xc80, v1
	v_addc_co_u32_e32 v3, vcc, 0, v3, vcc
	v_mov_b32_e32 v4, s1
.LBB157_40:                             ; =>This Inner Loop Header: Depth=1
	global_load_dwordx2 v[6:7], v[2:3], off offset:-4
	s_add_i32 s2, s2, -1
	v_add_co_u32_e32 v2, vcc, s0, v2
	v_addc_co_u32_e32 v3, vcc, v3, v4, vcc
	s_cmp_lg_u32 s2, 0
	s_waitcnt vmcnt(0)
	v_mul_f32_e32 v5, s18, v7
	v_mul_f32_e32 v9, s17, v7
	v_fma_f32 v8, s17, v6, -v5
	v_fmac_f32_e32 v9, s18, v6
	ds_write_b64 v1, v[8:9]
	v_add_u32_e32 v1, 0xa0, v1
	s_cbranch_scc1 .LBB157_40
.LBB157_41:
	s_or_b64 exec, exec, s[28:29]
	s_cmpk_eq_i32 s13, 0x6f
	s_cselect_b64 s[0:1], -1, 0
	s_cmpk_eq_i32 s12, 0x79
	s_cselect_b64 s[4:5], -1, 0
	s_cmpk_lg_i32 s12, 0x79
	s_cselect_b64 s[2:3], -1, 0
	s_and_b64 s[4:5], s[4:5], s[0:1]
	s_andn2_b64 vcc, exec, s[4:5]
	s_mov_b64 s[4:5], -1
	s_waitcnt lgkmcnt(0)
	; wave barrier
	s_waitcnt lgkmcnt(0)
	s_cbranch_vccz .LBB157_149
; %bb.42:
	s_cmpk_lg_i32 s12, 0x7a
	s_cselect_b64 s[6:7], -1, 0
	s_xor_b64 s[0:1], s[0:1], -1
	s_or_b64 s[6:7], s[6:7], s[0:1]
	s_cmp_gt_i32 s16, 3
	s_cselect_b64 s[0:1], -1, 0
	s_and_b64 vcc, exec, s[6:7]
	s_cbranch_vccz .LBB157_116
; %bb.43:
	s_andn2_b64 vcc, exec, s[2:3]
	s_mov_b64 s[2:3], -1
	s_cbranch_vccnz .LBB157_83
; %bb.44:
	s_andn2_b64 vcc, exec, s[0:1]
	s_mov_b32 s6, 0
	s_cbranch_vccnz .LBB157_67
; %bb.45:
	v_mov_b32_e32 v1, 0xc80
	v_lshl_add_u32 v1, v0, 3, v1
	s_mov_b32 s4, 0
	s_mov_b32 s5, 0
.LBB157_46:                             ; =>This Loop Header: Depth=1
                                        ;     Child Loop BB157_48 Depth 2
	s_mul_i32 s6, s5, 20
	v_add_lshl_u32 v8, s6, v0, 3
	s_add_i32 s7, s6, 20
	s_add_i32 s6, s6, 40
	v_add_lshl_u32 v12, s6, v0, 3
	v_add_u32_e32 v2, 0x800, v12
	v_add_lshl_u32 v9, s7, v0, 3
	ds_read_b64 v[6:7], v8 offset:3200
	ds_read_b64 v[10:11], v9 offset:3200
	ds_read2_b64 v[2:5], v2 offset0:144 offset1:164
	s_cmp_eq_u32 s5, 0
	s_cbranch_scc1 .LBB157_49
; %bb.47:                               ;   in Loop: Header=BB157_46 Depth=1
	s_mov_b32 s2, 0
	v_mov_b32_e32 v13, v1
	s_mov_b32 s3, s4
.LBB157_48:                             ;   Parent Loop BB157_46 Depth=1
                                        ; =>  This Inner Loop Header: Depth=2
	ds_read2_b64 v[14:17], v13 offset1:20
	v_mov_b32_e32 v30, s3
	ds_read_b128 v[18:21], v30
	ds_read_b128 v[22:25], v30 offset:16
	ds_read_b128 v[26:29], v30 offset:160
	;; [unrolled: 1-line block ×3, first 2 shown]
	s_add_i32 s2, s2, 2
	s_addk_i32 s3, 0x140
	s_waitcnt lgkmcnt(3)
	v_mul_f32_e32 v34, v19, v15
	v_mul_f32_e32 v35, v18, v15
	v_mul_f32_e32 v36, v21, v15
	v_mul_f32_e32 v21, v21, v14
	s_waitcnt lgkmcnt(2)
	v_mul_f32_e32 v37, v23, v15
	v_mul_f32_e32 v23, v23, v14
	v_mul_f32_e32 v38, v25, v15
	v_mul_f32_e32 v25, v25, v14
	;; [unrolled: 5-line block ×4, first 2 shown]
	v_fma_f32 v18, v18, v14, -v34
	v_fmac_f32_e32 v35, v19, v14
	v_fma_f32 v19, v20, v14, -v36
	v_fmac_f32_e32 v21, v20, v15
	;; [unrolled: 2-line block ×8, first 2 shown]
	v_sub_f32_e32 v6, v6, v18
	v_sub_f32_e32 v7, v7, v35
	;; [unrolled: 1-line block ×8, first 2 shown]
	v_add_u32_e32 v13, 0x140, v13
	s_cmp_ge_u32 s2, s5
	v_sub_f32_e32 v6, v6, v15
	v_sub_f32_e32 v7, v7, v40
	;; [unrolled: 1-line block ×8, first 2 shown]
	s_cbranch_scc0 .LBB157_48
.LBB157_49:                             ;   in Loop: Header=BB157_46 Depth=1
	s_mul_i32 s8, s5, 0xa8
	v_add_u32_e32 v16, 0xc80, v8
	v_mov_b32_e32 v8, s8
	v_add_u32_e32 v15, 0xc80, v9
	ds_read_b64 v[8:9], v8
	v_add_u32_e32 v14, 0xc80, v12
	s_waitcnt lgkmcnt(0)
	v_cmp_gt_f32_e32 vcc, 0, v9
	v_cndmask_b32_e64 v12, v9, -v9, vcc
	v_cmp_gt_f32_e32 vcc, 0, v8
	v_cndmask_b32_e64 v13, v8, -v8, vcc
	v_cmp_ngt_f32_e32 vcc, v13, v12
	s_cbranch_vccz .LBB157_51
; %bb.50:                               ;   in Loop: Header=BB157_46 Depth=1
	v_div_scale_f32 v12, s[2:3], v9, v9, v8
	v_rcp_f32_e32 v13, v12
	v_div_scale_f32 v17, vcc, v8, v9, v8
	v_fma_f32 v18, -v12, v13, 1.0
	v_fmac_f32_e32 v13, v18, v13
	v_mul_f32_e32 v18, v17, v13
	v_fma_f32 v19, -v12, v18, v17
	v_fmac_f32_e32 v18, v19, v13
	v_fma_f32 v12, -v12, v18, v17
	v_div_fmas_f32 v12, v12, v13, v18
	v_div_fixup_f32 v13, v12, v9, v8
	v_fma_f32 v12, v8, v13, v9
	v_div_scale_f32 v17, s[2:3], v12, v12, 1.0
	v_rcp_f32_e32 v18, v17
	v_fma_f32 v19, -v17, v18, 1.0
	v_fmac_f32_e32 v18, v19, v18
	v_div_scale_f32 v19, vcc, 1.0, v12, 1.0
	v_mul_f32_e32 v20, v19, v18
	v_fma_f32 v21, -v17, v20, v19
	v_fmac_f32_e32 v20, v21, v18
	v_fma_f32 v17, -v17, v20, v19
	v_div_fmas_f32 v17, v17, v18, v20
	v_div_fixup_f32 v17, v17, v12, 1.0
	v_fma_f32 v12, v6, v13, v7
	v_fma_f32 v13, v7, v13, -v6
	v_mul_f32_e32 v12, v12, v17
	v_mul_f32_e32 v13, v13, v17
	s_cbranch_execz .LBB157_52
	s_branch .LBB157_53
.LBB157_51:                             ;   in Loop: Header=BB157_46 Depth=1
                                        ; implicit-def: $vgpr13
.LBB157_52:                             ;   in Loop: Header=BB157_46 Depth=1
	v_div_scale_f32 v12, s[2:3], v8, v8, v9
	v_rcp_f32_e32 v13, v12
	v_div_scale_f32 v17, vcc, v9, v8, v9
	v_fma_f32 v18, -v12, v13, 1.0
	v_fmac_f32_e32 v13, v18, v13
	v_mul_f32_e32 v18, v17, v13
	v_fma_f32 v19, -v12, v18, v17
	v_fmac_f32_e32 v18, v19, v13
	v_fma_f32 v12, -v12, v18, v17
	v_div_fmas_f32 v12, v12, v13, v18
	v_div_fixup_f32 v13, v12, v8, v9
	v_fmac_f32_e32 v8, v9, v13
	v_div_scale_f32 v9, s[2:3], v8, v8, 1.0
	v_rcp_f32_e32 v12, v9
	v_fma_f32 v17, -v9, v12, 1.0
	v_fmac_f32_e32 v12, v17, v12
	v_div_scale_f32 v17, vcc, 1.0, v8, 1.0
	v_mul_f32_e32 v18, v17, v12
	v_fma_f32 v19, -v9, v18, v17
	v_fmac_f32_e32 v18, v19, v12
	v_fma_f32 v9, -v9, v18, v17
	v_div_fmas_f32 v9, v9, v12, v18
	v_div_fixup_f32 v8, v9, v8, 1.0
	v_fma_f32 v9, v7, v13, v6
	v_fma_f32 v6, -v6, v13, v7
	v_mul_f32_e32 v12, v9, v8
	v_mul_f32_e32 v13, v6, v8
.LBB157_53:                             ;   in Loop: Header=BB157_46 Depth=1
	v_mov_b32_e32 v6, s8
	ds_read2_b64 v[6:9], v6 offset0:1 offset1:21
	ds_write_b64 v16, v[12:13]
	s_waitcnt lgkmcnt(1)
	v_mul_f32_e32 v16, v13, v7
	v_mul_f32_e32 v7, v12, v7
	v_fma_f32 v16, v12, v6, -v16
	v_cmp_gt_f32_e32 vcc, 0, v9
	v_fmac_f32_e32 v7, v13, v6
	v_sub_f32_e32 v6, v10, v16
	v_cndmask_b32_e64 v10, v9, -v9, vcc
	v_cmp_gt_f32_e32 vcc, 0, v8
	v_sub_f32_e32 v7, v11, v7
	v_cndmask_b32_e64 v11, v8, -v8, vcc
	v_cmp_ngt_f32_e32 vcc, v11, v10
	s_cbranch_vccz .LBB157_55
; %bb.54:                               ;   in Loop: Header=BB157_46 Depth=1
	v_div_scale_f32 v10, s[2:3], v9, v9, v8
	v_rcp_f32_e32 v11, v10
	v_div_scale_f32 v16, vcc, v8, v9, v8
	v_fma_f32 v17, -v10, v11, 1.0
	v_fmac_f32_e32 v11, v17, v11
	v_mul_f32_e32 v17, v16, v11
	v_fma_f32 v18, -v10, v17, v16
	v_fmac_f32_e32 v17, v18, v11
	v_fma_f32 v10, -v10, v17, v16
	v_div_fmas_f32 v10, v10, v11, v17
	v_div_fixup_f32 v11, v10, v9, v8
	v_fma_f32 v10, v8, v11, v9
	v_div_scale_f32 v16, s[2:3], v10, v10, 1.0
	v_rcp_f32_e32 v17, v16
	v_fma_f32 v18, -v16, v17, 1.0
	v_fmac_f32_e32 v17, v18, v17
	v_div_scale_f32 v18, vcc, 1.0, v10, 1.0
	v_mul_f32_e32 v19, v18, v17
	v_fma_f32 v20, -v16, v19, v18
	v_fmac_f32_e32 v19, v20, v17
	v_fma_f32 v16, -v16, v19, v18
	v_div_fmas_f32 v16, v16, v17, v19
	v_div_fixup_f32 v16, v16, v10, 1.0
	v_fma_f32 v10, v11, v6, v7
	v_fma_f32 v11, v11, v7, -v6
	v_mul_f32_e32 v10, v10, v16
	v_mul_f32_e32 v11, v11, v16
	s_cbranch_execz .LBB157_56
	s_branch .LBB157_57
.LBB157_55:                             ;   in Loop: Header=BB157_46 Depth=1
                                        ; implicit-def: $vgpr11
.LBB157_56:                             ;   in Loop: Header=BB157_46 Depth=1
	v_div_scale_f32 v10, s[2:3], v8, v8, v9
	v_rcp_f32_e32 v11, v10
	v_div_scale_f32 v16, vcc, v9, v8, v9
	v_fma_f32 v17, -v10, v11, 1.0
	v_fmac_f32_e32 v11, v17, v11
	v_mul_f32_e32 v17, v16, v11
	v_fma_f32 v18, -v10, v17, v16
	v_fmac_f32_e32 v17, v18, v11
	v_fma_f32 v10, -v10, v17, v16
	v_div_fmas_f32 v10, v10, v11, v17
	v_div_fixup_f32 v11, v10, v8, v9
	v_fmac_f32_e32 v8, v9, v11
	v_div_scale_f32 v9, s[2:3], v8, v8, 1.0
	v_rcp_f32_e32 v10, v9
	v_fma_f32 v16, -v9, v10, 1.0
	v_fmac_f32_e32 v10, v16, v10
	v_div_scale_f32 v16, vcc, 1.0, v8, 1.0
	v_mul_f32_e32 v17, v16, v10
	v_fma_f32 v18, -v9, v17, v16
	v_fmac_f32_e32 v17, v18, v10
	v_fma_f32 v9, -v9, v17, v16
	v_div_fmas_f32 v9, v9, v10, v17
	v_div_fixup_f32 v8, v9, v8, 1.0
	v_fma_f32 v9, v11, v7, v6
	v_fma_f32 v6, -v11, v6, v7
	v_mul_f32_e32 v10, v9, v8
	v_mul_f32_e32 v11, v6, v8
.LBB157_57:                             ;   in Loop: Header=BB157_46 Depth=1
	v_mov_b32_e32 v6, s8
	ds_read2_b64 v[6:9], v6 offset0:2 offset1:42
	s_add_i32 s7, s7, s5
	s_lshl_b32 s7, s7, 3
	ds_write_b64 v15, v[10:11]
	v_mov_b32_e32 v15, s7
	s_waitcnt lgkmcnt(1)
	v_mul_f32_e32 v16, v13, v7
	v_fma_f32 v18, v12, v6, -v16
	ds_read_b64 v[16:17], v15 offset:16
	v_mul_f32_e32 v7, v12, v7
	v_fmac_f32_e32 v7, v13, v6
	v_sub_f32_e32 v2, v2, v18
	v_sub_f32_e32 v3, v3, v7
	s_waitcnt lgkmcnt(0)
	v_mul_f32_e32 v6, v11, v17
	v_fma_f32 v6, v10, v16, -v6
	v_mul_f32_e32 v7, v10, v17
	v_cmp_gt_f32_e32 vcc, 0, v9
	v_fmac_f32_e32 v7, v11, v16
	v_sub_f32_e32 v6, v2, v6
	v_cndmask_b32_e64 v2, v9, -v9, vcc
	v_cmp_gt_f32_e32 vcc, 0, v8
	v_sub_f32_e32 v7, v3, v7
	v_cndmask_b32_e64 v3, v8, -v8, vcc
	v_cmp_ngt_f32_e32 vcc, v3, v2
	s_cbranch_vccz .LBB157_59
; %bb.58:                               ;   in Loop: Header=BB157_46 Depth=1
	v_div_scale_f32 v2, s[2:3], v9, v9, v8
	v_rcp_f32_e32 v3, v2
	v_div_scale_f32 v15, vcc, v8, v9, v8
	v_fma_f32 v16, -v2, v3, 1.0
	v_fmac_f32_e32 v3, v16, v3
	v_mul_f32_e32 v16, v15, v3
	v_fma_f32 v17, -v2, v16, v15
	v_fmac_f32_e32 v16, v17, v3
	v_fma_f32 v2, -v2, v16, v15
	v_div_fmas_f32 v2, v2, v3, v16
	v_div_fixup_f32 v3, v2, v9, v8
	v_fma_f32 v2, v8, v3, v9
	v_div_scale_f32 v15, s[2:3], v2, v2, 1.0
	v_rcp_f32_e32 v16, v15
	v_fma_f32 v17, -v15, v16, 1.0
	v_fmac_f32_e32 v16, v17, v16
	v_div_scale_f32 v17, vcc, 1.0, v2, 1.0
	v_mul_f32_e32 v18, v17, v16
	v_fma_f32 v19, -v15, v18, v17
	v_fmac_f32_e32 v18, v19, v16
	v_fma_f32 v15, -v15, v18, v17
	v_div_fmas_f32 v15, v15, v16, v18
	v_div_fixup_f32 v15, v15, v2, 1.0
	v_fma_f32 v2, v3, v6, v7
	v_fma_f32 v3, v3, v7, -v6
	v_mul_f32_e32 v2, v2, v15
	v_mul_f32_e32 v3, v3, v15
	s_cbranch_execz .LBB157_60
	s_branch .LBB157_61
.LBB157_59:                             ;   in Loop: Header=BB157_46 Depth=1
                                        ; implicit-def: $vgpr3
.LBB157_60:                             ;   in Loop: Header=BB157_46 Depth=1
	v_div_scale_f32 v2, s[2:3], v8, v8, v9
	v_rcp_f32_e32 v3, v2
	v_div_scale_f32 v15, vcc, v9, v8, v9
	v_fma_f32 v16, -v2, v3, 1.0
	v_fmac_f32_e32 v3, v16, v3
	v_mul_f32_e32 v16, v15, v3
	v_fma_f32 v17, -v2, v16, v15
	v_fmac_f32_e32 v16, v17, v3
	v_fma_f32 v2, -v2, v16, v15
	v_div_fmas_f32 v2, v2, v3, v16
	v_div_fixup_f32 v3, v2, v8, v9
	v_fmac_f32_e32 v8, v9, v3
	v_div_scale_f32 v2, s[2:3], v8, v8, 1.0
	v_rcp_f32_e32 v9, v2
	v_fma_f32 v15, -v2, v9, 1.0
	v_fmac_f32_e32 v9, v15, v9
	v_div_scale_f32 v15, vcc, 1.0, v8, 1.0
	v_mul_f32_e32 v16, v15, v9
	v_fma_f32 v17, -v2, v16, v15
	v_fmac_f32_e32 v16, v17, v9
	v_fma_f32 v2, -v2, v16, v15
	v_div_fmas_f32 v2, v2, v9, v16
	v_div_fixup_f32 v8, v2, v8, 1.0
	v_fma_f32 v2, v3, v7, v6
	v_fma_f32 v3, -v3, v6, v7
	v_mul_f32_e32 v2, v2, v8
	v_mul_f32_e32 v3, v3, v8
.LBB157_61:                             ;   in Loop: Header=BB157_46 Depth=1
	v_mov_b32_e32 v6, s8
	ds_read2_b64 v[6:9], v6 offset0:3 offset1:63
	s_add_i32 s6, s6, s5
	s_lshl_b32 s2, s6, 3
	ds_write_b64 v14, v[2:3]
	s_waitcnt lgkmcnt(1)
	v_mul_f32_e32 v15, v13, v7
	v_mul_f32_e32 v7, v12, v7
	v_fma_f32 v12, v12, v6, -v15
	v_fmac_f32_e32 v7, v13, v6
	v_sub_f32_e32 v12, v4, v12
	v_mov_b32_e32 v4, s7
	v_sub_f32_e32 v13, v5, v7
	ds_read_b64 v[4:5], v4 offset:24
	v_mov_b32_e32 v6, s2
	ds_read_b64 v[6:7], v6 offset:24
	v_cmp_gt_f32_e32 vcc, 0, v9
	s_waitcnt lgkmcnt(1)
	v_mul_f32_e32 v15, v11, v5
	v_fma_f32 v15, v10, v4, -v15
	v_mul_f32_e32 v5, v10, v5
	s_waitcnt lgkmcnt(0)
	v_mul_f32_e32 v10, v3, v7
	v_fmac_f32_e32 v5, v11, v4
	v_fma_f32 v10, v2, v6, -v10
	v_mul_f32_e32 v2, v2, v7
	v_sub_f32_e32 v5, v13, v5
	v_fmac_f32_e32 v2, v3, v6
	v_sub_f32_e32 v5, v5, v2
	v_cndmask_b32_e64 v2, v9, -v9, vcc
	v_cmp_gt_f32_e32 vcc, 0, v8
	v_cndmask_b32_e64 v3, v8, -v8, vcc
	v_sub_f32_e32 v4, v12, v15
	v_cmp_ngt_f32_e32 vcc, v3, v2
	v_sub_f32_e32 v4, v4, v10
	s_cbranch_vccz .LBB157_63
; %bb.62:                               ;   in Loop: Header=BB157_46 Depth=1
	v_div_scale_f32 v2, s[2:3], v9, v9, v8
	v_rcp_f32_e32 v3, v2
	v_div_scale_f32 v6, vcc, v8, v9, v8
	v_fma_f32 v7, -v2, v3, 1.0
	v_fmac_f32_e32 v3, v7, v3
	v_mul_f32_e32 v7, v6, v3
	v_fma_f32 v10, -v2, v7, v6
	v_fmac_f32_e32 v7, v10, v3
	v_fma_f32 v2, -v2, v7, v6
	v_div_fmas_f32 v2, v2, v3, v7
	v_div_fixup_f32 v3, v2, v9, v8
	v_fma_f32 v2, v8, v3, v9
	v_div_scale_f32 v6, s[2:3], v2, v2, 1.0
	v_rcp_f32_e32 v7, v6
	v_fma_f32 v10, -v6, v7, 1.0
	v_fmac_f32_e32 v7, v10, v7
	v_div_scale_f32 v10, vcc, 1.0, v2, 1.0
	v_mul_f32_e32 v11, v10, v7
	v_fma_f32 v12, -v6, v11, v10
	v_fmac_f32_e32 v11, v12, v7
	v_fma_f32 v6, -v6, v11, v10
	v_div_fmas_f32 v6, v6, v7, v11
	v_div_fixup_f32 v6, v6, v2, 1.0
	v_fma_f32 v2, v3, v4, v5
	v_fma_f32 v3, v3, v5, -v4
	v_mul_f32_e32 v2, v2, v6
	v_mul_f32_e32 v3, v3, v6
	s_cbranch_execz .LBB157_64
	s_branch .LBB157_65
.LBB157_63:                             ;   in Loop: Header=BB157_46 Depth=1
                                        ; implicit-def: $vgpr3
.LBB157_64:                             ;   in Loop: Header=BB157_46 Depth=1
	v_div_scale_f32 v2, s[2:3], v8, v8, v9
	v_rcp_f32_e32 v3, v2
	v_div_scale_f32 v6, vcc, v9, v8, v9
	v_fma_f32 v7, -v2, v3, 1.0
	v_fmac_f32_e32 v3, v7, v3
	v_mul_f32_e32 v7, v6, v3
	v_fma_f32 v10, -v2, v7, v6
	v_fmac_f32_e32 v7, v10, v3
	v_fma_f32 v2, -v2, v7, v6
	v_div_fmas_f32 v2, v2, v3, v7
	v_div_fixup_f32 v3, v2, v8, v9
	v_fmac_f32_e32 v8, v9, v3
	v_div_scale_f32 v2, s[2:3], v8, v8, 1.0
	v_rcp_f32_e32 v6, v2
	v_fma_f32 v7, -v2, v6, 1.0
	v_fmac_f32_e32 v6, v7, v6
	v_div_scale_f32 v7, vcc, 1.0, v8, 1.0
	v_mul_f32_e32 v9, v7, v6
	v_fma_f32 v10, -v2, v9, v7
	v_fmac_f32_e32 v9, v10, v6
	v_fma_f32 v2, -v2, v9, v7
	v_div_fmas_f32 v2, v2, v6, v9
	v_div_fixup_f32 v6, v2, v8, 1.0
	v_fma_f32 v2, v3, v5, v4
	v_fma_f32 v3, -v3, v4, v5
	v_mul_f32_e32 v2, v2, v6
	v_mul_f32_e32 v3, v3, v6
.LBB157_65:                             ;   in Loop: Header=BB157_46 Depth=1
	s_add_i32 s6, s5, 4
	s_add_i32 s2, s5, 7
	;; [unrolled: 1-line block ×3, first 2 shown]
	s_cmp_ge_i32 s2, s33
	ds_write_b64 v14, v[2:3] offset:160
	s_cbranch_scc1 .LBB157_67
; %bb.66:                               ;   in Loop: Header=BB157_46 Depth=1
	s_mov_b32 s5, s6
	s_branch .LBB157_46
.LBB157_67:
	s_cmp_ge_i32 s6, s33
	s_cbranch_scc1 .LBB157_82
; %bb.68:
	v_mov_b32_e32 v1, 0xc80
	s_add_i32 s4, s6, -1
	s_lshl_b32 s5, s6, 3
	v_lshl_add_u32 v1, v0, 3, v1
	s_mov_b32 s7, 0
	s_mov_b32 s8, s6
	s_branch .LBB157_70
.LBB157_69:                             ;   in Loop: Header=BB157_70 Depth=1
	s_add_i32 s6, s6, 1
	s_add_i32 s7, s7, 1
	;; [unrolled: 1-line block ×3, first 2 shown]
	v_add_u16_e64 v2, s8, 1
	s_cmp_ge_i32 s6, s33
	v_readfirstlane_b32 s8, v2
	ds_write_b64 v8, v[6:7]
	s_cbranch_scc1 .LBB157_82
.LBB157_70:                             ; =>This Loop Header: Depth=1
                                        ;     Child Loop BB157_73 Depth 2
                                        ;     Child Loop BB157_77 Depth 2
	s_mul_i32 s2, s6, 20
	v_add_lshl_u32 v4, s2, v0, 3
	ds_read_b64 v[2:3], v4 offset:3200
	s_cmp_eq_u32 s6, 0
	s_cbranch_scc1 .LBB157_78
; %bb.71:                               ;   in Loop: Header=BB157_70 Depth=1
	s_add_i32 s2, s4, s7
	s_cmp_lt_u32 s2, 7
	s_cbranch_scc1 .LBB157_75
; %bb.72:                               ;   in Loop: Header=BB157_70 Depth=1
	s_and_b32 s2, s6, -8
	s_mov_b32 s3, 0
	v_mov_b32_e32 v5, v1
	s_mov_b32 s9, s5
.LBB157_73:                             ;   Parent Loop BB157_70 Depth=1
                                        ; =>  This Inner Loop Header: Depth=2
	ds_read2_b64 v[6:9], v5 offset1:20
	v_mov_b32_e32 v34, s9
	ds_read2_b64 v[10:13], v5 offset0:40 offset1:60
	ds_read2_b64 v[14:17], v5 offset0:80 offset1:100
	;; [unrolled: 1-line block ×3, first 2 shown]
	ds_read2_b64 v[22:25], v34 offset1:20
	ds_read2_b64 v[26:29], v34 offset0:40 offset1:60
	ds_read2_b64 v[30:33], v34 offset0:80 offset1:100
	;; [unrolled: 1-line block ×3, first 2 shown]
	s_add_i32 s3, s3, 8
	s_waitcnt lgkmcnt(3)
	v_pk_mul_f32 v[38:39], v[22:23], v[6:7] op_sel:[0,1]
	v_pk_mul_f32 v[40:41], v[24:25], v[8:9] op_sel:[0,1]
	v_pk_fma_f32 v[54:55], v[22:23], v[6:7], v[38:39] op_sel:[0,0,1] op_sel_hi:[1,0,0]
	v_pk_fma_f32 v[6:7], v[22:23], v[6:7], v[38:39] op_sel:[0,0,1] op_sel_hi:[1,0,0] neg_lo:[0,0,1] neg_hi:[0,0,1]
	s_waitcnt lgkmcnt(2)
	v_pk_mul_f32 v[42:43], v[26:27], v[10:11] op_sel:[0,1]
	v_pk_fma_f32 v[22:23], v[24:25], v[8:9], v[40:41] op_sel:[0,0,1] op_sel_hi:[1,0,0]
	v_pk_fma_f32 v[8:9], v[24:25], v[8:9], v[40:41] op_sel:[0,0,1] op_sel_hi:[1,0,0] neg_lo:[0,0,1] neg_hi:[0,0,1]
	v_mov_b32_e32 v7, v55
	v_pk_mul_f32 v[44:45], v[28:29], v[12:13] op_sel:[0,1]
	v_pk_fma_f32 v[24:25], v[26:27], v[10:11], v[42:43] op_sel:[0,0,1] op_sel_hi:[1,0,0]
	v_pk_fma_f32 v[10:11], v[26:27], v[10:11], v[42:43] op_sel:[0,0,1] op_sel_hi:[1,0,0] neg_lo:[0,0,1] neg_hi:[0,0,1]
	v_mov_b32_e32 v9, v23
	v_pk_add_f32 v[2:3], v[2:3], v[6:7] neg_lo:[0,1] neg_hi:[0,1]
	s_waitcnt lgkmcnt(1)
	v_pk_mul_f32 v[46:47], v[30:31], v[14:15] op_sel:[0,1]
	v_pk_fma_f32 v[26:27], v[28:29], v[12:13], v[44:45] op_sel:[0,0,1] op_sel_hi:[1,0,0]
	v_pk_fma_f32 v[12:13], v[28:29], v[12:13], v[44:45] op_sel:[0,0,1] op_sel_hi:[1,0,0] neg_lo:[0,0,1] neg_hi:[0,0,1]
	v_mov_b32_e32 v11, v25
	v_pk_add_f32 v[2:3], v[2:3], v[8:9] neg_lo:[0,1] neg_hi:[0,1]
	v_pk_mul_f32 v[48:49], v[32:33], v[16:17] op_sel:[0,1]
	v_pk_fma_f32 v[28:29], v[30:31], v[14:15], v[46:47] op_sel:[0,0,1] op_sel_hi:[1,0,0]
	v_pk_fma_f32 v[14:15], v[30:31], v[14:15], v[46:47] op_sel:[0,0,1] op_sel_hi:[1,0,0] neg_lo:[0,0,1] neg_hi:[0,0,1]
	v_mov_b32_e32 v13, v27
	v_pk_add_f32 v[2:3], v[2:3], v[10:11] neg_lo:[0,1] neg_hi:[0,1]
	s_waitcnt lgkmcnt(0)
	v_pk_mul_f32 v[50:51], v[34:35], v[18:19] op_sel:[0,1]
	v_pk_fma_f32 v[30:31], v[32:33], v[16:17], v[48:49] op_sel:[0,0,1] op_sel_hi:[1,0,0]
	v_pk_fma_f32 v[16:17], v[32:33], v[16:17], v[48:49] op_sel:[0,0,1] op_sel_hi:[1,0,0] neg_lo:[0,0,1] neg_hi:[0,0,1]
	v_mov_b32_e32 v15, v29
	v_pk_add_f32 v[2:3], v[2:3], v[12:13] neg_lo:[0,1] neg_hi:[0,1]
	v_pk_mul_f32 v[52:53], v[36:37], v[20:21] op_sel:[0,1]
	v_pk_fma_f32 v[32:33], v[34:35], v[18:19], v[50:51] op_sel:[0,0,1] op_sel_hi:[1,0,0]
	v_pk_fma_f32 v[18:19], v[34:35], v[18:19], v[50:51] op_sel:[0,0,1] op_sel_hi:[1,0,0] neg_lo:[0,0,1] neg_hi:[0,0,1]
	v_mov_b32_e32 v17, v31
	v_pk_add_f32 v[2:3], v[2:3], v[14:15] neg_lo:[0,1] neg_hi:[0,1]
	v_pk_fma_f32 v[34:35], v[36:37], v[20:21], v[52:53] op_sel:[0,0,1] op_sel_hi:[1,0,0]
	v_pk_fma_f32 v[20:21], v[36:37], v[20:21], v[52:53] op_sel:[0,0,1] op_sel_hi:[1,0,0] neg_lo:[0,0,1] neg_hi:[0,0,1]
	v_mov_b32_e32 v19, v33
	v_pk_add_f32 v[2:3], v[2:3], v[16:17] neg_lo:[0,1] neg_hi:[0,1]
	s_addk_i32 s9, 0x500
	v_mov_b32_e32 v21, v35
	v_pk_add_f32 v[2:3], v[2:3], v[18:19] neg_lo:[0,1] neg_hi:[0,1]
	v_add_u32_e32 v5, 0x500, v5
	s_cmp_eq_u32 s2, s3
	v_pk_add_f32 v[2:3], v[2:3], v[20:21] neg_lo:[0,1] neg_hi:[0,1]
	s_cbranch_scc0 .LBB157_73
; %bb.74:                               ;   in Loop: Header=BB157_70 Depth=1
	s_and_b32 s3, s6, 7
	s_cmp_eq_u32 s3, 0
	s_cbranch_scc0 .LBB157_76
	s_branch .LBB157_78
.LBB157_75:                             ;   in Loop: Header=BB157_70 Depth=1
	s_mov_b32 s2, 0
	s_and_b32 s3, s6, 7
	s_cmp_eq_u32 s3, 0
	s_cbranch_scc1 .LBB157_78
.LBB157_76:                             ;   in Loop: Header=BB157_70 Depth=1
	s_and_b32 s3, s8, 7
	s_mulk_i32 s2, 0xa0
.LBB157_77:                             ;   Parent Loop BB157_70 Depth=1
                                        ; =>  This Inner Loop Header: Depth=2
	v_add_u32_e32 v5, s2, v1
	s_add_i32 s9, s5, s2
	ds_read_b64 v[6:7], v5
	v_mov_b32_e32 v5, s9
	ds_read_b64 v[8:9], v5
	s_addk_i32 s2, 0xa0
	s_add_i32 s3, s3, -1
	s_cmp_lg_u32 s3, 0
	s_waitcnt lgkmcnt(0)
	v_pk_mul_f32 v[10:11], v[8:9], v[6:7] op_sel:[0,1]
	v_pk_fma_f32 v[12:13], v[8:9], v[6:7], v[10:11] op_sel:[0,0,1] op_sel_hi:[1,0,0]
	v_pk_fma_f32 v[6:7], v[8:9], v[6:7], v[10:11] op_sel:[0,0,1] op_sel_hi:[1,0,0] neg_lo:[0,0,1] neg_hi:[0,0,1]
	v_mov_b32_e32 v7, v13
	v_pk_add_f32 v[2:3], v[2:3], v[6:7] neg_lo:[0,1] neg_hi:[0,1]
	s_cbranch_scc1 .LBB157_77
.LBB157_78:                             ;   in Loop: Header=BB157_70 Depth=1
	s_mul_i32 s2, s6, 0xa8
	v_add_u32_e32 v8, 0xc80, v4
	v_mov_b32_e32 v4, s2
	ds_read_b64 v[4:5], v4
	s_waitcnt lgkmcnt(0)
	v_cmp_gt_f32_e32 vcc, 0, v5
	v_cndmask_b32_e64 v6, v5, -v5, vcc
	v_cmp_gt_f32_e32 vcc, 0, v4
	v_cndmask_b32_e64 v7, v4, -v4, vcc
	v_cmp_ngt_f32_e32 vcc, v7, v6
	s_cbranch_vccz .LBB157_80
; %bb.79:                               ;   in Loop: Header=BB157_70 Depth=1
	v_div_scale_f32 v6, s[2:3], v5, v5, v4
	v_rcp_f32_e32 v7, v6
	v_div_scale_f32 v9, vcc, v4, v5, v4
	v_fma_f32 v10, -v6, v7, 1.0
	v_fmac_f32_e32 v7, v10, v7
	v_mul_f32_e32 v10, v9, v7
	v_fma_f32 v11, -v6, v10, v9
	v_fmac_f32_e32 v10, v11, v7
	v_fma_f32 v6, -v6, v10, v9
	v_div_fmas_f32 v6, v6, v7, v10
	v_div_fixup_f32 v6, v6, v5, v4
	v_fma_f32 v7, v4, v6, v5
	v_div_scale_f32 v9, s[2:3], v7, v7, 1.0
	v_rcp_f32_e32 v10, v9
	v_fma_f32 v11, -v9, v10, 1.0
	v_fmac_f32_e32 v10, v11, v10
	v_div_scale_f32 v11, vcc, 1.0, v7, 1.0
	v_mul_f32_e32 v12, v11, v10
	v_fma_f32 v13, -v9, v12, v11
	v_fmac_f32_e32 v12, v13, v10
	v_fma_f32 v9, -v9, v12, v11
	v_div_fmas_f32 v9, v9, v10, v12
	v_div_fixup_f32 v10, v9, v7, 1.0
	v_pk_fma_f32 v[12:13], v[2:3], v[6:7], v[2:3] op_sel:[0,0,1] op_sel_hi:[1,0,0] neg_lo:[0,0,1] neg_hi:[0,0,1]
	v_pk_fma_f32 v[6:7], v[2:3], v[6:7], v[2:3] op_sel:[0,0,1] op_sel_hi:[1,0,0]
	v_mov_b32_e32 v7, v13
	v_pk_mul_f32 v[6:7], v[6:7], v[10:11] op_sel_hi:[1,0]
	s_cbranch_execnz .LBB157_69
	s_branch .LBB157_81
.LBB157_80:                             ;   in Loop: Header=BB157_70 Depth=1
                                        ; implicit-def: $vgpr6_vgpr7
.LBB157_81:                             ;   in Loop: Header=BB157_70 Depth=1
	v_div_scale_f32 v6, s[2:3], v4, v4, v5
	v_rcp_f32_e32 v7, v6
	v_div_scale_f32 v9, vcc, v5, v4, v5
	v_fma_f32 v10, -v6, v7, 1.0
	v_fmac_f32_e32 v7, v10, v7
	v_mul_f32_e32 v10, v9, v7
	v_fma_f32 v11, -v6, v10, v9
	v_fmac_f32_e32 v10, v11, v7
	v_fma_f32 v6, -v6, v10, v9
	v_div_fmas_f32 v6, v6, v7, v10
	v_div_fixup_f32 v6, v6, v4, v5
	v_fmac_f32_e32 v4, v5, v6
	v_div_scale_f32 v5, s[2:3], v4, v4, 1.0
	v_rcp_f32_e32 v7, v5
	v_fma_f32 v9, -v5, v7, 1.0
	v_fmac_f32_e32 v7, v9, v7
	v_div_scale_f32 v9, vcc, 1.0, v4, 1.0
	v_mul_f32_e32 v10, v9, v7
	v_fma_f32 v11, -v5, v10, v9
	v_fmac_f32_e32 v10, v11, v7
	v_fma_f32 v5, -v5, v10, v9
	v_div_fmas_f32 v5, v5, v7, v10
	v_pk_mul_f32 v[6:7], v[2:3], v[6:7] op_sel_hi:[1,0]
	v_pk_add_f32 v[10:11], v[2:3], v[6:7] op_sel:[0,1] op_sel_hi:[1,0] neg_lo:[0,1] neg_hi:[0,1]
	v_pk_add_f32 v[2:3], v[2:3], v[6:7] op_sel:[0,1] op_sel_hi:[1,0]
	v_div_fixup_f32 v4, v5, v4, 1.0
	v_mov_b32_e32 v3, v11
	v_pk_mul_f32 v[6:7], v[2:3], v[4:5] op_sel_hi:[1,0]
	s_branch .LBB157_69
.LBB157_82:
	s_mov_b64 s[2:3], 0
.LBB157_83:
	s_and_b64 vcc, exec, s[2:3]
	s_cbranch_vccz .LBB157_115
; %bb.84:
	s_andn2_b64 vcc, exec, s[0:1]
	s_mov_b32 s6, s42
	s_cbranch_vccnz .LBB157_106
; %bb.85:
	s_mul_i32 s2, s33, 0xa0
	v_lshl_add_u32 v1, v0, 3, s2
	s_mul_i32 s2, s33, 0xa8
	v_add_u32_e32 v1, 0xb40, v1
	s_add_i32 s4, s2, 0xfffffea0
	s_mov_b32 s5, s42
.LBB157_86:                             ; =>This Loop Header: Depth=1
                                        ;     Child Loop BB157_87 Depth 2
	s_mul_i32 s8, s5, 20
	s_sub_i32 s6, s8, 40
	v_add_lshl_u32 v12, s6, v0, 3
	v_add_lshl_u32 v6, s8, v0, 3
	s_sub_i32 s7, s8, 20
	v_add_u32_e32 v2, 0x800, v12
	v_add_lshl_u32 v7, s7, v0, 3
	ds_read_b64 v[10:11], v6 offset:3200
	ds_read_b64 v[8:9], v7 offset:3200
	ds_read2_b64 v[2:5], v2 offset0:124 offset1:144
	s_cmp_le_i32 s42, s5
	s_mov_b32 s2, s4
	v_mov_b32_e32 v13, v1
	s_mov_b32 s3, s42
	s_cbranch_scc1 .LBB157_88
.LBB157_87:                             ;   Parent Loop BB157_86 Depth=1
                                        ; =>  This Inner Loop Header: Depth=2
	ds_read2_b64 v[14:17], v13 offset1:20
	v_mov_b32_e32 v30, s2
	ds_read2_b64 v[18:21], v30 offset0:22 offset1:23
	ds_read2_b64 v[22:25], v30 offset0:20 offset1:21
	;; [unrolled: 1-line block ×3, first 2 shown]
	ds_read2_b64 v[30:33], v30 offset1:1
	s_add_i32 s3, s3, -2
	s_addk_i32 s2, 0xfec0
	s_waitcnt lgkmcnt(3)
	v_mul_f32_e32 v34, v21, v17
	v_mul_f32_e32 v35, v20, v17
	v_mul_f32_e32 v36, v19, v17
	v_mul_f32_e32 v19, v19, v16
	s_waitcnt lgkmcnt(2)
	v_mul_f32_e32 v37, v25, v17
	v_mul_f32_e32 v25, v25, v16
	v_mul_f32_e32 v38, v23, v17
	v_mul_f32_e32 v23, v23, v16
	;; [unrolled: 5-line block ×4, first 2 shown]
	v_fma_f32 v20, v20, v16, -v34
	v_fmac_f32_e32 v35, v21, v16
	v_fma_f32 v21, v18, v16, -v36
	v_fmac_f32_e32 v19, v18, v17
	;; [unrolled: 2-line block ×8, first 2 shown]
	v_sub_f32_e32 v10, v10, v20
	v_sub_f32_e32 v11, v11, v35
	;; [unrolled: 1-line block ×8, first 2 shown]
	v_add_u32_e32 v13, 0xfffffec0, v13
	s_cmp_le_i32 s3, s5
	v_sub_f32_e32 v10, v10, v17
	v_sub_f32_e32 v11, v11, v40
	;; [unrolled: 1-line block ×8, first 2 shown]
	s_cbranch_scc0 .LBB157_87
.LBB157_88:                             ;   in Loop: Header=BB157_86 Depth=1
	s_mul_i32 s9, s5, 0xa8
	v_add_u32_e32 v17, 0xc80, v6
	v_mov_b32_e32 v6, s9
	v_add_u32_e32 v15, 0xc80, v12
	v_add_u32_e32 v14, 0xbe0, v12
	ds_read_b64 v[12:13], v6
	v_add_u32_e32 v16, 0xc80, v7
	s_waitcnt lgkmcnt(0)
	v_cmp_gt_f32_e32 vcc, 0, v13
	v_cndmask_b32_e64 v6, v13, -v13, vcc
	v_cmp_gt_f32_e32 vcc, 0, v12
	v_cndmask_b32_e64 v7, v12, -v12, vcc
	v_cmp_ngt_f32_e32 vcc, v7, v6
	s_cbranch_vccz .LBB157_90
; %bb.89:                               ;   in Loop: Header=BB157_86 Depth=1
	v_div_scale_f32 v6, s[2:3], v13, v13, v12
	v_rcp_f32_e32 v7, v6
	v_div_scale_f32 v18, vcc, v12, v13, v12
	v_fma_f32 v19, -v6, v7, 1.0
	v_fmac_f32_e32 v7, v19, v7
	v_mul_f32_e32 v19, v18, v7
	v_fma_f32 v20, -v6, v19, v18
	v_fmac_f32_e32 v19, v20, v7
	v_fma_f32 v6, -v6, v19, v18
	v_div_fmas_f32 v6, v6, v7, v19
	v_div_fixup_f32 v7, v6, v13, v12
	v_fma_f32 v6, v12, v7, v13
	v_div_scale_f32 v18, s[2:3], v6, v6, 1.0
	v_rcp_f32_e32 v19, v18
	v_fma_f32 v20, -v18, v19, 1.0
	v_fmac_f32_e32 v19, v20, v19
	v_div_scale_f32 v20, vcc, 1.0, v6, 1.0
	v_mul_f32_e32 v21, v20, v19
	v_fma_f32 v22, -v18, v21, v20
	v_fmac_f32_e32 v21, v22, v19
	v_fma_f32 v18, -v18, v21, v20
	v_div_fmas_f32 v18, v18, v19, v21
	v_div_fixup_f32 v18, v18, v6, 1.0
	v_fma_f32 v6, v10, v7, v11
	v_fma_f32 v7, v11, v7, -v10
	v_mul_f32_e32 v6, v6, v18
	v_mul_f32_e32 v7, v7, v18
	s_cbranch_execz .LBB157_91
	s_branch .LBB157_92
.LBB157_90:                             ;   in Loop: Header=BB157_86 Depth=1
                                        ; implicit-def: $vgpr7
.LBB157_91:                             ;   in Loop: Header=BB157_86 Depth=1
	v_div_scale_f32 v6, s[2:3], v12, v12, v13
	v_rcp_f32_e32 v7, v6
	v_div_scale_f32 v18, vcc, v13, v12, v13
	v_fma_f32 v19, -v6, v7, 1.0
	v_fmac_f32_e32 v7, v19, v7
	v_mul_f32_e32 v19, v18, v7
	v_fma_f32 v20, -v6, v19, v18
	v_fmac_f32_e32 v19, v20, v7
	v_fma_f32 v6, -v6, v19, v18
	v_div_fmas_f32 v6, v6, v7, v19
	v_div_fixup_f32 v7, v6, v12, v13
	v_fmac_f32_e32 v12, v13, v7
	v_div_scale_f32 v6, s[2:3], v12, v12, 1.0
	v_rcp_f32_e32 v13, v6
	v_fma_f32 v18, -v6, v13, 1.0
	v_fmac_f32_e32 v13, v18, v13
	v_div_scale_f32 v18, vcc, 1.0, v12, 1.0
	v_mul_f32_e32 v19, v18, v13
	v_fma_f32 v20, -v6, v19, v18
	v_fmac_f32_e32 v19, v20, v13
	v_fma_f32 v6, -v6, v19, v18
	v_div_fmas_f32 v6, v6, v13, v19
	v_div_fixup_f32 v12, v6, v12, 1.0
	v_fma_f32 v6, v11, v7, v10
	v_fma_f32 v7, -v10, v7, v11
	v_mul_f32_e32 v6, v6, v12
	v_mul_f32_e32 v7, v7, v12
.LBB157_92:                             ;   in Loop: Header=BB157_86 Depth=1
	s_add_i32 s2, s5, s8
	s_lshl_b32 s2, s2, 3
	s_add_i32 s2, s2, -8
	v_mov_b32_e32 v10, s2
	s_addk_i32 s9, 0xff58
	ds_read_b64 v[12:13], v10
	v_mov_b32_e32 v10, s9
	ds_read_b64 v[10:11], v10
	ds_write_b64 v17, v[6:7]
	s_waitcnt lgkmcnt(2)
	v_mul_f32_e32 v17, v7, v13
	v_fma_f32 v17, v6, v12, -v17
	v_mul_f32_e32 v13, v6, v13
	s_waitcnt lgkmcnt(1)
	v_cmp_gt_f32_e32 vcc, 0, v11
	v_fmac_f32_e32 v13, v7, v12
	v_sub_f32_e32 v12, v8, v17
	v_cndmask_b32_e64 v8, v11, -v11, vcc
	v_cmp_gt_f32_e32 vcc, 0, v10
	v_sub_f32_e32 v13, v9, v13
	v_cndmask_b32_e64 v9, v10, -v10, vcc
	v_cmp_ngt_f32_e32 vcc, v9, v8
	s_cbranch_vccz .LBB157_94
; %bb.93:                               ;   in Loop: Header=BB157_86 Depth=1
	v_div_scale_f32 v8, s[2:3], v11, v11, v10
	v_rcp_f32_e32 v9, v8
	v_div_scale_f32 v17, vcc, v10, v11, v10
	v_fma_f32 v18, -v8, v9, 1.0
	v_fmac_f32_e32 v9, v18, v9
	v_mul_f32_e32 v18, v17, v9
	v_fma_f32 v19, -v8, v18, v17
	v_fmac_f32_e32 v18, v19, v9
	v_fma_f32 v8, -v8, v18, v17
	v_div_fmas_f32 v8, v8, v9, v18
	v_div_fixup_f32 v9, v8, v11, v10
	v_fma_f32 v8, v10, v9, v11
	v_div_scale_f32 v17, s[2:3], v8, v8, 1.0
	v_rcp_f32_e32 v18, v17
	v_fma_f32 v19, -v17, v18, 1.0
	v_fmac_f32_e32 v18, v19, v18
	v_div_scale_f32 v19, vcc, 1.0, v8, 1.0
	v_mul_f32_e32 v20, v19, v18
	v_fma_f32 v21, -v17, v20, v19
	v_fmac_f32_e32 v20, v21, v18
	v_fma_f32 v17, -v17, v20, v19
	v_div_fmas_f32 v17, v17, v18, v20
	v_div_fixup_f32 v17, v17, v8, 1.0
	v_fma_f32 v8, v9, v12, v13
	v_fma_f32 v9, v9, v13, -v12
	v_mul_f32_e32 v8, v8, v17
	v_mul_f32_e32 v9, v9, v17
	s_cbranch_execz .LBB157_95
	s_branch .LBB157_96
.LBB157_94:                             ;   in Loop: Header=BB157_86 Depth=1
                                        ; implicit-def: $vgpr9
.LBB157_95:                             ;   in Loop: Header=BB157_86 Depth=1
	v_div_scale_f32 v8, s[2:3], v10, v10, v11
	v_rcp_f32_e32 v9, v8
	v_div_scale_f32 v17, vcc, v11, v10, v11
	v_fma_f32 v18, -v8, v9, 1.0
	v_fmac_f32_e32 v9, v18, v9
	v_mul_f32_e32 v18, v17, v9
	v_fma_f32 v19, -v8, v18, v17
	v_fmac_f32_e32 v18, v19, v9
	v_fma_f32 v8, -v8, v18, v17
	v_div_fmas_f32 v8, v8, v9, v18
	v_div_fixup_f32 v9, v8, v10, v11
	v_fmac_f32_e32 v10, v11, v9
	v_div_scale_f32 v8, s[2:3], v10, v10, 1.0
	v_rcp_f32_e32 v11, v8
	v_fma_f32 v17, -v8, v11, 1.0
	v_fmac_f32_e32 v11, v17, v11
	v_div_scale_f32 v17, vcc, 1.0, v10, 1.0
	v_mul_f32_e32 v18, v17, v11
	v_fma_f32 v19, -v8, v18, v17
	v_fmac_f32_e32 v18, v19, v11
	v_fma_f32 v8, -v8, v18, v17
	v_div_fmas_f32 v8, v8, v11, v18
	v_div_fixup_f32 v10, v8, v10, 1.0
	v_fma_f32 v8, v9, v13, v12
	v_fma_f32 v9, -v9, v12, v13
	v_mul_f32_e32 v8, v8, v10
	v_mul_f32_e32 v9, v9, v10
.LBB157_96:                             ;   in Loop: Header=BB157_86 Depth=1
	s_add_i32 s2, s5, -2
	s_add_i32 s3, s8, s2
	s_lshl_b32 s3, s3, 3
	v_mov_b32_e32 v10, s3
	s_add_i32 s2, s7, s2
	s_lshl_b32 s2, s2, 3
	ds_read_b64 v[12:13], v10
	s_addk_i32 s9, 0xff58
	ds_write_b64 v16, v[8:9]
	v_mov_b32_e32 v11, s2
	v_mov_b32_e32 v10, s9
	ds_read_b64 v[16:17], v11
	ds_read_b64 v[10:11], v10
	s_waitcnt lgkmcnt(3)
	v_mul_f32_e32 v18, v7, v13
	v_mul_f32_e32 v13, v6, v13
	v_fma_f32 v18, v6, v12, -v18
	v_fmac_f32_e32 v13, v7, v12
	s_waitcnt lgkmcnt(1)
	v_mul_f32_e32 v12, v9, v17
	v_sub_f32_e32 v4, v4, v18
	v_sub_f32_e32 v5, v5, v13
	v_fma_f32 v12, v8, v16, -v12
	v_mul_f32_e32 v13, v8, v17
	s_waitcnt lgkmcnt(0)
	v_cmp_gt_f32_e32 vcc, 0, v11
	v_fmac_f32_e32 v13, v9, v16
	v_sub_f32_e32 v4, v4, v12
	v_cndmask_b32_e64 v12, v11, -v11, vcc
	v_cmp_gt_f32_e32 vcc, 0, v10
	v_sub_f32_e32 v5, v5, v13
	v_cndmask_b32_e64 v13, v10, -v10, vcc
	v_cmp_ngt_f32_e32 vcc, v13, v12
	s_cbranch_vccz .LBB157_98
; %bb.97:                               ;   in Loop: Header=BB157_86 Depth=1
	v_div_scale_f32 v12, s[2:3], v11, v11, v10
	v_rcp_f32_e32 v13, v12
	v_div_scale_f32 v16, vcc, v10, v11, v10
	v_fma_f32 v17, -v12, v13, 1.0
	v_fmac_f32_e32 v13, v17, v13
	v_mul_f32_e32 v17, v16, v13
	v_fma_f32 v18, -v12, v17, v16
	v_fmac_f32_e32 v17, v18, v13
	v_fma_f32 v12, -v12, v17, v16
	v_div_fmas_f32 v12, v12, v13, v17
	v_div_fixup_f32 v13, v12, v11, v10
	v_fma_f32 v12, v10, v13, v11
	v_div_scale_f32 v16, s[2:3], v12, v12, 1.0
	v_rcp_f32_e32 v17, v16
	v_fma_f32 v18, -v16, v17, 1.0
	v_fmac_f32_e32 v17, v18, v17
	v_div_scale_f32 v18, vcc, 1.0, v12, 1.0
	v_mul_f32_e32 v19, v18, v17
	v_fma_f32 v20, -v16, v19, v18
	v_fmac_f32_e32 v19, v20, v17
	v_fma_f32 v16, -v16, v19, v18
	v_div_fmas_f32 v16, v16, v17, v19
	v_div_fixup_f32 v16, v16, v12, 1.0
	v_fma_f32 v12, v13, v4, v5
	v_fma_f32 v13, v13, v5, -v4
	v_mul_f32_e32 v12, v12, v16
	v_mul_f32_e32 v13, v13, v16
	s_cbranch_execz .LBB157_99
	s_branch .LBB157_100
.LBB157_98:                             ;   in Loop: Header=BB157_86 Depth=1
                                        ; implicit-def: $vgpr13
.LBB157_99:                             ;   in Loop: Header=BB157_86 Depth=1
	v_div_scale_f32 v12, s[2:3], v10, v10, v11
	v_rcp_f32_e32 v13, v12
	v_div_scale_f32 v16, vcc, v11, v10, v11
	v_fma_f32 v17, -v12, v13, 1.0
	v_fmac_f32_e32 v13, v17, v13
	v_mul_f32_e32 v17, v16, v13
	v_fma_f32 v18, -v12, v17, v16
	v_fmac_f32_e32 v17, v18, v13
	v_fma_f32 v12, -v12, v17, v16
	v_div_fmas_f32 v12, v12, v13, v17
	v_div_fixup_f32 v13, v12, v10, v11
	v_fmac_f32_e32 v10, v11, v13
	v_div_scale_f32 v11, s[2:3], v10, v10, 1.0
	v_rcp_f32_e32 v12, v11
	v_fma_f32 v16, -v11, v12, 1.0
	v_fmac_f32_e32 v12, v16, v12
	v_div_scale_f32 v16, vcc, 1.0, v10, 1.0
	v_mul_f32_e32 v17, v16, v12
	v_fma_f32 v18, -v11, v17, v16
	v_fmac_f32_e32 v17, v18, v12
	v_fma_f32 v11, -v11, v17, v16
	v_div_fmas_f32 v11, v11, v12, v17
	v_div_fixup_f32 v10, v11, v10, 1.0
	v_fma_f32 v11, v13, v5, v4
	v_fma_f32 v4, -v13, v4, v5
	v_mul_f32_e32 v12, v11, v10
	v_mul_f32_e32 v13, v4, v10
.LBB157_100:                            ;   in Loop: Header=BB157_86 Depth=1
	s_add_i32 s2, s5, -3
	s_add_i32 s8, s8, s2
	s_lshl_b32 s3, s8, 3
	v_mov_b32_e32 v4, s3
	ds_read_b64 v[10:11], v4
	s_add_i32 s6, s6, s2
	s_add_i32 s7, s7, s2
	s_lshl_b32 s2, s6, 3
	ds_write_b64 v15, v[12:13]
	s_lshl_b32 s3, s7, 3
	v_mov_b32_e32 v15, s2
	s_add_i32 s2, s9, 0xffffff58
	v_mov_b32_e32 v5, s3
	v_mov_b32_e32 v4, s2
	ds_read_b64 v[16:17], v5
	ds_read_b64 v[18:19], v15
	;; [unrolled: 1-line block ×3, first 2 shown]
	s_waitcnt lgkmcnt(4)
	v_mul_f32_e32 v15, v7, v11
	v_fma_f32 v15, v6, v10, -v15
	v_mul_f32_e32 v6, v6, v11
	v_fmac_f32_e32 v6, v7, v10
	v_sub_f32_e32 v3, v3, v6
	s_waitcnt lgkmcnt(2)
	v_mul_f32_e32 v6, v9, v17
	v_sub_f32_e32 v2, v2, v15
	v_fma_f32 v6, v8, v16, -v6
	v_mul_f32_e32 v7, v8, v17
	v_fmac_f32_e32 v7, v9, v16
	v_sub_f32_e32 v2, v2, v6
	s_waitcnt lgkmcnt(1)
	v_mul_f32_e32 v6, v13, v19
	v_sub_f32_e32 v3, v3, v7
	v_fma_f32 v6, v12, v18, -v6
	v_mul_f32_e32 v7, v12, v19
	s_waitcnt lgkmcnt(0)
	v_cmp_gt_f32_e32 vcc, 0, v5
	v_fmac_f32_e32 v7, v13, v18
	v_sub_f32_e32 v6, v2, v6
	v_cndmask_b32_e64 v2, v5, -v5, vcc
	v_cmp_gt_f32_e32 vcc, 0, v4
	v_sub_f32_e32 v7, v3, v7
	v_cndmask_b32_e64 v3, v4, -v4, vcc
	v_cmp_ngt_f32_e32 vcc, v3, v2
	s_cbranch_vccz .LBB157_102
; %bb.101:                              ;   in Loop: Header=BB157_86 Depth=1
	v_div_scale_f32 v2, s[2:3], v5, v5, v4
	v_rcp_f32_e32 v3, v2
	v_div_scale_f32 v8, vcc, v4, v5, v4
	v_fma_f32 v9, -v2, v3, 1.0
	v_fmac_f32_e32 v3, v9, v3
	v_mul_f32_e32 v9, v8, v3
	v_fma_f32 v10, -v2, v9, v8
	v_fmac_f32_e32 v9, v10, v3
	v_fma_f32 v2, -v2, v9, v8
	v_div_fmas_f32 v2, v2, v3, v9
	v_div_fixup_f32 v3, v2, v5, v4
	v_fma_f32 v2, v4, v3, v5
	v_div_scale_f32 v8, s[2:3], v2, v2, 1.0
	v_rcp_f32_e32 v9, v8
	v_fma_f32 v10, -v8, v9, 1.0
	v_fmac_f32_e32 v9, v10, v9
	v_div_scale_f32 v10, vcc, 1.0, v2, 1.0
	v_mul_f32_e32 v11, v10, v9
	v_fma_f32 v12, -v8, v11, v10
	v_fmac_f32_e32 v11, v12, v9
	v_fma_f32 v8, -v8, v11, v10
	v_div_fmas_f32 v8, v8, v9, v11
	v_div_fixup_f32 v8, v8, v2, 1.0
	v_fma_f32 v2, v3, v6, v7
	v_fma_f32 v3, v3, v7, -v6
	v_mul_f32_e32 v2, v2, v8
	v_mul_f32_e32 v3, v3, v8
	s_cbranch_execz .LBB157_103
	s_branch .LBB157_104
.LBB157_102:                            ;   in Loop: Header=BB157_86 Depth=1
                                        ; implicit-def: $vgpr3
.LBB157_103:                            ;   in Loop: Header=BB157_86 Depth=1
	v_div_scale_f32 v2, s[2:3], v4, v4, v5
	v_rcp_f32_e32 v3, v2
	v_div_scale_f32 v8, vcc, v5, v4, v5
	v_fma_f32 v9, -v2, v3, 1.0
	v_fmac_f32_e32 v3, v9, v3
	v_mul_f32_e32 v9, v8, v3
	v_fma_f32 v10, -v2, v9, v8
	v_fmac_f32_e32 v9, v10, v3
	v_fma_f32 v2, -v2, v9, v8
	v_div_fmas_f32 v2, v2, v3, v9
	v_div_fixup_f32 v3, v2, v4, v5
	v_fmac_f32_e32 v4, v5, v3
	v_div_scale_f32 v2, s[2:3], v4, v4, 1.0
	v_rcp_f32_e32 v5, v2
	v_fma_f32 v8, -v2, v5, 1.0
	v_fmac_f32_e32 v5, v8, v5
	v_div_scale_f32 v8, vcc, 1.0, v4, 1.0
	v_mul_f32_e32 v9, v8, v5
	v_fma_f32 v10, -v2, v9, v8
	v_fmac_f32_e32 v9, v10, v5
	v_fma_f32 v2, -v2, v9, v8
	v_div_fmas_f32 v2, v2, v5, v9
	v_div_fixup_f32 v4, v2, v4, 1.0
	v_fma_f32 v2, v3, v7, v6
	v_fma_f32 v3, -v3, v6, v7
	v_mul_f32_e32 v2, v2, v4
	v_mul_f32_e32 v3, v3, v4
.LBB157_104:                            ;   in Loop: Header=BB157_86 Depth=1
	s_add_i32 s6, s5, -4
	s_sub_i32 s4, s4, 32
	s_cmp_lt_i32 s5, 7
	ds_write_b64 v14, v[2:3]
	s_cbranch_scc1 .LBB157_106
; %bb.105:                              ;   in Loop: Header=BB157_86 Depth=1
	s_mov_b32 s5, s6
	s_branch .LBB157_86
.LBB157_106:
	s_cmp_lt_i32 s6, 0
	s_cbranch_scc1 .LBB157_115
; %bb.107:
	s_mul_i32 s2, s33, 0xa0
	s_lshl_b32 s3, s6, 3
	s_add_i32 s3, s2, s3
	v_lshl_add_u32 v1, v0, 3, s2
	s_add_i32 s4, s3, 0xffffff60
	v_add_u32_e32 v1, 0xbe0, v1
	s_branch .LBB157_109
.LBB157_108:                            ;   in Loop: Header=BB157_109 Depth=1
	s_add_i32 s2, s6, -1
	s_add_i32 s4, s4, -8
	s_cmp_lt_i32 s6, 1
	s_mov_b32 s6, s2
	ds_write_b64 v8, v[6:7]
	s_cbranch_scc1 .LBB157_115
.LBB157_109:                            ; =>This Loop Header: Depth=1
                                        ;     Child Loop BB157_110 Depth 2
	s_mul_i32 s2, s6, 20
	v_add_lshl_u32 v4, s2, v0, 3
	ds_read_b64 v[2:3], v4 offset:3200
	s_cmp_le_i32 s42, s6
	v_mov_b32_e32 v5, v1
	s_mov_b32 s2, s4
	s_mov_b32 s3, s42
	s_cbranch_scc1 .LBB157_111
.LBB157_110:                            ;   Parent Loop BB157_109 Depth=1
                                        ; =>  This Inner Loop Header: Depth=2
	v_mov_b32_e32 v8, s2
	ds_read_b64 v[6:7], v5
	ds_read_b64 v[8:9], v8
	s_add_i32 s3, s3, -1
	s_addk_i32 s2, 0xff60
	v_add_u32_e32 v5, 0xffffff60, v5
	s_cmp_le_i32 s3, s6
	s_waitcnt lgkmcnt(0)
	v_pk_mul_f32 v[10:11], v[8:9], v[6:7] op_sel:[0,1]
	v_pk_fma_f32 v[12:13], v[8:9], v[6:7], v[10:11] op_sel:[0,0,1] op_sel_hi:[1,0,0]
	v_pk_fma_f32 v[6:7], v[8:9], v[6:7], v[10:11] op_sel:[0,0,1] op_sel_hi:[1,0,0] neg_lo:[0,0,1] neg_hi:[0,0,1]
	v_mov_b32_e32 v7, v13
	v_pk_add_f32 v[2:3], v[2:3], v[6:7] neg_lo:[0,1] neg_hi:[0,1]
	s_cbranch_scc0 .LBB157_110
.LBB157_111:                            ;   in Loop: Header=BB157_109 Depth=1
	s_mul_i32 s2, s6, 0xa8
	v_add_u32_e32 v8, 0xc80, v4
	v_mov_b32_e32 v4, s2
	ds_read_b64 v[4:5], v4
	s_waitcnt lgkmcnt(0)
	v_cmp_gt_f32_e32 vcc, 0, v5
	v_cndmask_b32_e64 v6, v5, -v5, vcc
	v_cmp_gt_f32_e32 vcc, 0, v4
	v_cndmask_b32_e64 v7, v4, -v4, vcc
	v_cmp_ngt_f32_e32 vcc, v7, v6
	s_cbranch_vccz .LBB157_113
; %bb.112:                              ;   in Loop: Header=BB157_109 Depth=1
	v_div_scale_f32 v6, s[2:3], v5, v5, v4
	v_rcp_f32_e32 v7, v6
	v_div_scale_f32 v9, vcc, v4, v5, v4
	v_fma_f32 v10, -v6, v7, 1.0
	v_fmac_f32_e32 v7, v10, v7
	v_mul_f32_e32 v10, v9, v7
	v_fma_f32 v11, -v6, v10, v9
	v_fmac_f32_e32 v10, v11, v7
	v_fma_f32 v6, -v6, v10, v9
	v_div_fmas_f32 v6, v6, v7, v10
	v_div_fixup_f32 v6, v6, v5, v4
	v_fma_f32 v7, v4, v6, v5
	v_div_scale_f32 v9, s[2:3], v7, v7, 1.0
	v_rcp_f32_e32 v10, v9
	v_fma_f32 v11, -v9, v10, 1.0
	v_fmac_f32_e32 v10, v11, v10
	v_div_scale_f32 v11, vcc, 1.0, v7, 1.0
	v_mul_f32_e32 v12, v11, v10
	v_fma_f32 v13, -v9, v12, v11
	v_fmac_f32_e32 v12, v13, v10
	v_fma_f32 v9, -v9, v12, v11
	v_div_fmas_f32 v9, v9, v10, v12
	v_div_fixup_f32 v10, v9, v7, 1.0
	v_pk_fma_f32 v[12:13], v[2:3], v[6:7], v[2:3] op_sel:[0,0,1] op_sel_hi:[1,0,0] neg_lo:[0,0,1] neg_hi:[0,0,1]
	v_pk_fma_f32 v[6:7], v[2:3], v[6:7], v[2:3] op_sel:[0,0,1] op_sel_hi:[1,0,0]
	v_mov_b32_e32 v7, v13
	v_pk_mul_f32 v[6:7], v[6:7], v[10:11] op_sel_hi:[1,0]
	s_cbranch_execnz .LBB157_108
	s_branch .LBB157_114
.LBB157_113:                            ;   in Loop: Header=BB157_109 Depth=1
                                        ; implicit-def: $vgpr6_vgpr7
.LBB157_114:                            ;   in Loop: Header=BB157_109 Depth=1
	v_div_scale_f32 v6, s[2:3], v4, v4, v5
	v_rcp_f32_e32 v7, v6
	v_div_scale_f32 v9, vcc, v5, v4, v5
	v_fma_f32 v10, -v6, v7, 1.0
	v_fmac_f32_e32 v7, v10, v7
	v_mul_f32_e32 v10, v9, v7
	v_fma_f32 v11, -v6, v10, v9
	v_fmac_f32_e32 v10, v11, v7
	v_fma_f32 v6, -v6, v10, v9
	v_div_fmas_f32 v6, v6, v7, v10
	v_div_fixup_f32 v6, v6, v4, v5
	v_fmac_f32_e32 v4, v5, v6
	v_div_scale_f32 v5, s[2:3], v4, v4, 1.0
	v_rcp_f32_e32 v7, v5
	v_fma_f32 v9, -v5, v7, 1.0
	v_fmac_f32_e32 v7, v9, v7
	v_div_scale_f32 v9, vcc, 1.0, v4, 1.0
	v_mul_f32_e32 v10, v9, v7
	v_fma_f32 v11, -v5, v10, v9
	v_fmac_f32_e32 v10, v11, v7
	v_fma_f32 v5, -v5, v10, v9
	v_div_fmas_f32 v5, v5, v7, v10
	v_pk_mul_f32 v[6:7], v[2:3], v[6:7] op_sel_hi:[1,0]
	v_pk_add_f32 v[10:11], v[2:3], v[6:7] op_sel:[0,1] op_sel_hi:[1,0] neg_lo:[0,1] neg_hi:[0,1]
	v_pk_add_f32 v[2:3], v[2:3], v[6:7] op_sel:[0,1] op_sel_hi:[1,0]
	v_div_fixup_f32 v4, v5, v4, 1.0
	v_mov_b32_e32 v3, v11
	v_pk_mul_f32 v[6:7], v[2:3], v[4:5] op_sel_hi:[1,0]
	s_branch .LBB157_108
.LBB157_115:
	s_mov_b64 s[4:5], 0
.LBB157_116:
	s_andn2_b64 vcc, exec, s[4:5]
	s_cbranch_vccnz .LBB157_148
; %bb.117:
	s_andn2_b64 vcc, exec, s[0:1]
	s_mul_i32 s2, s33, 0xa0
	s_mov_b32 s5, s42
	s_cbranch_vccnz .LBB157_139
; %bb.118:
	v_lshl_add_u32 v1, v0, 3, s2
	s_mul_i32 s0, s33, 0xa8
	v_add_u32_e32 v1, 0xb40, v1
	s_add_i32 s3, s0, 0xfffffd70
	s_mov_b32 s4, s42
.LBB157_119:                            ; =>This Loop Header: Depth=1
                                        ;     Child Loop BB157_120 Depth 2
	s_mul_i32 s0, s4, 20
	v_add_lshl_u32 v4, s0, v0, 3
	s_sub_i32 s1, s0, 20
	s_sub_i32 s6, s0, 40
	;; [unrolled: 1-line block ×3, first 2 shown]
	v_add_lshl_u32 v5, s1, v0, 3
	v_add_lshl_u32 v10, s6, v0, 3
	;; [unrolled: 1-line block ×3, first 2 shown]
	ds_read_b64 v[2:3], v4 offset:3200
	ds_read_b64 v[12:13], v5 offset:3200
	;; [unrolled: 1-line block ×4, first 2 shown]
	s_cmp_le_i32 s42, s4
	s_mov_b32 s0, s3
	v_mov_b32_e32 v14, v1
	s_mov_b32 s1, s42
	s_cbranch_scc1 .LBB157_121
.LBB157_120:                            ;   Parent Loop BB157_119 Depth=1
                                        ; =>  This Inner Loop Header: Depth=2
	v_mov_b32_e32 v15, s0
	ds_read2_b64 v[16:19], v14 offset1:20
	ds_read2_b64 v[20:23], v15 offset0:60 offset1:61
	ds_read2_b64 v[24:27], v15 offset0:40 offset1:41
	;; [unrolled: 1-line block ×3, first 2 shown]
	ds_read2_b64 v[32:35], v15 offset1:1
	s_add_i32 s1, s1, -2
	s_add_i32 s0, s0, -16
	v_add_u32_e32 v14, 0xfffffec0, v14
	s_waitcnt lgkmcnt(3)
	v_mul_f32_e32 v15, v23, v19
	v_mul_f32_e32 v36, v22, v19
	s_waitcnt lgkmcnt(2)
	v_mul_f32_e32 v37, v27, v19
	v_mul_f32_e32 v27, v27, v18
	;; [unrolled: 3-line block ×4, first 2 shown]
	v_mul_f32_e32 v40, v21, v17
	v_mul_f32_e32 v41, v20, v17
	;; [unrolled: 1-line block ×8, first 2 shown]
	v_fma_f32 v15, v22, v18, -v15
	v_fmac_f32_e32 v36, v23, v18
	v_fma_f32 v22, v26, v18, -v37
	v_fmac_f32_e32 v27, v26, v19
	;; [unrolled: 2-line block ×8, first 2 shown]
	v_sub_f32_e32 v2, v2, v15
	v_sub_f32_e32 v3, v3, v36
	;; [unrolled: 1-line block ×8, first 2 shown]
	s_cmp_le_i32 s1, s4
	v_sub_f32_e32 v2, v2, v19
	v_sub_f32_e32 v3, v3, v41
	;; [unrolled: 1-line block ×8, first 2 shown]
	s_cbranch_scc0 .LBB157_120
.LBB157_121:                            ;   in Loop: Header=BB157_119 Depth=1
	s_mul_i32 s7, s4, 0xa8
	v_add_u32_e32 v17, 0xc80, v4
	v_mov_b32_e32 v4, s7
	v_add_u32_e32 v16, 0xc80, v5
	ds_read_b64 v[4:5], v4
	v_add_u32_e32 v15, 0xc80, v10
	v_add_u32_e32 v14, 0xc80, v11
	s_waitcnt lgkmcnt(0)
	v_cmp_gt_f32_e32 vcc, 0, v5
	v_cndmask_b32_e64 v10, v5, -v5, vcc
	v_cmp_gt_f32_e32 vcc, 0, v4
	v_cndmask_b32_e64 v11, v4, -v4, vcc
	v_cmp_ngt_f32_e32 vcc, v11, v10
	s_cbranch_vccz .LBB157_123
; %bb.122:                              ;   in Loop: Header=BB157_119 Depth=1
	v_div_scale_f32 v10, s[0:1], v5, v5, v4
	v_rcp_f32_e32 v11, v10
	v_div_scale_f32 v18, vcc, v4, v5, v4
	v_fma_f32 v19, -v10, v11, 1.0
	v_fmac_f32_e32 v11, v19, v11
	v_mul_f32_e32 v19, v18, v11
	v_fma_f32 v20, -v10, v19, v18
	v_fmac_f32_e32 v19, v20, v11
	v_fma_f32 v10, -v10, v19, v18
	v_div_fmas_f32 v10, v10, v11, v19
	v_div_fixup_f32 v11, v10, v5, v4
	v_fma_f32 v10, v4, v11, v5
	v_div_scale_f32 v18, s[0:1], v10, v10, 1.0
	v_rcp_f32_e32 v19, v18
	v_fma_f32 v20, -v18, v19, 1.0
	v_fmac_f32_e32 v19, v20, v19
	v_div_scale_f32 v20, vcc, 1.0, v10, 1.0
	v_mul_f32_e32 v21, v20, v19
	v_fma_f32 v22, -v18, v21, v20
	v_fmac_f32_e32 v21, v22, v19
	v_fma_f32 v18, -v18, v21, v20
	v_div_fmas_f32 v18, v18, v19, v21
	v_div_fixup_f32 v18, v18, v10, 1.0
	v_fma_f32 v10, v2, v11, v3
	v_fma_f32 v11, v3, v11, -v2
	v_mul_f32_e32 v10, v10, v18
	v_mul_f32_e32 v11, v11, v18
	s_cbranch_execz .LBB157_124
	s_branch .LBB157_125
.LBB157_123:                            ;   in Loop: Header=BB157_119 Depth=1
                                        ; implicit-def: $vgpr11
.LBB157_124:                            ;   in Loop: Header=BB157_119 Depth=1
	v_div_scale_f32 v10, s[0:1], v4, v4, v5
	v_rcp_f32_e32 v11, v10
	v_div_scale_f32 v18, vcc, v5, v4, v5
	v_fma_f32 v19, -v10, v11, 1.0
	v_fmac_f32_e32 v11, v19, v11
	v_mul_f32_e32 v19, v18, v11
	v_fma_f32 v20, -v10, v19, v18
	v_fmac_f32_e32 v19, v20, v11
	v_fma_f32 v10, -v10, v19, v18
	v_div_fmas_f32 v10, v10, v11, v19
	v_div_fixup_f32 v11, v10, v4, v5
	v_fmac_f32_e32 v4, v5, v11
	v_div_scale_f32 v5, s[0:1], v4, v4, 1.0
	v_rcp_f32_e32 v10, v5
	v_fma_f32 v18, -v5, v10, 1.0
	v_fmac_f32_e32 v10, v18, v10
	v_div_scale_f32 v18, vcc, 1.0, v4, 1.0
	v_mul_f32_e32 v19, v18, v10
	v_fma_f32 v20, -v5, v19, v18
	v_fmac_f32_e32 v19, v20, v10
	v_fma_f32 v5, -v5, v19, v18
	v_div_fmas_f32 v5, v5, v10, v19
	v_div_fixup_f32 v4, v5, v4, 1.0
	v_fma_f32 v5, v3, v11, v2
	v_fma_f32 v2, -v2, v11, v3
	v_mul_f32_e32 v10, v5, v4
	v_mul_f32_e32 v11, v2, v4
.LBB157_125:                            ;   in Loop: Header=BB157_119 Depth=1
	s_addk_i32 s7, 0xff58
	v_mov_b32_e32 v2, s7
	ds_read2_b64 v[2:5], v2 offset1:1
	ds_write_b64 v17, v[10:11]
	s_waitcnt lgkmcnt(1)
	v_mul_f32_e32 v17, v11, v5
	v_mul_f32_e32 v5, v10, v5
	v_fma_f32 v17, v10, v4, -v17
	v_cmp_gt_f32_e32 vcc, 0, v3
	v_fmac_f32_e32 v5, v11, v4
	v_sub_f32_e32 v4, v12, v17
	v_cndmask_b32_e64 v12, v3, -v3, vcc
	v_cmp_gt_f32_e32 vcc, 0, v2
	v_sub_f32_e32 v5, v13, v5
	v_cndmask_b32_e64 v13, v2, -v2, vcc
	v_cmp_ngt_f32_e32 vcc, v13, v12
	s_cbranch_vccz .LBB157_127
; %bb.126:                              ;   in Loop: Header=BB157_119 Depth=1
	v_div_scale_f32 v12, s[0:1], v3, v3, v2
	v_rcp_f32_e32 v13, v12
	v_div_scale_f32 v17, vcc, v2, v3, v2
	v_fma_f32 v18, -v12, v13, 1.0
	v_fmac_f32_e32 v13, v18, v13
	v_mul_f32_e32 v18, v17, v13
	v_fma_f32 v19, -v12, v18, v17
	v_fmac_f32_e32 v18, v19, v13
	v_fma_f32 v12, -v12, v18, v17
	v_div_fmas_f32 v12, v12, v13, v18
	v_div_fixup_f32 v13, v12, v3, v2
	v_fma_f32 v12, v2, v13, v3
	v_div_scale_f32 v17, s[0:1], v12, v12, 1.0
	v_rcp_f32_e32 v18, v17
	v_fma_f32 v19, -v17, v18, 1.0
	v_fmac_f32_e32 v18, v19, v18
	v_div_scale_f32 v19, vcc, 1.0, v12, 1.0
	v_mul_f32_e32 v20, v19, v18
	v_fma_f32 v21, -v17, v20, v19
	v_fmac_f32_e32 v20, v21, v18
	v_fma_f32 v17, -v17, v20, v19
	v_div_fmas_f32 v17, v17, v18, v20
	v_div_fixup_f32 v17, v17, v12, 1.0
	v_fma_f32 v12, v13, v4, v5
	v_fma_f32 v13, v13, v5, -v4
	v_mul_f32_e32 v12, v12, v17
	v_mul_f32_e32 v13, v13, v17
	s_cbranch_execz .LBB157_128
	s_branch .LBB157_129
.LBB157_127:                            ;   in Loop: Header=BB157_119 Depth=1
                                        ; implicit-def: $vgpr13
.LBB157_128:                            ;   in Loop: Header=BB157_119 Depth=1
	v_div_scale_f32 v12, s[0:1], v2, v2, v3
	v_rcp_f32_e32 v13, v12
	v_div_scale_f32 v17, vcc, v3, v2, v3
	v_fma_f32 v18, -v12, v13, 1.0
	v_fmac_f32_e32 v13, v18, v13
	v_mul_f32_e32 v18, v17, v13
	v_fma_f32 v19, -v12, v18, v17
	v_fmac_f32_e32 v18, v19, v13
	v_fma_f32 v12, -v12, v18, v17
	v_div_fmas_f32 v12, v12, v13, v18
	v_div_fixup_f32 v13, v12, v2, v3
	v_fmac_f32_e32 v2, v3, v13
	v_div_scale_f32 v3, s[0:1], v2, v2, 1.0
	v_rcp_f32_e32 v12, v3
	v_fma_f32 v17, -v3, v12, 1.0
	v_fmac_f32_e32 v12, v17, v12
	v_div_scale_f32 v17, vcc, 1.0, v2, 1.0
	v_mul_f32_e32 v18, v17, v12
	v_fma_f32 v19, -v3, v18, v17
	v_fmac_f32_e32 v18, v19, v12
	v_fma_f32 v3, -v3, v18, v17
	v_div_fmas_f32 v3, v3, v12, v18
	v_div_fixup_f32 v2, v3, v2, 1.0
	v_fma_f32 v3, v13, v5, v4
	v_mul_f32_e32 v12, v3, v2
	v_fma_f32 v3, -v13, v4, v5
	v_mul_f32_e32 v13, v3, v2
.LBB157_129:                            ;   in Loop: Header=BB157_119 Depth=1
	s_add_i32 s6, s6, s4
	s_lshl_b32 s0, s6, 3
	v_mov_b32_e32 v2, s0
	ds_read_b64 v[18:19], v2
	s_add_i32 s6, s7, 0xffffff58
	v_mov_b32_e32 v2, s6
	ds_read2_b64 v[2:5], v2 offset1:1
	ds_write_b64 v16, v[12:13]
	s_waitcnt lgkmcnt(2)
	v_mul_f32_e32 v16, v11, v19
	v_fma_f32 v16, v10, v18, -v16
	v_mul_f32_e32 v17, v10, v19
	v_sub_f32_e32 v8, v8, v16
	s_waitcnt lgkmcnt(1)
	v_mul_f32_e32 v16, v13, v5
	v_fmac_f32_e32 v17, v11, v18
	v_fma_f32 v16, v12, v4, -v16
	v_mul_f32_e32 v5, v12, v5
	v_cmp_gt_f32_e32 vcc, 0, v3
	v_sub_f32_e32 v9, v9, v17
	v_fmac_f32_e32 v5, v13, v4
	v_sub_f32_e32 v4, v8, v16
	v_cndmask_b32_e64 v8, v3, -v3, vcc
	v_cmp_gt_f32_e32 vcc, 0, v2
	v_sub_f32_e32 v5, v9, v5
	v_cndmask_b32_e64 v9, v2, -v2, vcc
	v_cmp_ngt_f32_e32 vcc, v9, v8
	s_cbranch_vccz .LBB157_131
; %bb.130:                              ;   in Loop: Header=BB157_119 Depth=1
	v_div_scale_f32 v8, s[0:1], v3, v3, v2
	v_rcp_f32_e32 v9, v8
	v_div_scale_f32 v16, vcc, v2, v3, v2
	v_fma_f32 v17, -v8, v9, 1.0
	v_fmac_f32_e32 v9, v17, v9
	v_mul_f32_e32 v17, v16, v9
	v_fma_f32 v18, -v8, v17, v16
	v_fmac_f32_e32 v17, v18, v9
	v_fma_f32 v8, -v8, v17, v16
	v_div_fmas_f32 v8, v8, v9, v17
	v_div_fixup_f32 v9, v8, v3, v2
	v_fma_f32 v8, v2, v9, v3
	v_div_scale_f32 v16, s[0:1], v8, v8, 1.0
	v_rcp_f32_e32 v17, v16
	v_fma_f32 v18, -v16, v17, 1.0
	v_fmac_f32_e32 v17, v18, v17
	v_div_scale_f32 v18, vcc, 1.0, v8, 1.0
	v_mul_f32_e32 v19, v18, v17
	v_fma_f32 v20, -v16, v19, v18
	v_fmac_f32_e32 v19, v20, v17
	v_fma_f32 v16, -v16, v19, v18
	v_div_fmas_f32 v16, v16, v17, v19
	v_div_fixup_f32 v16, v16, v8, 1.0
	v_fma_f32 v8, v9, v4, v5
	v_fma_f32 v9, v9, v5, -v4
	v_mul_f32_e32 v8, v8, v16
	v_mul_f32_e32 v9, v9, v16
	s_cbranch_execz .LBB157_132
	s_branch .LBB157_133
.LBB157_131:                            ;   in Loop: Header=BB157_119 Depth=1
                                        ; implicit-def: $vgpr9
.LBB157_132:                            ;   in Loop: Header=BB157_119 Depth=1
	v_div_scale_f32 v8, s[0:1], v2, v2, v3
	v_rcp_f32_e32 v9, v8
	v_div_scale_f32 v16, vcc, v3, v2, v3
	v_fma_f32 v17, -v8, v9, 1.0
	v_fmac_f32_e32 v9, v17, v9
	v_mul_f32_e32 v17, v16, v9
	v_fma_f32 v18, -v8, v17, v16
	v_fmac_f32_e32 v17, v18, v9
	v_fma_f32 v8, -v8, v17, v16
	v_div_fmas_f32 v8, v8, v9, v17
	v_div_fixup_f32 v9, v8, v2, v3
	v_fmac_f32_e32 v2, v3, v9
	v_div_scale_f32 v3, s[0:1], v2, v2, 1.0
	v_rcp_f32_e32 v8, v3
	v_fma_f32 v16, -v3, v8, 1.0
	v_fmac_f32_e32 v8, v16, v8
	v_div_scale_f32 v16, vcc, 1.0, v2, 1.0
	v_mul_f32_e32 v17, v16, v8
	v_fma_f32 v18, -v3, v17, v16
	v_fmac_f32_e32 v17, v18, v8
	v_fma_f32 v3, -v3, v17, v16
	v_div_fmas_f32 v3, v3, v8, v17
	v_div_fixup_f32 v2, v3, v2, 1.0
	v_fma_f32 v3, v9, v5, v4
	v_mul_f32_e32 v8, v3, v2
	v_fma_f32 v3, -v9, v4, v5
	v_mul_f32_e32 v9, v3, v2
.LBB157_133:                            ;   in Loop: Header=BB157_119 Depth=1
	s_add_i32 s0, s4, s5
	s_lshl_b32 s0, s0, 3
	s_add_i32 s0, s0, -8
	v_mov_b32_e32 v2, s0
	ds_read2_b64 v[16:19], v2 offset1:1
	s_add_i32 s0, s6, 0xffffff58
	v_mov_b32_e32 v2, s0
	ds_write_b64 v15, v[8:9]
	ds_read2_b64 v[2:5], v2 offset1:1
	s_waitcnt lgkmcnt(2)
	v_mul_f32_e32 v15, v11, v19
	v_fma_f32 v15, v10, v18, -v15
	v_mul_f32_e32 v10, v10, v19
	v_fmac_f32_e32 v10, v11, v18
	v_sub_f32_e32 v7, v7, v10
	v_mul_f32_e32 v10, v13, v17
	v_sub_f32_e32 v6, v6, v15
	v_fma_f32 v10, v12, v16, -v10
	v_mul_f32_e32 v11, v12, v17
	v_fmac_f32_e32 v11, v13, v16
	v_sub_f32_e32 v6, v6, v10
	s_waitcnt lgkmcnt(0)
	v_mul_f32_e32 v10, v9, v5
	v_mul_f32_e32 v5, v8, v5
	v_cmp_gt_f32_e32 vcc, 0, v3
	v_sub_f32_e32 v7, v7, v11
	v_fma_f32 v10, v8, v4, -v10
	v_fmac_f32_e32 v5, v9, v4
	v_cndmask_b32_e64 v4, v3, -v3, vcc
	v_cmp_gt_f32_e32 vcc, 0, v2
	v_sub_f32_e32 v7, v7, v5
	v_cndmask_b32_e64 v5, v2, -v2, vcc
	v_cmp_ngt_f32_e32 vcc, v5, v4
	v_sub_f32_e32 v6, v6, v10
	s_cbranch_vccz .LBB157_135
; %bb.134:                              ;   in Loop: Header=BB157_119 Depth=1
	v_div_scale_f32 v4, s[0:1], v3, v3, v2
	v_rcp_f32_e32 v5, v4
	v_div_scale_f32 v8, vcc, v2, v3, v2
	v_fma_f32 v9, -v4, v5, 1.0
	v_fmac_f32_e32 v5, v9, v5
	v_mul_f32_e32 v9, v8, v5
	v_fma_f32 v10, -v4, v9, v8
	v_fmac_f32_e32 v9, v10, v5
	v_fma_f32 v4, -v4, v9, v8
	v_div_fmas_f32 v4, v4, v5, v9
	v_div_fixup_f32 v5, v4, v3, v2
	v_fma_f32 v4, v2, v5, v3
	v_div_scale_f32 v8, s[0:1], v4, v4, 1.0
	v_rcp_f32_e32 v9, v8
	v_fma_f32 v10, -v8, v9, 1.0
	v_fmac_f32_e32 v9, v10, v9
	v_div_scale_f32 v10, vcc, 1.0, v4, 1.0
	v_mul_f32_e32 v11, v10, v9
	v_fma_f32 v12, -v8, v11, v10
	v_fmac_f32_e32 v11, v12, v9
	v_fma_f32 v8, -v8, v11, v10
	v_div_fmas_f32 v8, v8, v9, v11
	v_div_fixup_f32 v8, v8, v4, 1.0
	v_fma_f32 v4, v5, v6, v7
	v_fma_f32 v5, v5, v7, -v6
	v_mul_f32_e32 v4, v4, v8
	v_mul_f32_e32 v5, v5, v8
	s_cbranch_execz .LBB157_136
	s_branch .LBB157_137
.LBB157_135:                            ;   in Loop: Header=BB157_119 Depth=1
                                        ; implicit-def: $vgpr5
.LBB157_136:                            ;   in Loop: Header=BB157_119 Depth=1
	v_div_scale_f32 v4, s[0:1], v2, v2, v3
	v_rcp_f32_e32 v5, v4
	v_div_scale_f32 v8, vcc, v3, v2, v3
	v_fma_f32 v9, -v4, v5, 1.0
	v_fmac_f32_e32 v5, v9, v5
	v_mul_f32_e32 v9, v8, v5
	v_fma_f32 v10, -v4, v9, v8
	v_fmac_f32_e32 v9, v10, v5
	v_fma_f32 v4, -v4, v9, v8
	v_div_fmas_f32 v4, v4, v5, v9
	v_div_fixup_f32 v5, v4, v2, v3
	v_fmac_f32_e32 v2, v3, v5
	v_div_scale_f32 v3, s[0:1], v2, v2, 1.0
	v_rcp_f32_e32 v4, v3
	v_fma_f32 v8, -v3, v4, 1.0
	v_fmac_f32_e32 v4, v8, v4
	v_div_scale_f32 v8, vcc, 1.0, v2, 1.0
	v_mul_f32_e32 v9, v8, v4
	v_fma_f32 v10, -v3, v9, v8
	v_fmac_f32_e32 v9, v10, v4
	v_fma_f32 v3, -v3, v9, v8
	v_div_fmas_f32 v3, v3, v4, v9
	v_div_fixup_f32 v2, v3, v2, 1.0
	v_fma_f32 v3, v5, v7, v6
	v_mul_f32_e32 v4, v3, v2
	v_fma_f32 v3, -v5, v6, v7
	v_mul_f32_e32 v5, v3, v2
.LBB157_137:                            ;   in Loop: Header=BB157_119 Depth=1
	s_add_i32 s5, s4, -4
	s_addk_i32 s3, 0xfd80
	s_cmp_lt_i32 s4, 7
	ds_write_b64 v14, v[4:5]
	s_cbranch_scc1 .LBB157_139
; %bb.138:                              ;   in Loop: Header=BB157_119 Depth=1
	s_mov_b32 s4, s5
	s_branch .LBB157_119
.LBB157_139:
	s_cmp_lt_i32 s5, 0
	s_cbranch_scc1 .LBB157_148
; %bb.140:
	s_mul_i32 s0, s5, 0xa0
	s_lshl_b32 s1, s33, 3
	s_add_i32 s0, s0, s1
	v_lshl_add_u32 v1, v0, 3, s2
	s_add_i32 s3, s0, -8
	v_add_u32_e32 v1, 0xbe0, v1
	s_branch .LBB157_142
.LBB157_141:                            ;   in Loop: Header=BB157_142 Depth=1
	s_add_i32 s0, s5, -1
	s_addk_i32 s3, 0xff60
	s_cmp_lt_i32 s5, 1
	s_mov_b32 s5, s0
	ds_write_b64 v8, v[6:7]
	s_cbranch_scc1 .LBB157_148
.LBB157_142:                            ; =>This Loop Header: Depth=1
                                        ;     Child Loop BB157_143 Depth 2
	s_mul_i32 s0, s5, 20
	v_add_lshl_u32 v4, s0, v0, 3
	ds_read_b64 v[2:3], v4 offset:3200
	s_cmp_le_i32 s42, s5
	v_mov_b32_e32 v5, v1
	s_mov_b32 s0, s3
	s_mov_b32 s1, s42
	s_cbranch_scc1 .LBB157_144
.LBB157_143:                            ;   Parent Loop BB157_142 Depth=1
                                        ; =>  This Inner Loop Header: Depth=2
	v_mov_b32_e32 v8, s0
	ds_read_b64 v[6:7], v5
	ds_read_b64 v[8:9], v8
	s_add_i32 s1, s1, -1
	s_add_i32 s0, s0, -8
	v_add_u32_e32 v5, 0xffffff60, v5
	s_cmp_le_i32 s1, s5
	s_waitcnt lgkmcnt(0)
	v_pk_mul_f32 v[10:11], v[8:9], v[6:7] op_sel:[0,1]
	v_pk_fma_f32 v[12:13], v[8:9], v[6:7], v[10:11] op_sel:[0,0,1] op_sel_hi:[1,0,0]
	v_pk_fma_f32 v[6:7], v[8:9], v[6:7], v[10:11] op_sel:[0,0,1] op_sel_hi:[1,0,0] neg_lo:[0,0,1] neg_hi:[0,0,1]
	v_mov_b32_e32 v7, v13
	v_pk_add_f32 v[2:3], v[2:3], v[6:7] neg_lo:[0,1] neg_hi:[0,1]
	s_cbranch_scc0 .LBB157_143
.LBB157_144:                            ;   in Loop: Header=BB157_142 Depth=1
	s_mul_i32 s0, s5, 0xa8
	v_add_u32_e32 v8, 0xc80, v4
	v_mov_b32_e32 v4, s0
	ds_read_b64 v[4:5], v4
	s_waitcnt lgkmcnt(0)
	v_cmp_gt_f32_e32 vcc, 0, v5
	v_cndmask_b32_e64 v6, v5, -v5, vcc
	v_cmp_gt_f32_e32 vcc, 0, v4
	v_cndmask_b32_e64 v7, v4, -v4, vcc
	v_cmp_ngt_f32_e32 vcc, v7, v6
	s_cbranch_vccz .LBB157_146
; %bb.145:                              ;   in Loop: Header=BB157_142 Depth=1
	v_div_scale_f32 v6, s[0:1], v5, v5, v4
	v_rcp_f32_e32 v7, v6
	v_div_scale_f32 v9, vcc, v4, v5, v4
	v_fma_f32 v10, -v6, v7, 1.0
	v_fmac_f32_e32 v7, v10, v7
	v_mul_f32_e32 v10, v9, v7
	v_fma_f32 v11, -v6, v10, v9
	v_fmac_f32_e32 v10, v11, v7
	v_fma_f32 v6, -v6, v10, v9
	v_div_fmas_f32 v6, v6, v7, v10
	v_div_fixup_f32 v6, v6, v5, v4
	v_fma_f32 v7, v4, v6, v5
	v_div_scale_f32 v9, s[0:1], v7, v7, 1.0
	v_rcp_f32_e32 v10, v9
	v_fma_f32 v11, -v9, v10, 1.0
	v_fmac_f32_e32 v10, v11, v10
	v_div_scale_f32 v11, vcc, 1.0, v7, 1.0
	v_mul_f32_e32 v12, v11, v10
	v_fma_f32 v13, -v9, v12, v11
	v_fmac_f32_e32 v12, v13, v10
	v_fma_f32 v9, -v9, v12, v11
	v_div_fmas_f32 v9, v9, v10, v12
	v_div_fixup_f32 v10, v9, v7, 1.0
	v_pk_fma_f32 v[12:13], v[2:3], v[6:7], v[2:3] op_sel:[0,0,1] op_sel_hi:[1,0,0] neg_lo:[0,0,1] neg_hi:[0,0,1]
	v_pk_fma_f32 v[6:7], v[2:3], v[6:7], v[2:3] op_sel:[0,0,1] op_sel_hi:[1,0,0]
	v_mov_b32_e32 v7, v13
	v_pk_mul_f32 v[6:7], v[6:7], v[10:11] op_sel_hi:[1,0]
	s_cbranch_execnz .LBB157_141
	s_branch .LBB157_147
.LBB157_146:                            ;   in Loop: Header=BB157_142 Depth=1
                                        ; implicit-def: $vgpr6_vgpr7
.LBB157_147:                            ;   in Loop: Header=BB157_142 Depth=1
	v_div_scale_f32 v6, s[0:1], v4, v4, v5
	v_rcp_f32_e32 v7, v6
	v_div_scale_f32 v9, vcc, v5, v4, v5
	v_fma_f32 v10, -v6, v7, 1.0
	v_fmac_f32_e32 v7, v10, v7
	v_mul_f32_e32 v10, v9, v7
	v_fma_f32 v11, -v6, v10, v9
	v_fmac_f32_e32 v10, v11, v7
	v_fma_f32 v6, -v6, v10, v9
	v_div_fmas_f32 v6, v6, v7, v10
	v_div_fixup_f32 v6, v6, v4, v5
	v_fmac_f32_e32 v4, v5, v6
	v_div_scale_f32 v5, s[0:1], v4, v4, 1.0
	v_rcp_f32_e32 v7, v5
	v_fma_f32 v9, -v5, v7, 1.0
	v_fmac_f32_e32 v7, v9, v7
	v_div_scale_f32 v9, vcc, 1.0, v4, 1.0
	v_mul_f32_e32 v10, v9, v7
	v_fma_f32 v11, -v5, v10, v9
	v_fmac_f32_e32 v10, v11, v7
	v_fma_f32 v5, -v5, v10, v9
	v_div_fmas_f32 v5, v5, v7, v10
	v_pk_mul_f32 v[6:7], v[2:3], v[6:7] op_sel_hi:[1,0]
	v_pk_add_f32 v[10:11], v[2:3], v[6:7] op_sel:[0,1] op_sel_hi:[1,0] neg_lo:[0,1] neg_hi:[0,1]
	v_pk_add_f32 v[2:3], v[2:3], v[6:7] op_sel:[0,1] op_sel_hi:[1,0]
	v_div_fixup_f32 v4, v5, v4, 1.0
	v_mov_b32_e32 v3, v11
	v_pk_mul_f32 v[6:7], v[2:3], v[4:5] op_sel_hi:[1,0]
	s_branch .LBB157_141
.LBB157_148:
	s_mov_b64 s[4:5], 0
.LBB157_149:
	s_andn2_b64 vcc, exec, s[4:5]
	s_cbranch_vccnz .LBB157_188
; %bb.150:
	s_cmp_lt_i32 s16, 4
	s_mov_b32 s4, 0
	s_cbranch_scc1 .LBB157_173
; %bb.151:
	v_mov_b32_e32 v1, 0xc80
	v_lshl_add_u32 v1, v0, 3, v1
	s_mov_b32 s2, 0
	s_mov_b32 s3, 0
.LBB157_152:                            ; =>This Loop Header: Depth=1
                                        ;     Child Loop BB157_154 Depth 2
	s_mul_i32 s4, s3, 20
	v_add_lshl_u32 v4, s4, v0, 3
	s_add_i32 s6, s4, 20
	s_add_i32 s5, s4, 40
	;; [unrolled: 1-line block ×3, first 2 shown]
	v_add_lshl_u32 v5, s6, v0, 3
	v_add_lshl_u32 v12, s5, v0, 3
	;; [unrolled: 1-line block ×3, first 2 shown]
	ds_read_b64 v[2:3], v4 offset:3200
	ds_read_b64 v[10:11], v5 offset:3200
	;; [unrolled: 1-line block ×4, first 2 shown]
	s_cmp_eq_u32 s3, 0
	s_cbranch_scc1 .LBB157_155
; %bb.153:                              ;   in Loop: Header=BB157_152 Depth=1
	s_mov_b32 s0, 0
	v_mov_b32_e32 v14, v1
	s_mov_b32 s1, s2
.LBB157_154:                            ;   Parent Loop BB157_152 Depth=1
                                        ; =>  This Inner Loop Header: Depth=2
	v_mov_b32_e32 v15, s1
	ds_read2_b64 v[16:19], v14 offset1:20
	ds_read_b128 v[20:23], v15
	ds_read_b128 v[24:27], v15 offset:160
	ds_read_b128 v[28:31], v15 offset:320
	;; [unrolled: 1-line block ×3, first 2 shown]
	s_add_i32 s0, s0, 2
	s_add_i32 s1, s1, 16
	v_add_u32_e32 v14, 0x140, v14
	s_waitcnt lgkmcnt(3)
	v_mul_f32_e32 v15, v21, v17
	v_mul_f32_e32 v36, v20, v17
	s_waitcnt lgkmcnt(2)
	v_mul_f32_e32 v37, v25, v17
	v_mul_f32_e32 v25, v25, v16
	;; [unrolled: 3-line block ×4, first 2 shown]
	v_mul_f32_e32 v40, v23, v19
	v_mul_f32_e32 v41, v22, v19
	;; [unrolled: 1-line block ×8, first 2 shown]
	v_fma_f32 v15, v20, v16, -v15
	v_fmac_f32_e32 v36, v21, v16
	v_fma_f32 v20, v24, v16, -v37
	v_fmac_f32_e32 v25, v24, v17
	;; [unrolled: 2-line block ×8, first 2 shown]
	v_sub_f32_e32 v2, v2, v15
	v_sub_f32_e32 v3, v3, v36
	;; [unrolled: 1-line block ×8, first 2 shown]
	s_cmp_ge_u32 s0, s3
	v_sub_f32_e32 v2, v2, v17
	v_sub_f32_e32 v3, v3, v41
	;; [unrolled: 1-line block ×8, first 2 shown]
	s_cbranch_scc0 .LBB157_154
.LBB157_155:                            ;   in Loop: Header=BB157_152 Depth=1
	s_mul_i32 s7, s3, 0xa8
	v_add_u32_e32 v17, 0xc80, v4
	v_mov_b32_e32 v4, s7
	v_add_u32_e32 v16, 0xc80, v5
	ds_read_b64 v[4:5], v4
	v_add_u32_e32 v15, 0xc80, v12
	v_add_u32_e32 v14, 0xc80, v13
	s_waitcnt lgkmcnt(0)
	v_cmp_gt_f32_e32 vcc, 0, v5
	v_cndmask_b32_e64 v12, v5, -v5, vcc
	v_cmp_gt_f32_e32 vcc, 0, v4
	v_cndmask_b32_e64 v13, v4, -v4, vcc
	v_cmp_ngt_f32_e32 vcc, v13, v12
	s_cbranch_vccz .LBB157_157
; %bb.156:                              ;   in Loop: Header=BB157_152 Depth=1
	v_div_scale_f32 v12, s[0:1], v5, v5, v4
	v_rcp_f32_e32 v13, v12
	v_div_scale_f32 v18, vcc, v4, v5, v4
	v_fma_f32 v19, -v12, v13, 1.0
	v_fmac_f32_e32 v13, v19, v13
	v_mul_f32_e32 v19, v18, v13
	v_fma_f32 v20, -v12, v19, v18
	v_fmac_f32_e32 v19, v20, v13
	v_fma_f32 v12, -v12, v19, v18
	v_div_fmas_f32 v12, v12, v13, v19
	v_div_fixup_f32 v13, v12, v5, v4
	v_fma_f32 v12, v4, v13, v5
	v_div_scale_f32 v18, s[0:1], v12, v12, 1.0
	v_rcp_f32_e32 v19, v18
	v_fma_f32 v20, -v18, v19, 1.0
	v_fmac_f32_e32 v19, v20, v19
	v_div_scale_f32 v20, vcc, 1.0, v12, 1.0
	v_mul_f32_e32 v21, v20, v19
	v_fma_f32 v22, -v18, v21, v20
	v_fmac_f32_e32 v21, v22, v19
	v_fma_f32 v18, -v18, v21, v20
	v_div_fmas_f32 v18, v18, v19, v21
	v_div_fixup_f32 v18, v18, v12, 1.0
	v_fma_f32 v12, v2, v13, v3
	v_fma_f32 v13, v3, v13, -v2
	v_mul_f32_e32 v12, v12, v18
	v_mul_f32_e32 v13, v13, v18
	s_cbranch_execz .LBB157_158
	s_branch .LBB157_159
.LBB157_157:                            ;   in Loop: Header=BB157_152 Depth=1
                                        ; implicit-def: $vgpr13
.LBB157_158:                            ;   in Loop: Header=BB157_152 Depth=1
	v_div_scale_f32 v12, s[0:1], v4, v4, v5
	v_rcp_f32_e32 v13, v12
	v_div_scale_f32 v18, vcc, v5, v4, v5
	v_fma_f32 v19, -v12, v13, 1.0
	v_fmac_f32_e32 v13, v19, v13
	v_mul_f32_e32 v19, v18, v13
	v_fma_f32 v20, -v12, v19, v18
	v_fmac_f32_e32 v19, v20, v13
	v_fma_f32 v12, -v12, v19, v18
	v_div_fmas_f32 v12, v12, v13, v19
	v_div_fixup_f32 v13, v12, v4, v5
	v_fmac_f32_e32 v4, v5, v13
	v_div_scale_f32 v5, s[0:1], v4, v4, 1.0
	v_rcp_f32_e32 v12, v5
	v_fma_f32 v18, -v5, v12, 1.0
	v_fmac_f32_e32 v12, v18, v12
	v_div_scale_f32 v18, vcc, 1.0, v4, 1.0
	v_mul_f32_e32 v19, v18, v12
	v_fma_f32 v20, -v5, v19, v18
	v_fmac_f32_e32 v19, v20, v12
	v_fma_f32 v5, -v5, v19, v18
	v_div_fmas_f32 v5, v5, v12, v19
	v_div_fixup_f32 v4, v5, v4, 1.0
	v_fma_f32 v5, v3, v13, v2
	v_fma_f32 v2, -v2, v13, v3
	v_mul_f32_e32 v12, v5, v4
	v_mul_f32_e32 v13, v2, v4
.LBB157_159:                            ;   in Loop: Header=BB157_152 Depth=1
	s_add_i32 s6, s6, s3
	s_lshl_b32 s0, s6, 3
	v_mov_b32_e32 v2, s0
	ds_read_b128 v[2:5], v2
	ds_write_b64 v17, v[12:13]
	s_waitcnt lgkmcnt(1)
	v_mul_f32_e32 v17, v13, v3
	v_mul_f32_e32 v3, v12, v3
	v_fma_f32 v17, v12, v2, -v17
	v_cmp_gt_f32_e32 vcc, 0, v5
	v_fmac_f32_e32 v3, v13, v2
	v_sub_f32_e32 v2, v10, v17
	v_cndmask_b32_e64 v10, v5, -v5, vcc
	v_cmp_gt_f32_e32 vcc, 0, v4
	v_sub_f32_e32 v3, v11, v3
	v_cndmask_b32_e64 v11, v4, -v4, vcc
	v_cmp_ngt_f32_e32 vcc, v11, v10
	s_cbranch_vccz .LBB157_161
; %bb.160:                              ;   in Loop: Header=BB157_152 Depth=1
	v_div_scale_f32 v10, s[0:1], v5, v5, v4
	v_rcp_f32_e32 v11, v10
	v_div_scale_f32 v17, vcc, v4, v5, v4
	v_fma_f32 v18, -v10, v11, 1.0
	v_fmac_f32_e32 v11, v18, v11
	v_mul_f32_e32 v18, v17, v11
	v_fma_f32 v19, -v10, v18, v17
	v_fmac_f32_e32 v18, v19, v11
	v_fma_f32 v10, -v10, v18, v17
	v_div_fmas_f32 v10, v10, v11, v18
	v_div_fixup_f32 v11, v10, v5, v4
	v_fma_f32 v10, v4, v11, v5
	v_div_scale_f32 v17, s[0:1], v10, v10, 1.0
	v_rcp_f32_e32 v18, v17
	v_fma_f32 v19, -v17, v18, 1.0
	v_fmac_f32_e32 v18, v19, v18
	v_div_scale_f32 v19, vcc, 1.0, v10, 1.0
	v_mul_f32_e32 v20, v19, v18
	v_fma_f32 v21, -v17, v20, v19
	v_fmac_f32_e32 v20, v21, v18
	v_fma_f32 v17, -v17, v20, v19
	v_div_fmas_f32 v17, v17, v18, v20
	v_div_fixup_f32 v17, v17, v10, 1.0
	v_fma_f32 v10, v11, v2, v3
	v_fma_f32 v11, v11, v3, -v2
	v_mul_f32_e32 v10, v10, v17
	v_mul_f32_e32 v11, v11, v17
	s_cbranch_execz .LBB157_162
	s_branch .LBB157_163
.LBB157_161:                            ;   in Loop: Header=BB157_152 Depth=1
                                        ; implicit-def: $vgpr11
.LBB157_162:                            ;   in Loop: Header=BB157_152 Depth=1
	v_div_scale_f32 v10, s[0:1], v4, v4, v5
	v_rcp_f32_e32 v11, v10
	v_div_scale_f32 v17, vcc, v5, v4, v5
	v_fma_f32 v18, -v10, v11, 1.0
	v_fmac_f32_e32 v11, v18, v11
	v_mul_f32_e32 v18, v17, v11
	v_fma_f32 v19, -v10, v18, v17
	v_fmac_f32_e32 v18, v19, v11
	v_fma_f32 v10, -v10, v18, v17
	v_div_fmas_f32 v10, v10, v11, v18
	v_div_fixup_f32 v11, v10, v4, v5
	v_fmac_f32_e32 v4, v5, v11
	v_div_scale_f32 v5, s[0:1], v4, v4, 1.0
	v_rcp_f32_e32 v10, v5
	v_fma_f32 v17, -v5, v10, 1.0
	v_fmac_f32_e32 v10, v17, v10
	v_div_scale_f32 v17, vcc, 1.0, v4, 1.0
	v_mul_f32_e32 v18, v17, v10
	v_fma_f32 v19, -v5, v18, v17
	v_fmac_f32_e32 v18, v19, v10
	v_fma_f32 v5, -v5, v18, v17
	v_div_fmas_f32 v5, v5, v10, v18
	v_div_fixup_f32 v4, v5, v4, 1.0
	v_fma_f32 v5, v11, v3, v2
	v_fma_f32 v2, -v11, v2, v3
	v_mul_f32_e32 v10, v5, v4
	v_mul_f32_e32 v11, v2, v4
.LBB157_163:                            ;   in Loop: Header=BB157_152 Depth=1
	s_add_i32 s5, s5, s3
	s_lshl_b32 s0, s5, 3
	v_mov_b32_e32 v2, s0
	ds_read_b128 v[18:21], v2
	v_mov_b32_e32 v2, s7
	ds_read_b64 v[2:3], v2 offset:336
	ds_write_b64 v16, v[10:11]
	s_waitcnt lgkmcnt(2)
	v_mul_f32_e32 v4, v13, v19
	v_mul_f32_e32 v5, v12, v19
	v_fma_f32 v4, v12, v18, -v4
	v_fmac_f32_e32 v5, v13, v18
	v_sub_f32_e32 v4, v8, v4
	v_mul_f32_e32 v8, v11, v21
	v_sub_f32_e32 v5, v9, v5
	v_fma_f32 v8, v10, v20, -v8
	v_mul_f32_e32 v9, v10, v21
	s_waitcnt lgkmcnt(1)
	v_cmp_gt_f32_e32 vcc, 0, v3
	v_fmac_f32_e32 v9, v11, v20
	v_sub_f32_e32 v4, v4, v8
	v_cndmask_b32_e64 v8, v3, -v3, vcc
	v_cmp_gt_f32_e32 vcc, 0, v2
	v_sub_f32_e32 v5, v5, v9
	v_cndmask_b32_e64 v9, v2, -v2, vcc
	v_cmp_ngt_f32_e32 vcc, v9, v8
	s_cbranch_vccz .LBB157_165
; %bb.164:                              ;   in Loop: Header=BB157_152 Depth=1
	v_div_scale_f32 v8, s[0:1], v3, v3, v2
	v_rcp_f32_e32 v9, v8
	v_div_scale_f32 v16, vcc, v2, v3, v2
	v_fma_f32 v17, -v8, v9, 1.0
	v_fmac_f32_e32 v9, v17, v9
	v_mul_f32_e32 v17, v16, v9
	v_fma_f32 v18, -v8, v17, v16
	v_fmac_f32_e32 v17, v18, v9
	v_fma_f32 v8, -v8, v17, v16
	v_div_fmas_f32 v8, v8, v9, v17
	v_div_fixup_f32 v9, v8, v3, v2
	v_fma_f32 v8, v2, v9, v3
	v_div_scale_f32 v16, s[0:1], v8, v8, 1.0
	v_rcp_f32_e32 v17, v16
	v_fma_f32 v18, -v16, v17, 1.0
	v_fmac_f32_e32 v17, v18, v17
	v_div_scale_f32 v18, vcc, 1.0, v8, 1.0
	v_mul_f32_e32 v19, v18, v17
	v_fma_f32 v20, -v16, v19, v18
	v_fmac_f32_e32 v19, v20, v17
	v_fma_f32 v16, -v16, v19, v18
	v_div_fmas_f32 v16, v16, v17, v19
	v_div_fixup_f32 v16, v16, v8, 1.0
	v_fma_f32 v8, v9, v4, v5
	v_fma_f32 v9, v9, v5, -v4
	v_mul_f32_e32 v8, v8, v16
	v_mul_f32_e32 v9, v9, v16
	s_cbranch_execz .LBB157_166
	s_branch .LBB157_167
.LBB157_165:                            ;   in Loop: Header=BB157_152 Depth=1
                                        ; implicit-def: $vgpr9
.LBB157_166:                            ;   in Loop: Header=BB157_152 Depth=1
	v_div_scale_f32 v8, s[0:1], v2, v2, v3
	v_rcp_f32_e32 v9, v8
	v_div_scale_f32 v16, vcc, v3, v2, v3
	v_fma_f32 v17, -v8, v9, 1.0
	v_fmac_f32_e32 v9, v17, v9
	v_mul_f32_e32 v17, v16, v9
	v_fma_f32 v18, -v8, v17, v16
	v_fmac_f32_e32 v17, v18, v9
	v_fma_f32 v8, -v8, v17, v16
	v_div_fmas_f32 v8, v8, v9, v17
	v_div_fixup_f32 v9, v8, v2, v3
	v_fmac_f32_e32 v2, v3, v9
	v_div_scale_f32 v3, s[0:1], v2, v2, 1.0
	v_rcp_f32_e32 v8, v3
	v_fma_f32 v16, -v3, v8, 1.0
	v_fmac_f32_e32 v8, v16, v8
	v_div_scale_f32 v16, vcc, 1.0, v2, 1.0
	v_mul_f32_e32 v17, v16, v8
	v_fma_f32 v18, -v3, v17, v16
	v_fmac_f32_e32 v17, v18, v8
	v_fma_f32 v3, -v3, v17, v16
	v_div_fmas_f32 v3, v3, v8, v17
	v_div_fixup_f32 v2, v3, v2, 1.0
	v_fma_f32 v3, v9, v5, v4
	v_mul_f32_e32 v8, v3, v2
	v_fma_f32 v3, -v9, v4, v5
	v_mul_f32_e32 v9, v3, v2
.LBB157_167:                            ;   in Loop: Header=BB157_152 Depth=1
	s_add_i32 s4, s4, s3
	s_lshl_b32 s0, s4, 3
	v_mov_b32_e32 v2, s0
	ds_read_b128 v[16:19], v2
	ds_write_b64 v15, v[8:9]
	ds_read_b128 v[2:5], v2 offset:16
	s_waitcnt lgkmcnt(2)
	v_mul_f32_e32 v15, v13, v17
	v_mul_f32_e32 v17, v12, v17
	v_fma_f32 v12, v12, v16, -v15
	v_sub_f32_e32 v6, v6, v12
	v_mul_f32_e32 v12, v11, v19
	v_fmac_f32_e32 v17, v13, v16
	v_fma_f32 v12, v10, v18, -v12
	v_mul_f32_e32 v10, v10, v19
	v_sub_f32_e32 v7, v7, v17
	v_fmac_f32_e32 v10, v11, v18
	v_sub_f32_e32 v7, v7, v10
	s_waitcnt lgkmcnt(0)
	v_mul_f32_e32 v10, v9, v3
	v_mul_f32_e32 v3, v8, v3
	v_cmp_gt_f32_e32 vcc, 0, v5
	v_fma_f32 v10, v8, v2, -v10
	v_fmac_f32_e32 v3, v9, v2
	v_cndmask_b32_e64 v2, v5, -v5, vcc
	v_cmp_gt_f32_e32 vcc, 0, v4
	v_sub_f32_e32 v7, v7, v3
	v_cndmask_b32_e64 v3, v4, -v4, vcc
	v_sub_f32_e32 v6, v6, v12
	v_cmp_ngt_f32_e32 vcc, v3, v2
	v_sub_f32_e32 v6, v6, v10
	s_cbranch_vccz .LBB157_169
; %bb.168:                              ;   in Loop: Header=BB157_152 Depth=1
	v_div_scale_f32 v2, s[0:1], v5, v5, v4
	v_rcp_f32_e32 v3, v2
	v_div_scale_f32 v8, vcc, v4, v5, v4
	v_fma_f32 v9, -v2, v3, 1.0
	v_fmac_f32_e32 v3, v9, v3
	v_mul_f32_e32 v9, v8, v3
	v_fma_f32 v10, -v2, v9, v8
	v_fmac_f32_e32 v9, v10, v3
	v_fma_f32 v2, -v2, v9, v8
	v_div_fmas_f32 v2, v2, v3, v9
	v_div_fixup_f32 v3, v2, v5, v4
	v_fma_f32 v2, v4, v3, v5
	v_div_scale_f32 v8, s[0:1], v2, v2, 1.0
	v_rcp_f32_e32 v9, v8
	v_fma_f32 v10, -v8, v9, 1.0
	v_fmac_f32_e32 v9, v10, v9
	v_div_scale_f32 v10, vcc, 1.0, v2, 1.0
	v_mul_f32_e32 v11, v10, v9
	v_fma_f32 v12, -v8, v11, v10
	v_fmac_f32_e32 v11, v12, v9
	v_fma_f32 v8, -v8, v11, v10
	v_div_fmas_f32 v8, v8, v9, v11
	v_div_fixup_f32 v8, v8, v2, 1.0
	v_fma_f32 v2, v3, v6, v7
	v_fma_f32 v3, v3, v7, -v6
	v_mul_f32_e32 v2, v2, v8
	v_mul_f32_e32 v3, v3, v8
	s_cbranch_execz .LBB157_170
	s_branch .LBB157_171
.LBB157_169:                            ;   in Loop: Header=BB157_152 Depth=1
                                        ; implicit-def: $vgpr3
.LBB157_170:                            ;   in Loop: Header=BB157_152 Depth=1
	v_div_scale_f32 v2, s[0:1], v4, v4, v5
	v_rcp_f32_e32 v3, v2
	v_div_scale_f32 v8, vcc, v5, v4, v5
	v_fma_f32 v9, -v2, v3, 1.0
	v_fmac_f32_e32 v3, v9, v3
	v_mul_f32_e32 v9, v8, v3
	v_fma_f32 v10, -v2, v9, v8
	v_fmac_f32_e32 v9, v10, v3
	v_fma_f32 v2, -v2, v9, v8
	v_div_fmas_f32 v2, v2, v3, v9
	v_div_fixup_f32 v3, v2, v4, v5
	v_fmac_f32_e32 v4, v5, v3
	v_div_scale_f32 v2, s[0:1], v4, v4, 1.0
	v_rcp_f32_e32 v5, v2
	v_fma_f32 v8, -v2, v5, 1.0
	v_fmac_f32_e32 v5, v8, v5
	v_div_scale_f32 v8, vcc, 1.0, v4, 1.0
	v_mul_f32_e32 v9, v8, v5
	v_fma_f32 v10, -v2, v9, v8
	v_fmac_f32_e32 v9, v10, v5
	v_fma_f32 v2, -v2, v9, v8
	v_div_fmas_f32 v2, v2, v5, v9
	v_div_fixup_f32 v4, v2, v4, 1.0
	v_fma_f32 v2, v3, v7, v6
	v_fma_f32 v3, -v3, v6, v7
	v_mul_f32_e32 v2, v2, v4
	v_mul_f32_e32 v3, v3, v4
.LBB157_171:                            ;   in Loop: Header=BB157_152 Depth=1
	s_add_i32 s4, s3, 4
	s_add_i32 s0, s3, 7
	s_addk_i32 s2, 0x280
	s_cmp_ge_i32 s0, s33
	ds_write_b64 v14, v[2:3]
	s_cbranch_scc1 .LBB157_173
; %bb.172:                              ;   in Loop: Header=BB157_152 Depth=1
	s_mov_b32 s3, s4
	s_branch .LBB157_152
.LBB157_173:
	s_cmp_ge_i32 s4, s33
	s_cbranch_scc1 .LBB157_188
; %bb.174:
	v_mov_b32_e32 v1, 0xc80
	s_add_i32 s2, s4, -1
	s_mul_i32 s3, s4, 0xa0
	v_lshl_add_u32 v1, v0, 3, v1
	s_mov_b32 s5, 0
	s_mov_b32 s6, s4
	s_branch .LBB157_176
.LBB157_175:                            ;   in Loop: Header=BB157_176 Depth=1
	s_add_i32 s4, s4, 1
	s_add_i32 s5, s5, 1
	s_addk_i32 s3, 0xa0
	v_add_u16_e64 v2, s6, 1
	s_cmp_ge_i32 s4, s33
	v_readfirstlane_b32 s6, v2
	ds_write_b64 v8, v[6:7]
	s_cbranch_scc1 .LBB157_188
.LBB157_176:                            ; =>This Loop Header: Depth=1
                                        ;     Child Loop BB157_179 Depth 2
                                        ;     Child Loop BB157_183 Depth 2
	s_mul_i32 s0, s4, 20
	v_add_lshl_u32 v4, s0, v0, 3
	ds_read_b64 v[2:3], v4 offset:3200
	s_cmp_eq_u32 s4, 0
	s_cbranch_scc1 .LBB157_184
; %bb.177:                              ;   in Loop: Header=BB157_176 Depth=1
	s_add_i32 s0, s2, s5
	s_cmp_lt_u32 s0, 7
	s_cbranch_scc1 .LBB157_181
; %bb.178:                              ;   in Loop: Header=BB157_176 Depth=1
	s_and_b32 s0, s4, -8
	s_mov_b32 s1, 0
	v_mov_b32_e32 v5, v1
	s_mov_b32 s7, s3
.LBB157_179:                            ;   Parent Loop BB157_176 Depth=1
                                        ; =>  This Inner Loop Header: Depth=2
	ds_read2_b64 v[6:9], v5 offset1:20
	v_mov_b32_e32 v34, s7
	ds_read2_b64 v[10:13], v5 offset0:40 offset1:60
	ds_read2_b64 v[14:17], v5 offset0:80 offset1:100
	;; [unrolled: 1-line block ×3, first 2 shown]
	ds_read_b128 v[22:25], v34
	ds_read_b128 v[26:29], v34 offset:16
	ds_read_b128 v[30:33], v34 offset:32
	;; [unrolled: 1-line block ×3, first 2 shown]
	s_add_i32 s1, s1, 8
	s_waitcnt lgkmcnt(3)
	v_pk_mul_f32 v[38:39], v[22:23], v[6:7] op_sel:[0,1]
	v_pk_mul_f32 v[40:41], v[24:25], v[8:9] op_sel:[0,1]
	v_pk_fma_f32 v[54:55], v[22:23], v[6:7], v[38:39] op_sel:[0,0,1] op_sel_hi:[1,0,0]
	v_pk_fma_f32 v[6:7], v[22:23], v[6:7], v[38:39] op_sel:[0,0,1] op_sel_hi:[1,0,0] neg_lo:[0,0,1] neg_hi:[0,0,1]
	s_waitcnt lgkmcnt(2)
	v_pk_mul_f32 v[42:43], v[26:27], v[10:11] op_sel:[0,1]
	v_pk_fma_f32 v[22:23], v[24:25], v[8:9], v[40:41] op_sel:[0,0,1] op_sel_hi:[1,0,0]
	v_pk_fma_f32 v[8:9], v[24:25], v[8:9], v[40:41] op_sel:[0,0,1] op_sel_hi:[1,0,0] neg_lo:[0,0,1] neg_hi:[0,0,1]
	v_mov_b32_e32 v7, v55
	v_pk_mul_f32 v[44:45], v[28:29], v[12:13] op_sel:[0,1]
	v_pk_fma_f32 v[24:25], v[26:27], v[10:11], v[42:43] op_sel:[0,0,1] op_sel_hi:[1,0,0]
	v_pk_fma_f32 v[10:11], v[26:27], v[10:11], v[42:43] op_sel:[0,0,1] op_sel_hi:[1,0,0] neg_lo:[0,0,1] neg_hi:[0,0,1]
	v_mov_b32_e32 v9, v23
	v_pk_add_f32 v[2:3], v[2:3], v[6:7] neg_lo:[0,1] neg_hi:[0,1]
	s_waitcnt lgkmcnt(1)
	v_pk_mul_f32 v[46:47], v[30:31], v[14:15] op_sel:[0,1]
	v_pk_fma_f32 v[26:27], v[28:29], v[12:13], v[44:45] op_sel:[0,0,1] op_sel_hi:[1,0,0]
	v_pk_fma_f32 v[12:13], v[28:29], v[12:13], v[44:45] op_sel:[0,0,1] op_sel_hi:[1,0,0] neg_lo:[0,0,1] neg_hi:[0,0,1]
	v_mov_b32_e32 v11, v25
	v_pk_add_f32 v[2:3], v[2:3], v[8:9] neg_lo:[0,1] neg_hi:[0,1]
	v_pk_mul_f32 v[48:49], v[32:33], v[16:17] op_sel:[0,1]
	v_pk_fma_f32 v[28:29], v[30:31], v[14:15], v[46:47] op_sel:[0,0,1] op_sel_hi:[1,0,0]
	v_pk_fma_f32 v[14:15], v[30:31], v[14:15], v[46:47] op_sel:[0,0,1] op_sel_hi:[1,0,0] neg_lo:[0,0,1] neg_hi:[0,0,1]
	v_mov_b32_e32 v13, v27
	v_pk_add_f32 v[2:3], v[2:3], v[10:11] neg_lo:[0,1] neg_hi:[0,1]
	s_waitcnt lgkmcnt(0)
	v_pk_mul_f32 v[50:51], v[34:35], v[18:19] op_sel:[0,1]
	v_pk_fma_f32 v[30:31], v[32:33], v[16:17], v[48:49] op_sel:[0,0,1] op_sel_hi:[1,0,0]
	v_pk_fma_f32 v[16:17], v[32:33], v[16:17], v[48:49] op_sel:[0,0,1] op_sel_hi:[1,0,0] neg_lo:[0,0,1] neg_hi:[0,0,1]
	v_mov_b32_e32 v15, v29
	v_pk_add_f32 v[2:3], v[2:3], v[12:13] neg_lo:[0,1] neg_hi:[0,1]
	v_pk_mul_f32 v[52:53], v[36:37], v[20:21] op_sel:[0,1]
	v_pk_fma_f32 v[32:33], v[34:35], v[18:19], v[50:51] op_sel:[0,0,1] op_sel_hi:[1,0,0]
	v_pk_fma_f32 v[18:19], v[34:35], v[18:19], v[50:51] op_sel:[0,0,1] op_sel_hi:[1,0,0] neg_lo:[0,0,1] neg_hi:[0,0,1]
	v_mov_b32_e32 v17, v31
	v_pk_add_f32 v[2:3], v[2:3], v[14:15] neg_lo:[0,1] neg_hi:[0,1]
	v_pk_fma_f32 v[34:35], v[36:37], v[20:21], v[52:53] op_sel:[0,0,1] op_sel_hi:[1,0,0]
	v_pk_fma_f32 v[20:21], v[36:37], v[20:21], v[52:53] op_sel:[0,0,1] op_sel_hi:[1,0,0] neg_lo:[0,0,1] neg_hi:[0,0,1]
	v_mov_b32_e32 v19, v33
	v_pk_add_f32 v[2:3], v[2:3], v[16:17] neg_lo:[0,1] neg_hi:[0,1]
	s_add_i32 s7, s7, 64
	v_mov_b32_e32 v21, v35
	v_pk_add_f32 v[2:3], v[2:3], v[18:19] neg_lo:[0,1] neg_hi:[0,1]
	v_add_u32_e32 v5, 0x500, v5
	s_cmp_eq_u32 s0, s1
	v_pk_add_f32 v[2:3], v[2:3], v[20:21] neg_lo:[0,1] neg_hi:[0,1]
	s_cbranch_scc0 .LBB157_179
; %bb.180:                              ;   in Loop: Header=BB157_176 Depth=1
	s_and_b32 s1, s4, 7
	s_cmp_eq_u32 s1, 0
	s_cbranch_scc0 .LBB157_182
	s_branch .LBB157_184
.LBB157_181:                            ;   in Loop: Header=BB157_176 Depth=1
	s_mov_b32 s0, 0
	s_and_b32 s1, s4, 7
	s_cmp_eq_u32 s1, 0
	s_cbranch_scc1 .LBB157_184
.LBB157_182:                            ;   in Loop: Header=BB157_176 Depth=1
	s_lshl_b32 s7, s0, 3
	s_mulk_i32 s0, 0xa0
	s_and_b32 s1, s6, 7
	v_add_u32_e32 v5, s0, v1
.LBB157_183:                            ;   Parent Loop BB157_176 Depth=1
                                        ; =>  This Inner Loop Header: Depth=2
	s_add_i32 s0, s3, s7
	v_mov_b32_e32 v8, s0
	ds_read_b64 v[6:7], v5
	ds_read_b64 v[8:9], v8
	s_add_i32 s7, s7, 8
	s_add_i32 s1, s1, -1
	v_add_u32_e32 v5, 0xa0, v5
	s_cmp_lg_u32 s1, 0
	s_waitcnt lgkmcnt(0)
	v_pk_mul_f32 v[10:11], v[8:9], v[6:7] op_sel:[0,1]
	v_pk_fma_f32 v[12:13], v[8:9], v[6:7], v[10:11] op_sel:[0,0,1] op_sel_hi:[1,0,0]
	v_pk_fma_f32 v[6:7], v[8:9], v[6:7], v[10:11] op_sel:[0,0,1] op_sel_hi:[1,0,0] neg_lo:[0,0,1] neg_hi:[0,0,1]
	v_mov_b32_e32 v7, v13
	v_pk_add_f32 v[2:3], v[2:3], v[6:7] neg_lo:[0,1] neg_hi:[0,1]
	s_cbranch_scc1 .LBB157_183
.LBB157_184:                            ;   in Loop: Header=BB157_176 Depth=1
	s_mul_i32 s0, s4, 0xa8
	v_add_u32_e32 v8, 0xc80, v4
	v_mov_b32_e32 v4, s0
	ds_read_b64 v[4:5], v4
	s_waitcnt lgkmcnt(0)
	v_cmp_gt_f32_e32 vcc, 0, v5
	v_cndmask_b32_e64 v6, v5, -v5, vcc
	v_cmp_gt_f32_e32 vcc, 0, v4
	v_cndmask_b32_e64 v7, v4, -v4, vcc
	v_cmp_ngt_f32_e32 vcc, v7, v6
	s_cbranch_vccz .LBB157_186
; %bb.185:                              ;   in Loop: Header=BB157_176 Depth=1
	v_div_scale_f32 v6, s[0:1], v5, v5, v4
	v_rcp_f32_e32 v7, v6
	v_div_scale_f32 v9, vcc, v4, v5, v4
	v_fma_f32 v10, -v6, v7, 1.0
	v_fmac_f32_e32 v7, v10, v7
	v_mul_f32_e32 v10, v9, v7
	v_fma_f32 v11, -v6, v10, v9
	v_fmac_f32_e32 v10, v11, v7
	v_fma_f32 v6, -v6, v10, v9
	v_div_fmas_f32 v6, v6, v7, v10
	v_div_fixup_f32 v6, v6, v5, v4
	v_fma_f32 v7, v4, v6, v5
	v_div_scale_f32 v9, s[0:1], v7, v7, 1.0
	v_rcp_f32_e32 v10, v9
	v_fma_f32 v11, -v9, v10, 1.0
	v_fmac_f32_e32 v10, v11, v10
	v_div_scale_f32 v11, vcc, 1.0, v7, 1.0
	v_mul_f32_e32 v12, v11, v10
	v_fma_f32 v13, -v9, v12, v11
	v_fmac_f32_e32 v12, v13, v10
	v_fma_f32 v9, -v9, v12, v11
	v_div_fmas_f32 v9, v9, v10, v12
	v_div_fixup_f32 v10, v9, v7, 1.0
	v_pk_fma_f32 v[12:13], v[2:3], v[6:7], v[2:3] op_sel:[0,0,1] op_sel_hi:[1,0,0] neg_lo:[0,0,1] neg_hi:[0,0,1]
	v_pk_fma_f32 v[6:7], v[2:3], v[6:7], v[2:3] op_sel:[0,0,1] op_sel_hi:[1,0,0]
	v_mov_b32_e32 v7, v13
	v_pk_mul_f32 v[6:7], v[6:7], v[10:11] op_sel_hi:[1,0]
	s_cbranch_execnz .LBB157_175
	s_branch .LBB157_187
.LBB157_186:                            ;   in Loop: Header=BB157_176 Depth=1
                                        ; implicit-def: $vgpr6_vgpr7
.LBB157_187:                            ;   in Loop: Header=BB157_176 Depth=1
	v_div_scale_f32 v6, s[0:1], v4, v4, v5
	v_rcp_f32_e32 v7, v6
	v_div_scale_f32 v9, vcc, v5, v4, v5
	v_fma_f32 v10, -v6, v7, 1.0
	v_fmac_f32_e32 v7, v10, v7
	v_mul_f32_e32 v10, v9, v7
	v_fma_f32 v11, -v6, v10, v9
	v_fmac_f32_e32 v10, v11, v7
	v_fma_f32 v6, -v6, v10, v9
	v_div_fmas_f32 v6, v6, v7, v10
	v_div_fixup_f32 v6, v6, v4, v5
	v_fmac_f32_e32 v4, v5, v6
	v_div_scale_f32 v5, s[0:1], v4, v4, 1.0
	v_rcp_f32_e32 v7, v5
	v_fma_f32 v9, -v5, v7, 1.0
	v_fmac_f32_e32 v7, v9, v7
	v_div_scale_f32 v9, vcc, 1.0, v4, 1.0
	v_mul_f32_e32 v10, v9, v7
	v_fma_f32 v11, -v5, v10, v9
	v_fmac_f32_e32 v10, v11, v7
	v_fma_f32 v5, -v5, v10, v9
	v_div_fmas_f32 v5, v5, v7, v10
	v_pk_mul_f32 v[6:7], v[2:3], v[6:7] op_sel_hi:[1,0]
	v_pk_add_f32 v[10:11], v[2:3], v[6:7] op_sel:[0,1] op_sel_hi:[1,0] neg_lo:[0,1] neg_hi:[0,1]
	v_pk_add_f32 v[2:3], v[2:3], v[6:7] op_sel:[0,1] op_sel_hi:[1,0]
	v_div_fixup_f32 v4, v5, v4, 1.0
	v_mov_b32_e32 v3, v11
	v_pk_mul_f32 v[6:7], v[2:3], v[4:5] op_sel_hi:[1,0]
	s_branch .LBB157_175
.LBB157_188:
	s_and_saveexec_b64 s[0:1], s[26:27]
	s_cbranch_execz .LBB157_195
; %bb.189:
	s_ashr_i32 s15, s14, 31
	s_mov_b32 s6, 0
	s_cmp_lt_u32 s16, 4
	v_lshlrev_b32_e32 v1, 3, v0
	s_cbranch_scc1 .LBB157_192
; %bb.190:
	v_mov_b32_e32 v3, s41
	v_add_co_u32_e32 v2, vcc, s40, v1
	s_mul_hi_i32 s9, s14, 24
	s_lshl_b64 s[0:1], s[14:15], 5
	s_lshl_b64 s[2:3], s[14:15], 4
	;; [unrolled: 1-line block ×3, first 2 shown]
	v_mov_b32_e32 v4, 0xc80
	v_addc_co_u32_e32 v3, vcc, 0, v3, vcc
	s_and_b32 s6, s16, 0x7ffffffc
	s_mul_i32 s7, s14, 24
	v_lshl_add_u32 v4, v0, 3, v4
	s_mov_b32 s8, 0
	v_mov_b32_e32 v5, s5
	v_mov_b32_e32 v6, s3
	;; [unrolled: 1-line block ×4, first 2 shown]
.LBB157_191:                            ; =>This Inner Loop Header: Depth=1
	v_add_co_u32_e32 v18, vcc, s4, v2
	ds_read2_b64 v[10:13], v4 offset1:20
	v_addc_co_u32_e32 v19, vcc, v3, v5, vcc
	v_add_co_u32_e32 v20, vcc, s2, v2
	v_addc_co_u32_e32 v21, vcc, v3, v6, vcc
	ds_read2_b64 v[14:17], v4 offset0:40 offset1:60
	v_add_co_u32_e32 v22, vcc, s7, v2
	v_addc_co_u32_e32 v23, vcc, v3, v7, vcc
	s_add_i32 s8, s8, 4
	s_waitcnt lgkmcnt(1)
	global_store_dwordx2 v[2:3], v[10:11], off
	global_store_dwordx2 v[18:19], v[12:13], off
	s_waitcnt lgkmcnt(0)
	global_store_dwordx2 v[20:21], v[14:15], off
	global_store_dwordx2 v[22:23], v[16:17], off
	v_add_co_u32_e32 v2, vcc, s0, v2
	v_add_u32_e32 v4, 0x280, v4
	s_cmp_lg_u32 s6, s8
	v_addc_co_u32_e32 v3, vcc, v3, v8, vcc
	s_cbranch_scc1 .LBB157_191
.LBB157_192:
	s_and_b32 s2, s16, 3
	s_cmp_eq_u32 s2, 0
	s_cbranch_scc1 .LBB157_195
; %bb.193:
	s_mul_hi_i32 s1, s14, s6
	s_mul_i32 s0, s14, s6
	s_lshl_b64 s[0:1], s[0:1], 3
	s_add_u32 s0, s24, s0
	s_addc_u32 s1, s25, s1
	s_add_u32 s0, s0, s39
	s_addc_u32 s1, s1, s38
	;; [unrolled: 2-line block ×4, first 2 shown]
	s_mul_i32 s3, s6, 0xa0
	v_mov_b32_e32 v3, s1
	v_add_co_u32_e32 v2, vcc, s0, v1
	s_lshl_b64 s[0:1], s[14:15], 3
	v_lshl_add_u32 v0, v0, 3, s3
	v_addc_co_u32_e32 v3, vcc, 0, v3, vcc
	v_add_u32_e32 v0, 0xc80, v0
	v_mov_b32_e32 v1, s1
.LBB157_194:                            ; =>This Inner Loop Header: Depth=1
	ds_read_b64 v[4:5], v0
	s_add_i32 s2, s2, -1
	v_add_u32_e32 v0, 0xa0, v0
	s_cmp_lg_u32 s2, 0
	s_waitcnt lgkmcnt(0)
	global_store_dwordx2 v[2:3], v[4:5], off
	v_add_co_u32_e32 v2, vcc, s0, v2
	v_addc_co_u32_e32 v3, vcc, v3, v1, vcc
	s_cbranch_scc1 .LBB157_194
.LBB157_195:
	s_endpgm
	.section	.rodata,"a",@progbits
	.p2align	6, 0x0
	.amdhsa_kernel _ZL31rocblas_trsm_small_right_deviceI19rocblas_complex_numIfES1_PKS1_PS1_Li20EEv13rocblas_fill_18rocblas_operation_17rocblas_diagonal_iiT0_T1_lilT2_lili
		.amdhsa_group_segment_fixed_size 6400
		.amdhsa_private_segment_fixed_size 0
		.amdhsa_kernarg_size 360
		.amdhsa_user_sgpr_count 6
		.amdhsa_user_sgpr_private_segment_buffer 1
		.amdhsa_user_sgpr_dispatch_ptr 0
		.amdhsa_user_sgpr_queue_ptr 0
		.amdhsa_user_sgpr_kernarg_segment_ptr 1
		.amdhsa_user_sgpr_dispatch_id 0
		.amdhsa_user_sgpr_flat_scratch_init 0
		.amdhsa_user_sgpr_kernarg_preload_length 0
		.amdhsa_user_sgpr_kernarg_preload_offset 0
		.amdhsa_user_sgpr_private_segment_size 0
		.amdhsa_uses_dynamic_stack 0
		.amdhsa_system_sgpr_private_segment_wavefront_offset 0
		.amdhsa_system_sgpr_workgroup_id_x 1
		.amdhsa_system_sgpr_workgroup_id_y 0
		.amdhsa_system_sgpr_workgroup_id_z 1
		.amdhsa_system_sgpr_workgroup_info 0
		.amdhsa_system_vgpr_workitem_id 0
		.amdhsa_next_free_vgpr 56
		.amdhsa_next_free_sgpr 48
		.amdhsa_accum_offset 56
		.amdhsa_reserve_vcc 1
		.amdhsa_reserve_flat_scratch 0
		.amdhsa_float_round_mode_32 0
		.amdhsa_float_round_mode_16_64 0
		.amdhsa_float_denorm_mode_32 3
		.amdhsa_float_denorm_mode_16_64 3
		.amdhsa_dx10_clamp 1
		.amdhsa_ieee_mode 1
		.amdhsa_fp16_overflow 0
		.amdhsa_tg_split 0
		.amdhsa_exception_fp_ieee_invalid_op 0
		.amdhsa_exception_fp_denorm_src 0
		.amdhsa_exception_fp_ieee_div_zero 0
		.amdhsa_exception_fp_ieee_overflow 0
		.amdhsa_exception_fp_ieee_underflow 0
		.amdhsa_exception_fp_ieee_inexact 0
		.amdhsa_exception_int_div_zero 0
	.end_amdhsa_kernel
	.section	.text._ZL31rocblas_trsm_small_right_deviceI19rocblas_complex_numIfES1_PKS1_PS1_Li20EEv13rocblas_fill_18rocblas_operation_17rocblas_diagonal_iiT0_T1_lilT2_lili,"axG",@progbits,_ZL31rocblas_trsm_small_right_deviceI19rocblas_complex_numIfES1_PKS1_PS1_Li20EEv13rocblas_fill_18rocblas_operation_17rocblas_diagonal_iiT0_T1_lilT2_lili,comdat
.Lfunc_end157:
	.size	_ZL31rocblas_trsm_small_right_deviceI19rocblas_complex_numIfES1_PKS1_PS1_Li20EEv13rocblas_fill_18rocblas_operation_17rocblas_diagonal_iiT0_T1_lilT2_lili, .Lfunc_end157-_ZL31rocblas_trsm_small_right_deviceI19rocblas_complex_numIfES1_PKS1_PS1_Li20EEv13rocblas_fill_18rocblas_operation_17rocblas_diagonal_iiT0_T1_lilT2_lili
                                        ; -- End function
	.section	.AMDGPU.csdata,"",@progbits
; Kernel info:
; codeLenInByte = 15840
; NumSgprs: 52
; NumVgprs: 56
; NumAgprs: 0
; TotalNumVgprs: 56
; ScratchSize: 0
; MemoryBound: 0
; FloatMode: 240
; IeeeMode: 1
; LDSByteSize: 6400 bytes/workgroup (compile time only)
; SGPRBlocks: 6
; VGPRBlocks: 6
; NumSGPRsForWavesPerEU: 52
; NumVGPRsForWavesPerEU: 56
; AccumOffset: 56
; Occupancy: 3
; WaveLimiterHint : 0
; COMPUTE_PGM_RSRC2:SCRATCH_EN: 0
; COMPUTE_PGM_RSRC2:USER_SGPR: 6
; COMPUTE_PGM_RSRC2:TRAP_HANDLER: 0
; COMPUTE_PGM_RSRC2:TGID_X_EN: 1
; COMPUTE_PGM_RSRC2:TGID_Y_EN: 0
; COMPUTE_PGM_RSRC2:TGID_Z_EN: 1
; COMPUTE_PGM_RSRC2:TIDIG_COMP_CNT: 0
; COMPUTE_PGM_RSRC3_GFX90A:ACCUM_OFFSET: 13
; COMPUTE_PGM_RSRC3_GFX90A:TG_SPLIT: 0
	.section	.text._ZL38rocblas_trsm_small_left_device_sharedBILi24ELi24ELb0E19rocblas_complex_numIfES1_PKS1_PS1_Ev13rocblas_fill_18rocblas_operation_17rocblas_diagonal_iiT3_T4_lilT5_lili,"axG",@progbits,_ZL38rocblas_trsm_small_left_device_sharedBILi24ELi24ELb0E19rocblas_complex_numIfES1_PKS1_PS1_Ev13rocblas_fill_18rocblas_operation_17rocblas_diagonal_iiT3_T4_lilT5_lili,comdat
	.globl	_ZL38rocblas_trsm_small_left_device_sharedBILi24ELi24ELb0E19rocblas_complex_numIfES1_PKS1_PS1_Ev13rocblas_fill_18rocblas_operation_17rocblas_diagonal_iiT3_T4_lilT5_lili ; -- Begin function _ZL38rocblas_trsm_small_left_device_sharedBILi24ELi24ELb0E19rocblas_complex_numIfES1_PKS1_PS1_Ev13rocblas_fill_18rocblas_operation_17rocblas_diagonal_iiT3_T4_lilT5_lili
	.p2align	8
	.type	_ZL38rocblas_trsm_small_left_device_sharedBILi24ELi24ELb0E19rocblas_complex_numIfES1_PKS1_PS1_Ev13rocblas_fill_18rocblas_operation_17rocblas_diagonal_iiT3_T4_lilT5_lili,@function
_ZL38rocblas_trsm_small_left_device_sharedBILi24ELi24ELb0E19rocblas_complex_numIfES1_PKS1_PS1_Ev13rocblas_fill_18rocblas_operation_17rocblas_diagonal_iiT3_T4_lilT5_lili: ; @_ZL38rocblas_trsm_small_left_device_sharedBILi24ELi24ELb0E19rocblas_complex_numIfES1_PKS1_PS1_Ev13rocblas_fill_18rocblas_operation_17rocblas_diagonal_iiT3_T4_lilT5_lili
; %bb.0:
	s_add_u32 s0, s0, s10
	s_load_dwordx4 s[20:23], s[4:5], 0x4
	s_load_dwordx2 s[30:31], s[4:5], 0x14
	s_load_dwordx4 s[16:19], s[4:5], 0x38
	s_load_dwordx2 s[24:25], s[4:5], 0x48
	s_load_dword s42, s[4:5], 0x68
	s_addc_u32 s1, s1, 0
	s_waitcnt lgkmcnt(0)
	s_min_i32 s33, s22, 24
	s_mov_b32 s43, 0
	s_add_i32 s44, s33, -1
	v_cmp_gt_i32_e32 vcc, s33, v0
	s_and_saveexec_b64 s[26:27], vcc
	s_cbranch_execz .LBB158_35
; %bb.1:
	s_load_dword s28, s[4:5], 0x30
	s_load_dwordx4 s[12:15], s[4:5], 0x20
	s_mul_i32 s6, s9, s17
	s_mul_hi_u32 s7, s9, s16
	s_mul_i32 s16, s9, s16
	s_waitcnt lgkmcnt(0)
	s_ashr_i32 s29, s28, 31
	s_cmpk_lg_i32 s20, 0x71
	s_cselect_b64 s[34:35], -1, 0
	s_add_i32 s17, s7, s6
	v_cndmask_b32_e64 v1, 0, 1, s[34:35]
	s_cmp_lt_u32 s44, 3
	v_cmp_ne_u32_e64 s[6:7], 1, v1
	s_cbranch_scc1 .LBB158_20
; %bb.2:
	s_lshl_b64 s[10:11], s[16:17], 3
	s_add_u32 s36, s12, s10
	s_addc_u32 s37, s13, s11
	s_lshl_b64 s[10:11], s[14:15], 3
	s_add_u32 s10, s36, s10
	s_addc_u32 s11, s37, s11
	v_lshlrev_b32_e32 v1, 3, v0
	v_mov_b32_e32 v3, s11
	v_add_co_u32_e32 v2, vcc, s10, v1
	s_mul_hi_i32 s10, s28, 24
	s_lshl_b64 s[36:37], s[28:29], 5
	s_lshl_b64 s[38:39], s[28:29], 4
	;; [unrolled: 1-line block ×3, first 2 shown]
	v_addc_co_u32_e32 v3, vcc, 0, v3, vcc
	s_and_b32 s43, s33, -4
	s_mul_i32 s45, s28, 24
	s_mov_b32 s46, 0
	v_mov_b32_e32 v8, s41
	v_mov_b32_e32 v9, s39
	;; [unrolled: 1-line block ×4, first 2 shown]
	s_branch .LBB158_4
.LBB158_3:                              ;   in Loop: Header=BB158_4 Depth=1
	global_load_dword v4, v[6:7], off
	s_add_i32 s46, s46, 4
	v_add_co_u32_e32 v2, vcc, s36, v2
	v_addc_co_u32_e32 v3, vcc, v3, v11, vcc
	s_cmp_eq_u32 s43, s46
	s_waitcnt vmcnt(0)
	ds_write_b64 v1, v[4:5] offset:576
	v_add_u32_e32 v1, 0x300, v1
	s_cbranch_scc1 .LBB158_20
.LBB158_4:                              ; =>This Inner Loop Header: Depth=1
	s_and_b64 vcc, exec, s[34:35]
	s_cbranch_vccz .LBB158_6
; %bb.5:                                ;   in Loop: Header=BB158_4 Depth=1
	global_load_dword v5, v[2:3], off offset:4
	s_cbranch_execz .LBB158_7
	s_branch .LBB158_8
.LBB158_6:                              ;   in Loop: Header=BB158_4 Depth=1
                                        ; implicit-def: $vgpr5
.LBB158_7:                              ;   in Loop: Header=BB158_4 Depth=1
	global_load_dword v4, v[2:3], off offset:4
	s_waitcnt vmcnt(0)
	v_xor_b32_e32 v5, 0x80000000, v4
.LBB158_8:                              ;   in Loop: Header=BB158_4 Depth=1
	global_load_dword v4, v[2:3], off
	v_add_co_u32_e64 v6, s[10:11], s40, v2
	s_and_b64 vcc, exec, s[6:7]
	v_addc_co_u32_e64 v7, s[10:11], v3, v8, s[10:11]
	s_waitcnt vmcnt(0)
	ds_write_b64 v1, v[4:5]
	s_cbranch_vccnz .LBB158_10
; %bb.9:                                ;   in Loop: Header=BB158_4 Depth=1
	global_load_dword v5, v[6:7], off offset:4
	s_cbranch_execz .LBB158_11
	s_branch .LBB158_12
.LBB158_10:                             ;   in Loop: Header=BB158_4 Depth=1
                                        ; implicit-def: $vgpr5
.LBB158_11:                             ;   in Loop: Header=BB158_4 Depth=1
	global_load_dword v4, v[6:7], off offset:4
	s_waitcnt vmcnt(0)
	v_xor_b32_e32 v5, 0x80000000, v4
.LBB158_12:                             ;   in Loop: Header=BB158_4 Depth=1
	global_load_dword v4, v[6:7], off
	v_add_co_u32_e64 v6, s[10:11], s38, v2
	s_and_b64 vcc, exec, s[6:7]
	v_addc_co_u32_e64 v7, s[10:11], v3, v9, s[10:11]
	s_waitcnt vmcnt(0)
	ds_write_b64 v1, v[4:5] offset:192
	s_cbranch_vccnz .LBB158_14
; %bb.13:                               ;   in Loop: Header=BB158_4 Depth=1
	global_load_dword v5, v[6:7], off offset:4
	s_cbranch_execz .LBB158_15
	s_branch .LBB158_16
.LBB158_14:                             ;   in Loop: Header=BB158_4 Depth=1
                                        ; implicit-def: $vgpr5
.LBB158_15:                             ;   in Loop: Header=BB158_4 Depth=1
	global_load_dword v4, v[6:7], off offset:4
	s_waitcnt vmcnt(0)
	v_xor_b32_e32 v5, 0x80000000, v4
.LBB158_16:                             ;   in Loop: Header=BB158_4 Depth=1
	global_load_dword v4, v[6:7], off
	v_add_co_u32_e64 v6, s[10:11], s45, v2
	s_and_b64 vcc, exec, s[6:7]
	v_addc_co_u32_e64 v7, s[10:11], v3, v10, s[10:11]
	s_waitcnt vmcnt(0)
	ds_write_b64 v1, v[4:5] offset:384
	s_cbranch_vccnz .LBB158_18
; %bb.17:                               ;   in Loop: Header=BB158_4 Depth=1
	global_load_dword v5, v[6:7], off offset:4
	s_cbranch_execnz .LBB158_3
	s_branch .LBB158_19
.LBB158_18:                             ;   in Loop: Header=BB158_4 Depth=1
                                        ; implicit-def: $vgpr5
.LBB158_19:                             ;   in Loop: Header=BB158_4 Depth=1
	global_load_dword v4, v[6:7], off offset:4
	s_waitcnt vmcnt(0)
	v_xor_b32_e32 v5, 0x80000000, v4
	s_branch .LBB158_3
.LBB158_20:
	s_and_b32 s34, s33, 3
	s_cmp_eq_u32 s34, 0
	s_cbranch_scc1 .LBB158_27
; %bb.21:
	s_mul_i32 s10, s43, 0xc0
	v_lshl_add_u32 v1, v0, 3, s10
	s_lshl_b64 s[10:11], s[16:17], 3
	s_mul_i32 s16, s29, s43
	s_mul_hi_u32 s17, s28, s43
	s_add_i32 s17, s17, s16
	s_mul_i32 s16, s28, s43
	s_lshl_b64 s[16:17], s[16:17], 3
	s_add_u32 s16, s10, s16
	s_addc_u32 s17, s11, s17
	s_lshl_b64 s[10:11], s[14:15], 3
	s_add_u32 s10, s16, s10
	s_addc_u32 s11, s17, s11
	s_add_u32 s10, s12, s10
	v_lshlrev_b32_e32 v2, 3, v0
	s_addc_u32 s11, s13, s11
	v_mov_b32_e32 v3, s11
	v_add_co_u32_e32 v2, vcc, s10, v2
	v_addc_co_u32_e32 v3, vcc, 0, v3, vcc
	v_add_co_u32_e32 v2, vcc, 4, v2
	s_lshl_b64 s[10:11], s[28:29], 3
	v_addc_co_u32_e32 v3, vcc, 0, v3, vcc
	v_mov_b32_e32 v6, s11
	s_branch .LBB158_23
.LBB158_22:                             ;   in Loop: Header=BB158_23 Depth=1
	global_load_dword v4, v[2:3], off offset:-4
	s_add_i32 s34, s34, -1
	v_add_co_u32_e32 v2, vcc, s10, v2
	s_cmp_lg_u32 s34, 0
	v_addc_co_u32_e32 v3, vcc, v3, v6, vcc
	s_waitcnt vmcnt(0)
	ds_write_b64 v1, v[4:5]
	v_add_u32_e32 v1, 0xc0, v1
	s_cbranch_scc0 .LBB158_27
.LBB158_23:                             ; =>This Inner Loop Header: Depth=1
	s_and_b64 vcc, exec, s[6:7]
	s_cbranch_vccnz .LBB158_25
; %bb.24:                               ;   in Loop: Header=BB158_23 Depth=1
	global_load_dword v5, v[2:3], off
	s_cbranch_execnz .LBB158_22
	s_branch .LBB158_26
.LBB158_25:                             ;   in Loop: Header=BB158_23 Depth=1
                                        ; implicit-def: $vgpr5
.LBB158_26:                             ;   in Loop: Header=BB158_23 Depth=1
	global_load_dword v4, v[2:3], off
	s_waitcnt vmcnt(0)
	v_xor_b32_e32 v5, 0x80000000, v4
	s_branch .LBB158_22
.LBB158_27:
	v_mul_u32_u24_e32 v1, 25, v0
	s_cmpk_lg_i32 s21, 0x84
	v_lshlrev_b32_e32 v1, 3, v1
	s_mov_b64 s[6:7], -1
	s_cbranch_scc0 .LBB158_33
; %bb.28:
	ds_read_b64 v[2:3], v1
	s_mov_b32 s6, 0
	s_waitcnt lgkmcnt(0)
	v_cmp_gt_f32_e32 vcc, 0, v3
	v_cndmask_b32_e64 v4, v3, -v3, vcc
	v_cmp_gt_f32_e32 vcc, 0, v2
	v_cndmask_b32_e64 v5, v2, -v2, vcc
	v_cmp_ngt_f32_e32 vcc, v5, v4
                                        ; implicit-def: $vgpr4_vgpr5
	s_and_saveexec_b64 s[10:11], vcc
	s_xor_b64 s[10:11], exec, s[10:11]
	s_cbranch_execz .LBB158_30
; %bb.29:
	v_div_scale_f32 v4, s[12:13], v3, v3, v2
	v_rcp_f32_e32 v5, v4
	v_div_scale_f32 v6, vcc, v2, v3, v2
	s_mov_b32 s7, -1.0
	v_fma_f32 v7, -v4, v5, 1.0
	v_fmac_f32_e32 v5, v7, v5
	v_mul_f32_e32 v7, v6, v5
	v_fma_f32 v8, -v4, v7, v6
	v_fmac_f32_e32 v7, v8, v5
	v_fma_f32 v4, -v4, v7, v6
	v_div_fmas_f32 v4, v4, v5, v7
	v_div_fixup_f32 v4, v4, v3, v2
	v_fmac_f32_e32 v3, v2, v4
	v_div_scale_f32 v2, s[12:13], v3, v3, 1.0
	v_rcp_f32_e32 v5, v2
	v_fma_f32 v6, -v2, v5, 1.0
	v_fmac_f32_e32 v5, v6, v5
	v_div_scale_f32 v6, vcc, 1.0, v3, 1.0
	v_mul_f32_e32 v7, v6, v5
	v_fma_f32 v8, -v2, v7, v6
	v_fmac_f32_e32 v7, v8, v5
	v_fma_f32 v2, -v2, v7, v6
	v_div_fmas_f32 v2, v2, v5, v7
	v_mul_f32_e32 v5, 0, v4
	v_div_fixup_f32 v2, v2, v3, 1.0
	v_pk_add_f32 v[4:5], v[4:5], s[6:7]
	v_pk_mul_f32 v[4:5], v[4:5], v[2:3] op_sel_hi:[1,0]
                                        ; implicit-def: $vgpr2_vgpr3
.LBB158_30:
	s_andn2_saveexec_b64 s[6:7], s[10:11]
	s_cbranch_execz .LBB158_32
; %bb.31:
	v_div_scale_f32 v4, s[10:11], v2, v2, v3
	v_rcp_f32_e32 v5, v4
	v_div_scale_f32 v6, vcc, v3, v2, v3
	v_fma_f32 v7, -v4, v5, 1.0
	v_fmac_f32_e32 v5, v7, v5
	v_mul_f32_e32 v7, v6, v5
	v_fma_f32 v8, -v4, v7, v6
	v_fmac_f32_e32 v7, v8, v5
	v_fma_f32 v4, -v4, v7, v6
	v_div_fmas_f32 v4, v4, v5, v7
	v_div_fixup_f32 v5, v4, v2, v3
	v_fmac_f32_e32 v2, v3, v5
	v_div_scale_f32 v3, s[10:11], v2, v2, 1.0
	v_rcp_f32_e32 v4, v3
	s_mov_b32 s10, 1.0
	s_mov_b32 s11, 0
	v_fma_f32 v6, -v3, v4, 1.0
	v_fmac_f32_e32 v4, v6, v4
	v_div_scale_f32 v6, vcc, 1.0, v2, 1.0
	v_mul_f32_e32 v7, v6, v4
	v_fma_f32 v8, -v3, v7, v6
	v_fmac_f32_e32 v7, v8, v4
	v_fma_f32 v3, -v3, v7, v6
	v_div_fmas_f32 v3, v3, v4, v7
	v_mul_f32_e32 v4, 0, v5
	v_pk_add_f32 v[6:7], v[4:5], s[10:11]
	v_pk_add_f32 v[4:5], v[4:5], s[10:11] neg_lo:[1,0] neg_hi:[1,0]
	v_div_fixup_f32 v2, v3, v2, 1.0
	v_mov_b32_e32 v7, v5
	v_pk_mul_f32 v[4:5], v[6:7], v[2:3] op_sel_hi:[1,0]
.LBB158_32:
	s_or_b64 exec, exec, s[6:7]
	s_mov_b64 s[6:7], 0
	ds_write_b64 v1, v[4:5]
.LBB158_33:
	s_and_b64 vcc, exec, s[6:7]
	s_cbranch_vccz .LBB158_35
; %bb.34:
	v_mov_b32_e32 v2, 1.0
	v_mov_b32_e32 v3, 0
	ds_write_b64 v1, v[2:3]
.LBB158_35:
	s_or_b64 exec, exec, s[26:27]
	s_load_dword s21, s[4:5], 0x50
	s_load_dwordx2 s[6:7], s[4:5], 0x58
	s_mul_i32 s26, s8, 24
	s_waitcnt lgkmcnt(0)
	s_ashr_i32 s45, s21, 31
	s_mul_i32 s5, s9, s7
	s_mul_hi_u32 s7, s9, s6
	s_mul_i32 s4, s9, s6
	s_add_i32 s5, s7, s5
	s_lshl_b64 s[16:17], s[4:5], 3
	s_add_u32 s4, s18, s16
	s_addc_u32 s5, s19, s17
	s_lshl_b64 s[24:25], s[24:25], 3
	s_add_u32 s6, s4, s24
	s_mul_i32 s4, s8, 0xffffffe8
	s_addc_u32 s7, s5, s25
	s_add_i32 s42, s42, -1
	s_add_i32 s4, s4, s23
	s_cmp_ge_u32 s8, s42
	s_cselect_b32 s9, s4, 24
	s_mul_hi_i32 s5, s21, s26
	s_mul_i32 s4, s21, s26
	s_ashr_i32 s27, s26, 31
	s_lshl_b64 s[4:5], s[4:5], 3
	s_add_u32 s23, s6, s4
	s_addc_u32 s46, s7, s5
	s_cmp_gt_i32 s22, 0
	v_cmp_gt_i32_e32 vcc, s9, v0
	s_cselect_b64 s[4:5], -1, 0
	s_mov_b32 s6, 0
	s_and_b64 s[28:29], vcc, s[4:5]
	s_and_saveexec_b64 s[34:35], s[28:29]
	s_cbranch_execz .LBB158_48
; %bb.36:
	s_cmp_lt_i32 s22, 2
	s_mov_b64 s[4:5], -1
	s_cbranch_scc1 .LBB158_45
; %bb.37:
	v_mad_i64_i32 v[2:3], s[4:5], s21, v0, 0
	s_add_i32 s5, s33, -2
	v_lshlrev_b64 v[2:3], 3, v[2:3]
	s_lshr_b32 s47, s5, 1
	v_mov_b32_e32 v4, s46
	v_add_co_u32_e32 v1, vcc, s23, v2
	s_mov_b32 s40, 1
	s_add_i32 s47, s47, 1
	s_mov_b32 s43, 0
	v_addc_co_u32_e32 v2, vcc, v4, v3, vcc
	s_mov_b32 s36, s30
	s_mov_b32 s37, s30
	;; [unrolled: 1-line block ×5, first 2 shown]
	s_cmp_lt_u32 s5, 6
	s_mov_b32 s5, s40
	s_cbranch_scc1 .LBB158_41
; %bb.38:
	s_and_b32 s48, s47, -4
	s_mov_b32 s42, s43
.LBB158_39:                             ; =>This Inner Loop Header: Depth=1
	s_lshl_b64 s[4:5], s[42:43], 3
	s_mov_b32 s41, s43
	s_add_i32 s6, s40, 2
	s_add_i32 s8, s42, 2
	s_mov_b32 s9, s43
	s_mov_b32 s7, s43
	s_add_i32 s10, s40, 4
	s_add_i32 s12, s42, 4
	s_mov_b32 s13, s43
	;; [unrolled: 4-line block ×3, first 2 shown]
	s_mov_b32 s15, s43
	v_mov_b32_e32 v3, s5
	v_add_co_u32_e32 v4, vcc, s4, v1
	s_lshl_b64 s[52:53], s[40:41], 3
	s_lshl_b64 s[8:9], s[8:9], 3
	;; [unrolled: 1-line block ×7, first 2 shown]
	v_addc_co_u32_e32 v5, vcc, v2, v3, vcc
	v_mov_b32_e32 v3, s53
	v_mov_b32_e32 v7, s9
	v_add_co_u32_e32 v6, vcc, s8, v1
	v_mov_b32_e32 v9, s7
	v_add_co_u32_e64 v8, s[4:5], s6, v1
	v_mov_b32_e32 v11, s13
	v_add_co_u32_e64 v10, s[6:7], s12, v1
	;; [unrolled: 2-line block ×5, first 2 shown]
	v_add_co_u32_e64 v18, s[14:15], s52, v1
	v_addc_co_u32_e64 v19, s[14:15], v2, v3, s[14:15]
	v_addc_co_u32_e32 v7, vcc, v2, v7, vcc
	v_addc_co_u32_e64 v9, vcc, v2, v9, s[4:5]
	v_addc_co_u32_e64 v11, vcc, v2, v11, s[6:7]
	;; [unrolled: 1-line block ×5, first 2 shown]
	global_load_dwordx2 v[20:21], v[4:5], off
	global_load_dwordx2 v[22:23], v[18:19], off
	;; [unrolled: 1-line block ×8, first 2 shown]
	s_mul_i32 s4, s40, 24
	s_mul_i32 s5, s42, 24
	s_add_i32 s42, s42, 8
	s_add_i32 s48, s48, -4
	v_add_lshl_u32 v3, s5, v0, 3
	v_add_lshl_u32 v36, s4, v0, 3
	s_add_i32 s6, s4, 48
	s_add_i32 s7, s5, 48
	;; [unrolled: 1-line block ×4, first 2 shown]
	s_addk_i32 s4, 0x90
	s_addk_i32 s5, 0x90
	s_add_i32 s40, s40, 8
	s_cmp_lg_u32 s48, 0
	v_add_lshl_u32 v37, s7, v0, 3
	v_add_lshl_u32 v38, s6, v0, 3
	;; [unrolled: 1-line block ×6, first 2 shown]
	s_waitcnt vmcnt(7)
	v_mov_b32_e32 v4, v20
	s_waitcnt vmcnt(6)
	v_mov_b32_e32 v5, v22
	v_mov_b32_e32 v22, v21
	s_waitcnt vmcnt(4)
	v_mov_b32_e32 v7, v26
	;; [unrolled: 3-line block ×4, first 2 shown]
	v_mov_b32_e32 v34, v33
	v_pk_mul_f32 v[12:13], s[38:39], v[22:23]
	v_pk_mul_f32 v[14:15], s[36:37], v[22:23]
	v_mov_b32_e32 v6, v24
	v_mov_b32_e32 v8, v28
	;; [unrolled: 1-line block ×3, first 2 shown]
	v_pk_mul_f32 v[16:17], s[38:39], v[26:27]
	v_pk_mul_f32 v[18:19], s[36:37], v[26:27]
	;; [unrolled: 1-line block ×6, first 2 shown]
	v_pk_fma_f32 v[12:13], s[36:37], v[4:5], v[12:13] neg_lo:[0,0,1] neg_hi:[0,0,1]
	v_pk_fma_f32 v[4:5], s[38:39], v[4:5], v[14:15]
	v_pk_fma_f32 v[14:15], s[36:37], v[6:7], v[16:17] neg_lo:[0,0,1] neg_hi:[0,0,1]
	v_pk_fma_f32 v[6:7], s[38:39], v[6:7], v[18:19]
	;; [unrolled: 2-line block ×4, first 2 shown]
	v_mov_b32_e32 v20, v12
	v_mov_b32_e32 v21, v4
	;; [unrolled: 1-line block ×12, first 2 shown]
	ds_write_b64 v3, v[20:21] offset:4608
	ds_write_b64 v36, v[4:5] offset:4608
	;; [unrolled: 1-line block ×8, first 2 shown]
	s_cbranch_scc1 .LBB158_39
; %bb.40:
	s_mov_b32 s43, s40
	s_mov_b64 s[4:5], s[42:43]
.LBB158_41:
	s_and_b32 s6, s47, 3
	s_cmp_eq_u32 s6, 0
	s_mov_b32 s7, 0
	s_cbranch_scc1 .LBB158_44
; %bb.42:
	s_sub_i32 s6, 0, s6
	v_mov_b32_e32 v3, s6
.LBB158_43:                             ; =>This Inner Loop Header: Depth=1
	s_mov_b32 s6, s4
	s_lshl_b64 s[8:9], s[6:7], 3
	s_mov_b32 s6, s5
	v_mov_b32_e32 v5, s9
	v_add_co_u32_e32 v4, vcc, s8, v1
	s_lshl_b64 s[10:11], s[6:7], 3
	v_addc_co_u32_e32 v5, vcc, v2, v5, vcc
	v_mov_b32_e32 v7, s11
	v_add_co_u32_e32 v6, vcc, s10, v1
	v_addc_co_u32_e32 v7, vcc, v2, v7, vcc
	global_load_dwordx2 v[8:9], v[4:5], off
	global_load_dwordx2 v[10:11], v[6:7], off
	s_mul_i32 s8, s4, 24
	v_add_co_u32_e32 v3, vcc, 1, v3
	s_mul_i32 s6, s5, 24
	s_add_i32 s4, s4, 2
	v_add_lshl_u32 v12, s8, v0, 3
	s_add_i32 s5, s5, 2
	s_andn2_b64 vcc, exec, vcc
	v_add_lshl_u32 v13, s6, v0, 3
	s_waitcnt vmcnt(1)
	v_mov_b32_e32 v4, v8
	s_waitcnt vmcnt(0)
	v_mov_b32_e32 v5, v10
	v_mov_b32_e32 v10, v9
	v_pk_mul_f32 v[6:7], s[38:39], v[10:11]
	v_pk_mul_f32 v[8:9], s[36:37], v[10:11]
	v_pk_fma_f32 v[6:7], s[36:37], v[4:5], v[6:7] neg_lo:[0,0,1] neg_hi:[0,0,1]
	v_pk_fma_f32 v[4:5], s[38:39], v[4:5], v[8:9]
	v_mov_b32_e32 v8, v6
	v_mov_b32_e32 v9, v4
	;; [unrolled: 1-line block ×3, first 2 shown]
	ds_write_b64 v12, v[8:9] offset:4608
	ds_write_b64 v13, v[4:5] offset:4608
	s_cbranch_vccnz .LBB158_43
.LBB158_44:
	s_and_b32 s6, s33, 30
	s_cmp_lg_u32 s33, s6
	s_cselect_b64 s[4:5], -1, 0
.LBB158_45:
	s_and_b64 vcc, exec, s[4:5]
	s_cbranch_vccz .LBB158_48
; %bb.46:
	s_mul_i32 s5, s6, 0xc0
	s_sub_i32 s4, s33, s6
	v_lshl_add_u32 v1, v0, 3, s5
	s_lshl_b64 s[8:9], s[26:27], 3
	s_lshl_b32 s5, s6, 3
	s_add_u32 s5, s18, s5
	s_addc_u32 s6, s19, 0
	s_add_u32 s5, s5, s24
	s_addc_u32 s7, s6, s25
	v_lshlrev_b32_e32 v2, 3, v0
	s_add_u32 s6, s5, s16
	v_mov_b32_e32 v3, s9
	v_add_co_u32_e32 v4, vcc, s8, v2
	s_addc_u32 s7, s7, s17
	v_addc_co_u32_e32 v5, vcc, 0, v3, vcc
	v_pk_mov_b32 v[2:3], s[6:7], s[6:7] op_sel:[0,1]
	v_mad_u64_u32 v[2:3], s[6:7], v4, s21, v[2:3]
	v_mul_lo_u32 v4, v4, s45
	v_mul_lo_u32 v5, v5, s21
	v_add3_u32 v3, v5, v3, v4
	v_add_co_u32_e32 v2, vcc, 4, v2
	v_add_u32_e32 v1, 0x1200, v1
	v_addc_co_u32_e32 v3, vcc, 0, v3, vcc
.LBB158_47:                             ; =>This Inner Loop Header: Depth=1
	global_load_dwordx2 v[4:5], v[2:3], off offset:-4
	s_add_i32 s4, s4, -1
	v_add_co_u32_e32 v2, vcc, 8, v2
	v_addc_co_u32_e32 v3, vcc, 0, v3, vcc
	s_cmp_lg_u32 s4, 0
	s_waitcnt vmcnt(0)
	v_mul_f32_e32 v6, s31, v5
	v_mul_f32_e32 v7, s30, v5
	v_fma_f32 v6, s30, v4, -v6
	v_fmac_f32_e32 v7, s31, v4
	ds_write_b64 v1, v[6:7]
	v_add_u32_e32 v1, 0xc0, v1
	s_cbranch_scc1 .LBB158_47
.LBB158_48:
	s_or_b64 exec, exec, s[34:35]
	s_cmpk_eq_i32 s20, 0x6f
	s_mov_b64 s[4:5], -1
	s_waitcnt lgkmcnt(0)
	; wave barrier
	s_waitcnt lgkmcnt(0)
	s_cbranch_scc1 .LBB158_77
; %bb.49:
	v_mov_b32_e32 v1, 0x1200
	s_mov_b32 s5, 0
	v_lshl_or_b32 v1, v0, 3, v1
	v_mov_b32_e32 v10, 0
	s_mov_b32 s4, s5
	s_mov_b32 s14, s5
	s_branch .LBB158_51
.LBB158_50:                             ;   in Loop: Header=BB158_51 Depth=1
	s_cmp_ge_i32 s14, s33
	s_cselect_b64 s[6:7], -1, 0
	s_add_i32 s4, s4, 1
	s_cmp_eq_u32 s4, 3
	s_cselect_b64 s[8:9], -1, 0
	s_or_b64 s[6:7], s[6:7], s[8:9]
	s_andn2_b64 vcc, exec, s[6:7]
	s_cbranch_vccz .LBB158_76
.LBB158_51:                             ; =>This Loop Header: Depth=1
                                        ;     Child Loop BB158_54 Depth 2
                                        ;       Child Loop BB158_55 Depth 3
                                        ;       Child Loop BB158_59 Depth 3
                                        ;         Child Loop BB158_61 Depth 4
                                        ;         Child Loop BB158_67 Depth 4
                                        ;       Child Loop BB158_70 Depth 3
                                        ;         Child Loop BB158_72 Depth 4
	s_lshl_b64 s[6:7], s[4:5], 2
	s_getpc_b64 s[8:9]
	s_add_u32 s8, s8, __const._ZL38rocblas_trsm_small_left_device_sharedBILi24ELi24ELb0E19rocblas_complex_numIfES1_PKS1_PS1_Ev13rocblas_fill_18rocblas_operation_17rocblas_diagonal_iiT3_T4_lilT5_lili.step_sizes@rel32@lo+4
	s_addc_u32 s9, s9, __const._ZL38rocblas_trsm_small_left_device_sharedBILi24ELi24ELb0E19rocblas_complex_numIfES1_PKS1_PS1_Ev13rocblas_fill_18rocblas_operation_17rocblas_diagonal_iiT3_T4_lilT5_lili.step_sizes@rel32@hi+12
	s_add_u32 s6, s6, s8
	s_addc_u32 s7, s7, s9
	s_load_dword s15, s[6:7], 0x0
	s_waitcnt lgkmcnt(0)
	s_add_i32 s20, s15, -1
	s_add_i32 s6, s20, s14
	s_cmp_ge_i32 s6, s33
	s_cbranch_scc1 .LBB158_50
; %bb.52:                               ;   in Loop: Header=BB158_51 Depth=1
	s_max_i32 s30, s15, 1
	s_cmp_lg_u32 s4, 2
	s_cselect_b64 s[6:7], -1, 0
	s_and_b32 s31, s30, 0x7ffffffe
	s_cmp_lg_u32 s30, s31
	s_mul_i32 s10, s14, 0xc0
	s_cselect_b64 s[8:9], -1, 0
	v_add_u32_e32 v11, s10, v1
	s_mul_i32 s34, s15, 0xc0
	s_mul_i32 s35, s14, 0xc8
	;; [unrolled: 1-line block ×3, first 2 shown]
	s_branch .LBB158_54
.LBB158_53:                             ;   in Loop: Header=BB158_54 Depth=2
	s_add_i32 s14, s14, s15
	s_add_i32 s10, s20, s14
	;; [unrolled: 1-line block ×3, first 2 shown]
	s_cmp_ge_i32 s10, s33
	v_add_u32_e32 v11, s34, v11
	s_cbranch_scc1 .LBB158_50
.LBB158_54:                             ;   Parent Loop BB158_51 Depth=1
                                        ; =>  This Loop Header: Depth=2
                                        ;       Child Loop BB158_55 Depth 3
                                        ;       Child Loop BB158_59 Depth 3
                                        ;         Child Loop BB158_61 Depth 4
                                        ;         Child Loop BB158_67 Depth 4
                                        ;       Child Loop BB158_70 Depth 3
                                        ;         Child Loop BB158_72 Depth 4
	v_mov_b32_e32 v2, 0
	v_mov_b32_e32 v3, v11
	s_mov_b32 s10, s30
.LBB158_55:                             ;   Parent Loop BB158_51 Depth=1
                                        ;     Parent Loop BB158_54 Depth=2
                                        ; =>    This Inner Loop Header: Depth=3
	ds_read_b64 v[4:5], v3
	s_add_i32 s10, s10, -1
	v_add_u32_e32 v3, 0xc0, v3
	s_cmp_eq_u32 s10, 0
	s_waitcnt lgkmcnt(0)
	buffer_store_dword v5, v2, s[0:3], 0 offen offset:4
	buffer_store_dword v4, v2, s[0:3], 0 offen
	v_add_u32_e32 v2, 8, v2
	s_cbranch_scc0 .LBB158_55
; %bb.56:                               ;   in Loop: Header=BB158_54 Depth=2
	s_cmp_lt_i32 s14, 1
	s_cbranch_scc1 .LBB158_68
; %bb.57:                               ;   in Loop: Header=BB158_54 Depth=2
	s_mov_b32 s37, s14
	s_mov_b32 s38, 0
	;; [unrolled: 1-line block ×3, first 2 shown]
	s_branch .LBB158_59
.LBB158_58:                             ;   in Loop: Header=BB158_59 Depth=3
	s_add_i32 s39, s39, 1
	s_add_i32 s38, s38, 8
	s_cmp_ge_i32 s39, s14
	s_cbranch_scc1 .LBB158_68
.LBB158_59:                             ;   Parent Loop BB158_51 Depth=1
                                        ;     Parent Loop BB158_54 Depth=2
                                        ; =>    This Loop Header: Depth=3
                                        ;         Child Loop BB158_61 Depth 4
                                        ;         Child Loop BB158_67 Depth 4
	s_mul_i32 s10, s39, 24
	s_waitcnt lgkmcnt(0)
	v_add_lshl_u32 v2, s10, v0, 3
	ds_read_b64 v[2:3], v2 offset:4608
	s_and_b64 vcc, exec, s[6:7]
	s_cbranch_vccz .LBB158_63
; %bb.60:                               ;   in Loop: Header=BB158_59 Depth=3
	s_mov_b32 s10, s39
	s_waitcnt lgkmcnt(0)
	v_mov_b32_e32 v6, v2
	v_mov_b32_e32 v7, v2
	;; [unrolled: 1-line block ×6, first 2 shown]
	s_mov_b32 s11, 1
	s_mov_b32 s12, 0
	;; [unrolled: 1-line block ×3, first 2 shown]
.LBB158_61:                             ;   Parent Loop BB158_51 Depth=1
                                        ;     Parent Loop BB158_54 Depth=2
                                        ;       Parent Loop BB158_59 Depth=3
                                        ; =>      This Inner Loop Header: Depth=4
	buffer_load_dword v12, v5, s[0:3], 0 offen
	buffer_load_dword v14, v5, s[0:3], 0 offen offset:4
	buffer_load_dword v13, v5, s[0:3], 0 offen offset:8
	;; [unrolled: 1-line block ×3, first 2 shown]
	s_add_i32 s40, s11, s37
	s_add_i32 s41, s12, s14
	s_mul_i32 s41, s41, 24
	s_mul_i32 s40, s40, 24
	s_add_i32 s40, s40, s10
	s_add_i32 s41, s41, s39
	s_lshl_b32 s41, s41, 3
	s_lshl_b32 s40, s40, 3
	v_mov_b32_e32 v16, s41
	v_mov_b32_e32 v18, s40
	ds_read_b64 v[16:17], v16
	ds_read_b64 v[18:19], v18
	s_add_i32 s12, s12, 2
	s_add_i32 s11, s11, 2
	s_add_i32 s13, s13, -2
	s_waitcnt lgkmcnt(1)
	v_mov_b32_e32 v20, v16
	s_waitcnt lgkmcnt(0)
	v_mov_b32_e32 v21, v18
	v_mov_b32_e32 v18, v17
	v_pk_mul_f32 v[16:17], v[18:19], v[8:9]
	v_pk_mul_f32 v[18:19], v[18:19], v[6:7]
	v_pk_fma_f32 v[16:17], v[20:21], v[6:7], v[16:17] neg_lo:[0,0,1] neg_hi:[0,0,1]
	v_pk_fma_f32 v[18:19], v[20:21], v[8:9], v[18:19]
	s_cmp_lg_u32 s13, 0
	s_waitcnt vmcnt(1)
	v_pk_add_f32 v[12:13], v[12:13], v[16:17] neg_lo:[0,1] neg_hi:[0,1]
	s_waitcnt vmcnt(0)
	v_pk_add_f32 v[14:15], v[14:15], v[18:19] neg_lo:[0,1] neg_hi:[0,1]
	buffer_store_dword v12, v5, s[0:3], 0 offen
	buffer_store_dword v14, v5, s[0:3], 0 offen offset:4
	buffer_store_dword v13, v5, s[0:3], 0 offen offset:8
	;; [unrolled: 1-line block ×3, first 2 shown]
	v_add_u32_e32 v5, 16, v5
	s_cbranch_scc1 .LBB158_61
; %bb.62:                               ;   in Loop: Header=BB158_59 Depth=3
	s_mov_b64 s[10:11], s[8:9]
	s_mov_b32 s12, s31
	s_branch .LBB158_65
.LBB158_63:                             ;   in Loop: Header=BB158_59 Depth=3
	s_mov_b64 s[10:11], 0
                                        ; implicit-def: $vgpr4_vgpr5
	s_mov_b32 s12, s31
	s_cbranch_execz .LBB158_65
; %bb.64:                               ;   in Loop: Header=BB158_59 Depth=3
	s_waitcnt lgkmcnt(0)
	v_mov_b32_e32 v4, v3
	s_mov_b64 s[10:11], -1
	s_mov_b32 s12, 0
.LBB158_65:                             ;   in Loop: Header=BB158_59 Depth=3
	s_andn2_b64 vcc, exec, s[10:11]
	s_cbranch_vccnz .LBB158_58
; %bb.66:                               ;   in Loop: Header=BB158_59 Depth=3
	s_add_i32 s11, s14, s12
	s_sub_i32 s10, s30, s12
	s_mulk_i32 s11, 0xc0
	s_lshl_b32 s12, s12, 3
	s_waitcnt lgkmcnt(0)
	v_mov_b32_e32 v5, v3
	v_mov_b32_e32 v3, v2
	s_add_i32 s11, s38, s11
	v_add_u32_e32 v6, s12, v10
.LBB158_67:                             ;   Parent Loop BB158_51 Depth=1
                                        ;     Parent Loop BB158_54 Depth=2
                                        ;       Parent Loop BB158_59 Depth=3
                                        ; =>      This Inner Loop Header: Depth=4
	buffer_load_dword v8, v6, s[0:3], 0 offen
	buffer_load_dword v9, v6, s[0:3], 0 offen offset:4
	v_mov_b32_e32 v7, s11
	ds_read_b64 v[12:13], v7
	s_add_i32 s10, s10, -1
	s_addk_i32 s11, 0xc0
	s_cmp_eq_u32 s10, 0
	s_waitcnt lgkmcnt(0)
	v_pk_mul_f32 v[14:15], v[12:13], v[4:5]
	v_pk_fma_f32 v[16:17], v[12:13], v[2:3], v[14:15] op_sel:[0,0,1] op_sel_hi:[1,1,0] neg_lo:[0,0,1] neg_hi:[0,0,1]
	v_pk_fma_f32 v[12:13], v[12:13], v[2:3], v[14:15] op_sel:[0,0,1] op_sel_hi:[1,1,0]
	v_mov_b32_e32 v17, v13
	s_waitcnt vmcnt(0)
	v_pk_add_f32 v[8:9], v[8:9], v[16:17] neg_lo:[0,1] neg_hi:[0,1]
	buffer_store_dword v8, v6, s[0:3], 0 offen
	buffer_store_dword v9, v6, s[0:3], 0 offen offset:4
	v_add_u32_e32 v6, 8, v6
	s_cbranch_scc0 .LBB158_67
	s_branch .LBB158_58
.LBB158_68:                             ;   in Loop: Header=BB158_54 Depth=2
	s_mul_i32 s12, s14, 24
	s_mov_b32 s13, 0
	s_mov_b32 s37, s35
	s_branch .LBB158_70
.LBB158_69:                             ;   in Loop: Header=BB158_70 Depth=3
	s_mul_i32 s10, s39, 0xc8
	v_mov_b32_e32 v4, s10
	ds_read_b64 v[4:5], v4
	s_lshl_b32 s10, s13, 3
	s_add_i32 s13, s13, 1
	s_addk_i32 s37, 0xc0
	v_add_u32_e32 v8, s10, v10
	s_waitcnt vmcnt(0) lgkmcnt(0)
	v_mul_f32_e32 v6, v5, v3
	v_mul_f32_e32 v7, v4, v3
	v_fma_f32 v6, v4, v2, -v6
	v_fmac_f32_e32 v7, v5, v2
	v_add_lshl_u32 v2, s38, v0, 3
	s_cmp_eq_u32 s13, s30
	buffer_store_dword v6, v8, s[0:3], 0 offen
	buffer_store_dword v7, v8, s[0:3], 0 offen offset:4
	ds_write_b64 v2, v[6:7] offset:4608
	s_cbranch_scc1 .LBB158_53
.LBB158_70:                             ;   Parent Loop BB158_51 Depth=1
                                        ;     Parent Loop BB158_54 Depth=2
                                        ; =>    This Loop Header: Depth=3
                                        ;         Child Loop BB158_72 Depth 4
	s_cmp_lg_u32 s13, 0
	s_cbranch_scc0 .LBB158_74
; %bb.71:                               ;   in Loop: Header=BB158_70 Depth=3
	s_lshl_b32 s10, s13, 3
	v_add_u32_e32 v4, s10, v10
	s_waitcnt lgkmcnt(0)
	buffer_load_dword v2, v4, s[0:3], 0 offen
	buffer_load_dword v3, v4, s[0:3], 0 offen offset:4
	v_mov_b32_e32 v5, 0
	s_mov_b32 s10, 0
	s_mov_b32 s11, s37
.LBB158_72:                             ;   Parent Loop BB158_51 Depth=1
                                        ;     Parent Loop BB158_54 Depth=2
                                        ;       Parent Loop BB158_70 Depth=3
                                        ; =>      This Inner Loop Header: Depth=4
	buffer_load_dword v7, v5, s[0:3], 0 offen offset:4
	buffer_load_dword v6, v5, s[0:3], 0 offen
	v_mov_b32_e32 v8, s11
	ds_read_b64 v[8:9], v8
	s_add_i32 s10, s10, 1
	s_add_i32 s11, s11, 8
	v_add_u32_e32 v5, 8, v5
	s_cmp_ge_u32 s10, s13
	s_waitcnt vmcnt(1)
	v_mov_b32_e32 v12, v7
	s_waitcnt lgkmcnt(0)
	v_pk_mul_f32 v[12:13], v[8:9], v[12:13] op_sel_hi:[1,0]
	s_waitcnt vmcnt(0)
	v_pk_fma_f32 v[14:15], v[8:9], v[6:7], v[12:13] op_sel:[0,0,1] op_sel_hi:[1,1,0] neg_lo:[0,0,1] neg_hi:[0,0,1]
	v_pk_fma_f32 v[6:7], v[8:9], v[6:7], v[12:13] op_sel:[0,0,1] op_sel_hi:[1,0,0]
	v_mov_b32_e32 v15, v7
	v_pk_add_f32 v[2:3], v[2:3], v[14:15] neg_lo:[0,1] neg_hi:[0,1]
	buffer_store_dword v2, v4, s[0:3], 0 offen
	buffer_store_dword v3, v4, s[0:3], 0 offen offset:4
	s_cbranch_scc0 .LBB158_72
; %bb.73:                               ;   in Loop: Header=BB158_70 Depth=3
	s_add_i32 s39, s13, s14
	s_mul_i32 s38, s39, 24
	s_branch .LBB158_69
.LBB158_74:                             ;   in Loop: Header=BB158_70 Depth=3
                                        ; implicit-def: $vgpr2
                                        ; implicit-def: $sgpr39
                                        ; implicit-def: $sgpr38
	s_cbranch_execz .LBB158_69
; %bb.75:                               ;   in Loop: Header=BB158_70 Depth=3
	s_waitcnt lgkmcnt(0)
	buffer_load_dword v2, off, s[0:3], 0
	buffer_load_dword v3, off, s[0:3], 0 offset:4
	s_mov_b32 s38, s12
	s_mov_b32 s39, s14
	s_branch .LBB158_69
.LBB158_76:
	s_mov_b64 s[4:5], 0
.LBB158_77:
	s_and_b64 vcc, exec, s[4:5]
	s_cbranch_vccz .LBB158_104
; %bb.78:
	v_mov_b32_e32 v1, 0x1200
	s_mul_i32 s14, s33, 0xc0
	s_mov_b32 s5, 0
	v_lshl_or_b32 v1, v0, 3, v1
	s_addk_i32 s14, 0xff40
	v_mov_b32_e32 v10, 0
	s_mov_b32 s4, s5
	s_mov_b32 s15, s44
	s_branch .LBB158_80
.LBB158_79:                             ;   in Loop: Header=BB158_80 Depth=1
	s_cmp_lt_i32 s15, 0
	s_cselect_b64 s[6:7], -1, 0
	s_add_i32 s4, s4, 1
	s_cmp_eq_u32 s4, 3
	s_cselect_b64 s[8:9], -1, 0
	s_or_b64 s[6:7], s[6:7], s[8:9]
	s_and_b64 vcc, exec, s[6:7]
	s_cbranch_vccnz .LBB158_104
.LBB158_80:                             ; =>This Loop Header: Depth=1
                                        ;     Child Loop BB158_83 Depth 2
                                        ;       Child Loop BB158_84 Depth 3
                                        ;       Child Loop BB158_95 Depth 3
                                        ;         Child Loop BB158_97 Depth 4
                                        ;         Child Loop BB158_103 Depth 4
                                        ;       Child Loop BB158_88 Depth 3
                                        ;         Child Loop BB158_90 Depth 4
	s_lshl_b64 s[6:7], s[4:5], 2
	s_getpc_b64 s[8:9]
	s_add_u32 s8, s8, __const._ZL38rocblas_trsm_small_left_device_sharedBILi24ELi24ELb0E19rocblas_complex_numIfES1_PKS1_PS1_Ev13rocblas_fill_18rocblas_operation_17rocblas_diagonal_iiT3_T4_lilT5_lili.step_sizes@rel32@lo+4
	s_addc_u32 s9, s9, __const._ZL38rocblas_trsm_small_left_device_sharedBILi24ELi24ELb0E19rocblas_complex_numIfES1_PKS1_PS1_Ev13rocblas_fill_18rocblas_operation_17rocblas_diagonal_iiT3_T4_lilT5_lili.step_sizes@rel32@hi+12
	s_add_u32 s6, s6, s8
	s_addc_u32 s7, s7, s9
	s_load_dword s20, s[6:7], 0x0
	s_waitcnt lgkmcnt(0)
	s_add_i32 s30, s20, -1
	s_cmp_lt_i32 s15, s30
	s_cbranch_scc1 .LBB158_79
; %bb.81:                               ;   in Loop: Header=BB158_80 Depth=1
	s_max_i32 s31, s20, 1
	s_cmp_lg_u32 s4, 2
	s_cselect_b64 s[6:7], -1, 0
	s_and_b32 s34, s31, 0x7ffffffe
	s_cmp_lg_u32 s31, s34
	s_mul_i32 s10, s15, 0xc0
	s_cselect_b64 s[8:9], -1, 0
	v_add_u32_e32 v11, s10, v1
	s_lshl_b32 s10, s15, 3
	s_add_i32 s36, s14, s10
	s_lshl_b32 s10, s20, 3
	s_mul_i32 s35, s20, 0xffffff40
	s_sub_i32 s37, 0, s10
	s_mul_i32 s38, s15, 0xc8
	s_mul_i32 s39, s20, 0xffffff38
	s_branch .LBB158_83
.LBB158_82:                             ;   in Loop: Header=BB158_83 Depth=2
	s_sub_i32 s15, s15, s20
	s_add_i32 s36, s36, s37
	s_add_i32 s38, s38, s39
	s_cmp_lt_i32 s15, s30
	v_add_u32_e32 v11, s35, v11
	s_cbranch_scc1 .LBB158_79
.LBB158_83:                             ;   Parent Loop BB158_80 Depth=1
                                        ; =>  This Loop Header: Depth=2
                                        ;       Child Loop BB158_84 Depth 3
                                        ;       Child Loop BB158_95 Depth 3
                                        ;         Child Loop BB158_97 Depth 4
                                        ;         Child Loop BB158_103 Depth 4
                                        ;       Child Loop BB158_88 Depth 3
                                        ;         Child Loop BB158_90 Depth 4
	v_mov_b32_e32 v2, 0
	v_mov_b32_e32 v3, v11
	s_mov_b32 s10, s31
.LBB158_84:                             ;   Parent Loop BB158_80 Depth=1
                                        ;     Parent Loop BB158_83 Depth=2
                                        ; =>    This Inner Loop Header: Depth=3
	ds_read_b64 v[4:5], v3
	s_add_i32 s10, s10, -1
	v_add_u32_e32 v3, 0xffffff40, v3
	s_cmp_eq_u32 s10, 0
	s_waitcnt lgkmcnt(0)
	buffer_store_dword v5, v2, s[0:3], 0 offen offset:4
	buffer_store_dword v4, v2, s[0:3], 0 offen
	v_add_u32_e32 v2, 8, v2
	s_cbranch_scc0 .LBB158_84
; %bb.85:                               ;   in Loop: Header=BB158_83 Depth=2
	s_cmp_le_i32 s44, s15
	s_mov_b32 s40, s36
	s_mov_b32 s41, s44
	s_cbranch_scc0 .LBB158_95
.LBB158_86:                             ;   in Loop: Header=BB158_83 Depth=2
	s_mov_b32 s12, 0
	s_mov_b32 s13, s38
	s_branch .LBB158_88
.LBB158_87:                             ;   in Loop: Header=BB158_88 Depth=3
	s_mul_i32 s10, s40, 0xc8
	v_mov_b32_e32 v4, s10
	ds_read_b64 v[4:5], v4
	s_mul_i32 s10, s40, 24
	s_lshl_b32 s11, s12, 3
	s_add_i32 s12, s12, 1
	s_add_i32 s13, s13, -8
	s_waitcnt vmcnt(0) lgkmcnt(0)
	v_mul_f32_e32 v6, v5, v3
	v_mul_f32_e32 v7, v4, v3
	v_add_u32_e32 v8, s11, v10
	v_fma_f32 v6, v4, v2, -v6
	v_fmac_f32_e32 v7, v5, v2
	v_add_lshl_u32 v2, s10, v0, 3
	s_cmp_eq_u32 s12, s31
	buffer_store_dword v6, v8, s[0:3], 0 offen
	buffer_store_dword v7, v8, s[0:3], 0 offen offset:4
	ds_write_b64 v2, v[6:7] offset:4608
	s_cbranch_scc1 .LBB158_82
.LBB158_88:                             ;   Parent Loop BB158_80 Depth=1
                                        ;     Parent Loop BB158_83 Depth=2
                                        ; =>    This Loop Header: Depth=3
                                        ;         Child Loop BB158_90 Depth 4
	s_cmp_lg_u32 s12, 0
	s_cbranch_scc0 .LBB158_92
; %bb.89:                               ;   in Loop: Header=BB158_88 Depth=3
	s_lshl_b32 s10, s12, 3
	v_add_u32_e32 v4, s10, v10
	s_waitcnt lgkmcnt(0)
	buffer_load_dword v2, v4, s[0:3], 0 offen
	buffer_load_dword v3, v4, s[0:3], 0 offen offset:4
	v_mov_b32_e32 v5, 0
	s_mov_b32 s10, 0
	s_mov_b32 s11, s13
.LBB158_90:                             ;   Parent Loop BB158_80 Depth=1
                                        ;     Parent Loop BB158_83 Depth=2
                                        ;       Parent Loop BB158_88 Depth=3
                                        ; =>      This Inner Loop Header: Depth=4
	buffer_load_dword v7, v5, s[0:3], 0 offen offset:4
	buffer_load_dword v6, v5, s[0:3], 0 offen
	v_mov_b32_e32 v8, s11
	ds_read_b64 v[8:9], v8
	s_add_i32 s10, s10, 1
	s_addk_i32 s11, 0xff40
	v_add_u32_e32 v5, 8, v5
	s_cmp_ge_u32 s10, s12
	s_waitcnt vmcnt(1)
	v_mov_b32_e32 v12, v7
	s_waitcnt lgkmcnt(0)
	v_pk_mul_f32 v[12:13], v[8:9], v[12:13] op_sel_hi:[1,0]
	s_waitcnt vmcnt(0)
	v_pk_fma_f32 v[14:15], v[8:9], v[6:7], v[12:13] op_sel:[0,0,1] op_sel_hi:[1,1,0] neg_lo:[0,0,1] neg_hi:[0,0,1]
	v_pk_fma_f32 v[6:7], v[8:9], v[6:7], v[12:13] op_sel:[0,0,1] op_sel_hi:[1,0,0]
	v_mov_b32_e32 v15, v7
	v_pk_add_f32 v[2:3], v[2:3], v[14:15] neg_lo:[0,1] neg_hi:[0,1]
	buffer_store_dword v2, v4, s[0:3], 0 offen
	buffer_store_dword v3, v4, s[0:3], 0 offen offset:4
	s_cbranch_scc0 .LBB158_90
; %bb.91:                               ;   in Loop: Header=BB158_88 Depth=3
	s_sub_i32 s40, s15, s12
	s_branch .LBB158_87
.LBB158_92:                             ;   in Loop: Header=BB158_88 Depth=3
                                        ; implicit-def: $vgpr2
                                        ; implicit-def: $sgpr40
	s_cbranch_execz .LBB158_87
; %bb.93:                               ;   in Loop: Header=BB158_88 Depth=3
	s_waitcnt lgkmcnt(0)
	buffer_load_dword v2, off, s[0:3], 0
	buffer_load_dword v3, off, s[0:3], 0 offset:4
	s_mov_b32 s40, s15
	s_branch .LBB158_87
.LBB158_94:                             ;   in Loop: Header=BB158_95 Depth=3
	s_add_i32 s41, s41, -1
	s_addk_i32 s40, 0xff40
	s_cmp_le_i32 s41, s15
	s_cbranch_scc1 .LBB158_86
.LBB158_95:                             ;   Parent Loop BB158_80 Depth=1
                                        ;     Parent Loop BB158_83 Depth=2
                                        ; =>    This Loop Header: Depth=3
                                        ;         Child Loop BB158_97 Depth 4
                                        ;         Child Loop BB158_103 Depth 4
	s_mul_i32 s10, s41, 24
	s_waitcnt lgkmcnt(0)
	v_add_lshl_u32 v2, s10, v0, 3
	ds_read_b64 v[2:3], v2 offset:4608
	s_and_b64 vcc, exec, s[6:7]
	s_cbranch_vccz .LBB158_99
; %bb.96:                               ;   in Loop: Header=BB158_95 Depth=3
	s_add_i32 s10, s10, s15
	s_mov_b32 s11, s10
	s_waitcnt lgkmcnt(0)
	v_mov_b32_e32 v6, v2
	v_mov_b32_e32 v7, v2
	;; [unrolled: 1-line block ×6, first 2 shown]
	s_mov_b32 s12, 1
	s_mov_b32 s13, 0
	;; [unrolled: 1-line block ×3, first 2 shown]
.LBB158_97:                             ;   Parent Loop BB158_80 Depth=1
                                        ;     Parent Loop BB158_83 Depth=2
                                        ;       Parent Loop BB158_95 Depth=3
                                        ; =>      This Inner Loop Header: Depth=4
	buffer_load_dword v12, v5, s[0:3], 0 offen
	buffer_load_dword v14, v5, s[0:3], 0 offen offset:4
	buffer_load_dword v13, v5, s[0:3], 0 offen offset:8
	;; [unrolled: 1-line block ×3, first 2 shown]
	s_sub_i32 s43, s11, s12
	s_sub_i32 s47, s10, s13
	s_lshl_b32 s47, s47, 3
	s_lshl_b32 s43, s43, 3
	v_mov_b32_e32 v16, s47
	v_mov_b32_e32 v18, s43
	ds_read_b64 v[16:17], v16
	ds_read_b64 v[18:19], v18
	s_add_i32 s13, s13, 2
	s_add_i32 s12, s12, 2
	s_add_i32 s42, s42, -2
	s_waitcnt lgkmcnt(1)
	v_mov_b32_e32 v20, v16
	s_waitcnt lgkmcnt(0)
	v_mov_b32_e32 v21, v18
	v_mov_b32_e32 v18, v17
	v_pk_mul_f32 v[16:17], v[18:19], v[8:9]
	v_pk_mul_f32 v[18:19], v[18:19], v[6:7]
	v_pk_fma_f32 v[16:17], v[20:21], v[6:7], v[16:17] neg_lo:[0,0,1] neg_hi:[0,0,1]
	v_pk_fma_f32 v[18:19], v[20:21], v[8:9], v[18:19]
	s_cmp_lg_u32 s42, 0
	s_waitcnt vmcnt(1)
	v_pk_add_f32 v[12:13], v[12:13], v[16:17] neg_lo:[0,1] neg_hi:[0,1]
	s_waitcnt vmcnt(0)
	v_pk_add_f32 v[14:15], v[14:15], v[18:19] neg_lo:[0,1] neg_hi:[0,1]
	buffer_store_dword v12, v5, s[0:3], 0 offen
	buffer_store_dword v14, v5, s[0:3], 0 offen offset:4
	buffer_store_dword v13, v5, s[0:3], 0 offen offset:8
	;; [unrolled: 1-line block ×3, first 2 shown]
	v_add_u32_e32 v5, 16, v5
	s_cbranch_scc1 .LBB158_97
; %bb.98:                               ;   in Loop: Header=BB158_95 Depth=3
	s_mov_b64 s[10:11], s[8:9]
	s_mov_b32 s12, s34
	s_branch .LBB158_101
.LBB158_99:                             ;   in Loop: Header=BB158_95 Depth=3
	s_mov_b64 s[10:11], 0
                                        ; implicit-def: $vgpr4_vgpr5
	s_mov_b32 s12, s34
	s_cbranch_execz .LBB158_101
; %bb.100:                              ;   in Loop: Header=BB158_95 Depth=3
	s_waitcnt lgkmcnt(0)
	v_mov_b32_e32 v4, v3
	s_mov_b64 s[10:11], -1
	s_mov_b32 s12, 0
.LBB158_101:                            ;   in Loop: Header=BB158_95 Depth=3
	s_andn2_b64 vcc, exec, s[10:11]
	s_cbranch_vccnz .LBB158_94
; %bb.102:                              ;   in Loop: Header=BB158_95 Depth=3
	s_lshl_b32 s13, s12, 3
	s_waitcnt lgkmcnt(0)
	v_mov_b32_e32 v5, v3
	v_mov_b32_e32 v3, v2
	s_sub_i32 s10, s40, s13
	s_sub_i32 s11, s31, s12
	v_add_u32_e32 v6, s13, v10
.LBB158_103:                            ;   Parent Loop BB158_80 Depth=1
                                        ;     Parent Loop BB158_83 Depth=2
                                        ;       Parent Loop BB158_95 Depth=3
                                        ; =>      This Inner Loop Header: Depth=4
	buffer_load_dword v8, v6, s[0:3], 0 offen
	buffer_load_dword v9, v6, s[0:3], 0 offen offset:4
	v_mov_b32_e32 v7, s10
	ds_read_b64 v[12:13], v7
	s_add_i32 s10, s10, -8
	s_add_i32 s11, s11, -1
	s_cmp_eq_u32 s11, 0
	s_waitcnt lgkmcnt(0)
	v_pk_mul_f32 v[14:15], v[12:13], v[4:5]
	v_pk_fma_f32 v[16:17], v[12:13], v[2:3], v[14:15] op_sel:[0,0,1] op_sel_hi:[1,1,0] neg_lo:[0,0,1] neg_hi:[0,0,1]
	v_pk_fma_f32 v[12:13], v[12:13], v[2:3], v[14:15] op_sel:[0,0,1] op_sel_hi:[1,1,0]
	v_mov_b32_e32 v17, v13
	s_waitcnt vmcnt(0)
	v_pk_add_f32 v[8:9], v[8:9], v[16:17] neg_lo:[0,1] neg_hi:[0,1]
	buffer_store_dword v8, v6, s[0:3], 0 offen
	buffer_store_dword v9, v6, s[0:3], 0 offen offset:4
	v_add_u32_e32 v6, 8, v6
	s_cbranch_scc0 .LBB158_103
	s_branch .LBB158_94
.LBB158_104:
	s_waitcnt lgkmcnt(0)
	; wave barrier
	s_waitcnt lgkmcnt(0)
	s_and_saveexec_b64 s[4:5], s[28:29]
	s_cbranch_execz .LBB158_111
; %bb.105:
	s_cmp_lt_i32 s22, 8
	s_mov_b32 s4, 0
	s_cbranch_scc1 .LBB158_108
; %bb.106:
	v_mad_i64_i32 v[2:3], s[4:5], s21, v0, 0
	v_lshlrev_b64 v[2:3], 3, v[2:3]
	v_mov_b32_e32 v4, s46
	v_add_co_u32_e32 v1, vcc, s23, v2
	v_addc_co_u32_e32 v2, vcc, v4, v3, vcc
	v_mov_b32_e32 v3, 0x1200
	s_lshl_b32 s4, s33, 3
	v_lshl_or_b32 v3, v0, 3, v3
	s_and_b32 s5, s4, 0xc0
	s_mov_b32 s4, 0
	s_mov_b64 s[6:7], 0
.LBB158_107:                            ; =>This Inner Loop Header: Depth=1
	ds_read2_b64 v[4:7], v3 offset1:24
	ds_read2_b64 v[8:11], v3 offset0:48 offset1:72
	ds_read2_b64 v[12:15], v3 offset0:96 offset1:120
	;; [unrolled: 1-line block ×3, first 2 shown]
	s_add_i32 s4, s4, 8
	v_add_co_u32_e32 v20, vcc, s6, v1
	s_add_u32 s6, s6, 64
	v_mov_b32_e32 v21, s7
	s_addc_u32 s7, s7, 0
	v_add_u32_e32 v3, 0x600, v3
	v_addc_co_u32_e32 v21, vcc, v2, v21, vcc
	s_cmp_lg_u32 s5, s6
	s_waitcnt lgkmcnt(3)
	global_store_dwordx4 v[20:21], v[4:7], off
	s_waitcnt lgkmcnt(2)
	global_store_dwordx4 v[20:21], v[8:11], off offset:16
	s_waitcnt lgkmcnt(1)
	global_store_dwordx4 v[20:21], v[12:15], off offset:32
	s_waitcnt lgkmcnt(0)
	global_store_dwordx4 v[20:21], v[16:19], off offset:48
	s_cbranch_scc1 .LBB158_107
.LBB158_108:
	s_and_b32 s6, s33, 7
	s_cmp_eq_u32 s6, 0
	s_mov_b32 s5, 0
	s_cbranch_scc1 .LBB158_111
; %bb.109:
	s_lshl_b64 s[8:9], s[26:27], 3
	v_lshlrev_b32_e32 v1, 3, v0
	v_mov_b32_e32 v2, s9
	v_add_co_u32_e32 v1, vcc, s8, v1
	s_lshl_b64 s[8:9], s[4:5], 3
	s_add_u32 s5, s18, s8
	s_addc_u32 s7, s19, s9
	s_add_u32 s5, s5, s24
	s_addc_u32 s7, s7, s25
	;; [unrolled: 2-line block ×3, first 2 shown]
	v_addc_co_u32_e32 v4, vcc, 0, v2, vcc
	v_pk_mov_b32 v[2:3], s[8:9], s[8:9] op_sel:[0,1]
	s_mulk_i32 s4, 0xc0
	v_mad_u64_u32 v[2:3], s[8:9], v1, s21, v[2:3]
	v_mul_lo_u32 v1, v1, s45
	v_mul_lo_u32 v4, v4, s21
	v_lshl_add_u32 v0, v0, 3, s4
	v_add3_u32 v3, v4, v3, v1
	v_add_u32_e32 v0, 0x1200, v0
.LBB158_110:                            ; =>This Inner Loop Header: Depth=1
	ds_read_b64 v[4:5], v0
	s_add_i32 s6, s6, -1
	v_add_u32_e32 v0, 0xc0, v0
	s_cmp_lg_u32 s6, 0
	s_waitcnt lgkmcnt(0)
	global_store_dwordx2 v[2:3], v[4:5], off
	v_add_co_u32_e32 v2, vcc, 8, v2
	v_addc_co_u32_e32 v3, vcc, 0, v3, vcc
	s_cbranch_scc1 .LBB158_110
.LBB158_111:
	s_endpgm
	.section	.rodata,"a",@progbits
	.p2align	6, 0x0
	.amdhsa_kernel _ZL38rocblas_trsm_small_left_device_sharedBILi24ELi24ELb0E19rocblas_complex_numIfES1_PKS1_PS1_Ev13rocblas_fill_18rocblas_operation_17rocblas_diagonal_iiT3_T4_lilT5_lili
		.amdhsa_group_segment_fixed_size 9216
		.amdhsa_private_segment_fixed_size 208
		.amdhsa_kernarg_size 360
		.amdhsa_user_sgpr_count 8
		.amdhsa_user_sgpr_private_segment_buffer 1
		.amdhsa_user_sgpr_dispatch_ptr 0
		.amdhsa_user_sgpr_queue_ptr 0
		.amdhsa_user_sgpr_kernarg_segment_ptr 1
		.amdhsa_user_sgpr_dispatch_id 0
		.amdhsa_user_sgpr_flat_scratch_init 1
		.amdhsa_user_sgpr_kernarg_preload_length 0
		.amdhsa_user_sgpr_kernarg_preload_offset 0
		.amdhsa_user_sgpr_private_segment_size 0
		.amdhsa_uses_dynamic_stack 0
		.amdhsa_system_sgpr_private_segment_wavefront_offset 1
		.amdhsa_system_sgpr_workgroup_id_x 1
		.amdhsa_system_sgpr_workgroup_id_y 0
		.amdhsa_system_sgpr_workgroup_id_z 1
		.amdhsa_system_sgpr_workgroup_info 0
		.amdhsa_system_vgpr_workitem_id 0
		.amdhsa_next_free_vgpr 43
		.amdhsa_next_free_sgpr 54
		.amdhsa_accum_offset 44
		.amdhsa_reserve_vcc 1
		.amdhsa_reserve_flat_scratch 0
		.amdhsa_float_round_mode_32 0
		.amdhsa_float_round_mode_16_64 0
		.amdhsa_float_denorm_mode_32 3
		.amdhsa_float_denorm_mode_16_64 3
		.amdhsa_dx10_clamp 1
		.amdhsa_ieee_mode 1
		.amdhsa_fp16_overflow 0
		.amdhsa_tg_split 0
		.amdhsa_exception_fp_ieee_invalid_op 0
		.amdhsa_exception_fp_denorm_src 0
		.amdhsa_exception_fp_ieee_div_zero 0
		.amdhsa_exception_fp_ieee_overflow 0
		.amdhsa_exception_fp_ieee_underflow 0
		.amdhsa_exception_fp_ieee_inexact 0
		.amdhsa_exception_int_div_zero 0
	.end_amdhsa_kernel
	.section	.text._ZL38rocblas_trsm_small_left_device_sharedBILi24ELi24ELb0E19rocblas_complex_numIfES1_PKS1_PS1_Ev13rocblas_fill_18rocblas_operation_17rocblas_diagonal_iiT3_T4_lilT5_lili,"axG",@progbits,_ZL38rocblas_trsm_small_left_device_sharedBILi24ELi24ELb0E19rocblas_complex_numIfES1_PKS1_PS1_Ev13rocblas_fill_18rocblas_operation_17rocblas_diagonal_iiT3_T4_lilT5_lili,comdat
.Lfunc_end158:
	.size	_ZL38rocblas_trsm_small_left_device_sharedBILi24ELi24ELb0E19rocblas_complex_numIfES1_PKS1_PS1_Ev13rocblas_fill_18rocblas_operation_17rocblas_diagonal_iiT3_T4_lilT5_lili, .Lfunc_end158-_ZL38rocblas_trsm_small_left_device_sharedBILi24ELi24ELb0E19rocblas_complex_numIfES1_PKS1_PS1_Ev13rocblas_fill_18rocblas_operation_17rocblas_diagonal_iiT3_T4_lilT5_lili
                                        ; -- End function
	.section	.AMDGPU.csdata,"",@progbits
; Kernel info:
; codeLenInByte = 5364
; NumSgprs: 58
; NumVgprs: 43
; NumAgprs: 0
; TotalNumVgprs: 43
; ScratchSize: 208
; MemoryBound: 0
; FloatMode: 240
; IeeeMode: 1
; LDSByteSize: 9216 bytes/workgroup (compile time only)
; SGPRBlocks: 7
; VGPRBlocks: 5
; NumSGPRsForWavesPerEU: 58
; NumVGPRsForWavesPerEU: 43
; AccumOffset: 44
; Occupancy: 2
; WaveLimiterHint : 0
; COMPUTE_PGM_RSRC2:SCRATCH_EN: 1
; COMPUTE_PGM_RSRC2:USER_SGPR: 8
; COMPUTE_PGM_RSRC2:TRAP_HANDLER: 0
; COMPUTE_PGM_RSRC2:TGID_X_EN: 1
; COMPUTE_PGM_RSRC2:TGID_Y_EN: 0
; COMPUTE_PGM_RSRC2:TGID_Z_EN: 1
; COMPUTE_PGM_RSRC2:TIDIG_COMP_CNT: 0
; COMPUTE_PGM_RSRC3_GFX90A:ACCUM_OFFSET: 10
; COMPUTE_PGM_RSRC3_GFX90A:TG_SPLIT: 0
	.section	.text._ZL30rocblas_trsm_small_left_deviceILi24ELi24ELb0E19rocblas_complex_numIfES1_PKS1_PS1_Ev13rocblas_fill_18rocblas_operation_17rocblas_diagonal_iiT3_T4_lilT5_lili,"axG",@progbits,_ZL30rocblas_trsm_small_left_deviceILi24ELi24ELb0E19rocblas_complex_numIfES1_PKS1_PS1_Ev13rocblas_fill_18rocblas_operation_17rocblas_diagonal_iiT3_T4_lilT5_lili,comdat
	.globl	_ZL30rocblas_trsm_small_left_deviceILi24ELi24ELb0E19rocblas_complex_numIfES1_PKS1_PS1_Ev13rocblas_fill_18rocblas_operation_17rocblas_diagonal_iiT3_T4_lilT5_lili ; -- Begin function _ZL30rocblas_trsm_small_left_deviceILi24ELi24ELb0E19rocblas_complex_numIfES1_PKS1_PS1_Ev13rocblas_fill_18rocblas_operation_17rocblas_diagonal_iiT3_T4_lilT5_lili
	.p2align	8
	.type	_ZL30rocblas_trsm_small_left_deviceILi24ELi24ELb0E19rocblas_complex_numIfES1_PKS1_PS1_Ev13rocblas_fill_18rocblas_operation_17rocblas_diagonal_iiT3_T4_lilT5_lili,@function
_ZL30rocblas_trsm_small_left_deviceILi24ELi24ELb0E19rocblas_complex_numIfES1_PKS1_PS1_Ev13rocblas_fill_18rocblas_operation_17rocblas_diagonal_iiT3_T4_lilT5_lili: ; @_ZL30rocblas_trsm_small_left_deviceILi24ELi24ELb0E19rocblas_complex_numIfES1_PKS1_PS1_Ev13rocblas_fill_18rocblas_operation_17rocblas_diagonal_iiT3_T4_lilT5_lili
; %bb.0:
	s_add_u32 s0, s0, s10
	s_load_dwordx4 s[16:19], s[4:5], 0x4
	s_load_dwordx2 s[24:25], s[4:5], 0x14
	s_load_dwordx4 s[12:15], s[4:5], 0x38
	s_load_dwordx2 s[26:27], s[4:5], 0x48
	s_load_dword s43, s[4:5], 0x68
	s_addc_u32 s1, s1, 0
	s_waitcnt lgkmcnt(0)
	s_min_i32 s42, s18, 24
	s_mov_b32 s44, 0
	s_add_i32 s33, s42, -1
	v_cmp_gt_i32_e32 vcc, s42, v0
	s_and_saveexec_b64 s[28:29], vcc
	s_cbranch_execz .LBB159_35
; %bb.1:
	s_load_dword s30, s[4:5], 0x30
	s_load_dwordx4 s[20:23], s[4:5], 0x20
	s_mul_i32 s6, s9, s13
	s_mul_hi_u32 s7, s9, s12
	s_mul_i32 s12, s9, s12
	s_waitcnt lgkmcnt(0)
	s_ashr_i32 s31, s30, 31
	s_cmpk_lg_i32 s16, 0x71
	s_cselect_b64 s[34:35], -1, 0
	s_add_i32 s13, s7, s6
	v_cndmask_b32_e64 v2, 0, 1, s[34:35]
	s_cmp_lt_u32 s33, 3
	v_lshlrev_b32_e32 v1, 3, v0
	v_cmp_ne_u32_e64 s[6:7], 1, v2
	s_cbranch_scc1 .LBB159_20
; %bb.2:
	s_lshl_b64 s[10:11], s[12:13], 3
	s_add_u32 s18, s20, s10
	s_addc_u32 s36, s21, s11
	s_lshl_b64 s[10:11], s[22:23], 3
	s_add_u32 s10, s18, s10
	s_addc_u32 s11, s36, s11
	v_mov_b32_e32 v3, s11
	v_add_co_u32_e32 v2, vcc, s10, v1
	s_mul_hi_i32 s10, s30, 24
	s_lshl_b64 s[36:37], s[30:31], 5
	s_lshl_b64 s[38:39], s[30:31], 4
	;; [unrolled: 1-line block ×3, first 2 shown]
	v_addc_co_u32_e32 v3, vcc, 0, v3, vcc
	s_and_b32 s44, s42, -4
	s_mul_i32 s18, s30, 24
	s_mov_b32 s45, 0
	v_mov_b32_e32 v8, s41
	v_mov_b32_e32 v9, s39
	;; [unrolled: 1-line block ×5, first 2 shown]
	s_branch .LBB159_4
.LBB159_3:                              ;   in Loop: Header=BB159_4 Depth=1
	global_load_dword v4, v[6:7], off
	s_add_i32 s45, s45, 4
	v_add_co_u32_e32 v2, vcc, s36, v2
	v_addc_co_u32_e32 v3, vcc, v3, v11, vcc
	s_cmp_eq_u32 s44, s45
	s_waitcnt vmcnt(0)
	ds_write_b64 v12, v[4:5] offset:576
	v_add_u32_e32 v12, 0x300, v12
	s_cbranch_scc1 .LBB159_20
.LBB159_4:                              ; =>This Inner Loop Header: Depth=1
	s_and_b64 vcc, exec, s[34:35]
	s_cbranch_vccz .LBB159_6
; %bb.5:                                ;   in Loop: Header=BB159_4 Depth=1
	global_load_dword v5, v[2:3], off offset:4
	s_cbranch_execz .LBB159_7
	s_branch .LBB159_8
.LBB159_6:                              ;   in Loop: Header=BB159_4 Depth=1
                                        ; implicit-def: $vgpr5
.LBB159_7:                              ;   in Loop: Header=BB159_4 Depth=1
	global_load_dword v4, v[2:3], off offset:4
	s_waitcnt vmcnt(0)
	v_xor_b32_e32 v5, 0x80000000, v4
.LBB159_8:                              ;   in Loop: Header=BB159_4 Depth=1
	global_load_dword v4, v[2:3], off
	v_add_co_u32_e64 v6, s[10:11], s40, v2
	s_and_b64 vcc, exec, s[6:7]
	v_addc_co_u32_e64 v7, s[10:11], v3, v8, s[10:11]
	s_waitcnt vmcnt(0)
	ds_write_b64 v12, v[4:5]
	s_cbranch_vccnz .LBB159_10
; %bb.9:                                ;   in Loop: Header=BB159_4 Depth=1
	global_load_dword v5, v[6:7], off offset:4
	s_cbranch_execz .LBB159_11
	s_branch .LBB159_12
.LBB159_10:                             ;   in Loop: Header=BB159_4 Depth=1
                                        ; implicit-def: $vgpr5
.LBB159_11:                             ;   in Loop: Header=BB159_4 Depth=1
	global_load_dword v4, v[6:7], off offset:4
	s_waitcnt vmcnt(0)
	v_xor_b32_e32 v5, 0x80000000, v4
.LBB159_12:                             ;   in Loop: Header=BB159_4 Depth=1
	global_load_dword v4, v[6:7], off
	v_add_co_u32_e64 v6, s[10:11], s38, v2
	s_and_b64 vcc, exec, s[6:7]
	v_addc_co_u32_e64 v7, s[10:11], v3, v9, s[10:11]
	s_waitcnt vmcnt(0)
	ds_write_b64 v12, v[4:5] offset:192
	s_cbranch_vccnz .LBB159_14
; %bb.13:                               ;   in Loop: Header=BB159_4 Depth=1
	global_load_dword v5, v[6:7], off offset:4
	s_cbranch_execz .LBB159_15
	s_branch .LBB159_16
.LBB159_14:                             ;   in Loop: Header=BB159_4 Depth=1
                                        ; implicit-def: $vgpr5
.LBB159_15:                             ;   in Loop: Header=BB159_4 Depth=1
	global_load_dword v4, v[6:7], off offset:4
	s_waitcnt vmcnt(0)
	v_xor_b32_e32 v5, 0x80000000, v4
.LBB159_16:                             ;   in Loop: Header=BB159_4 Depth=1
	global_load_dword v4, v[6:7], off
	v_add_co_u32_e64 v6, s[10:11], s18, v2
	s_and_b64 vcc, exec, s[6:7]
	v_addc_co_u32_e64 v7, s[10:11], v3, v10, s[10:11]
	s_waitcnt vmcnt(0)
	ds_write_b64 v12, v[4:5] offset:384
	s_cbranch_vccnz .LBB159_18
; %bb.17:                               ;   in Loop: Header=BB159_4 Depth=1
	global_load_dword v5, v[6:7], off offset:4
	s_cbranch_execnz .LBB159_3
	s_branch .LBB159_19
.LBB159_18:                             ;   in Loop: Header=BB159_4 Depth=1
                                        ; implicit-def: $vgpr5
.LBB159_19:                             ;   in Loop: Header=BB159_4 Depth=1
	global_load_dword v4, v[6:7], off offset:4
	s_waitcnt vmcnt(0)
	v_xor_b32_e32 v5, 0x80000000, v4
	s_branch .LBB159_3
.LBB159_20:
	s_and_b32 s18, s42, 3
	s_cmp_eq_u32 s18, 0
	s_cbranch_scc1 .LBB159_27
; %bb.21:
	s_mul_i32 s10, s44, 0xc0
	v_lshl_add_u32 v6, v0, 3, s10
	s_lshl_b64 s[10:11], s[12:13], 3
	s_mul_i32 s12, s31, s44
	s_mul_hi_u32 s13, s30, s44
	s_add_i32 s13, s13, s12
	s_mul_i32 s12, s30, s44
	s_lshl_b64 s[12:13], s[12:13], 3
	s_add_u32 s12, s10, s12
	s_addc_u32 s13, s11, s13
	s_lshl_b64 s[10:11], s[22:23], 3
	s_add_u32 s10, s12, s10
	s_addc_u32 s11, s13, s11
	s_add_u32 s10, s20, s10
	s_addc_u32 s11, s21, s11
	v_mov_b32_e32 v2, s11
	v_add_co_u32_e32 v1, vcc, s10, v1
	v_addc_co_u32_e32 v3, vcc, 0, v2, vcc
	v_add_co_u32_e32 v2, vcc, 4, v1
	s_lshl_b64 s[10:11], s[30:31], 3
	v_addc_co_u32_e32 v3, vcc, 0, v3, vcc
	v_mov_b32_e32 v1, s11
	s_branch .LBB159_23
.LBB159_22:                             ;   in Loop: Header=BB159_23 Depth=1
	global_load_dword v4, v[2:3], off offset:-4
	s_add_i32 s18, s18, -1
	v_add_co_u32_e32 v2, vcc, s10, v2
	s_cmp_lg_u32 s18, 0
	v_addc_co_u32_e32 v3, vcc, v3, v1, vcc
	s_waitcnt vmcnt(0)
	ds_write_b64 v6, v[4:5]
	v_add_u32_e32 v6, 0xc0, v6
	s_cbranch_scc0 .LBB159_27
.LBB159_23:                             ; =>This Inner Loop Header: Depth=1
	s_and_b64 vcc, exec, s[6:7]
	s_cbranch_vccnz .LBB159_25
; %bb.24:                               ;   in Loop: Header=BB159_23 Depth=1
	global_load_dword v5, v[2:3], off
	s_cbranch_execnz .LBB159_22
	s_branch .LBB159_26
.LBB159_25:                             ;   in Loop: Header=BB159_23 Depth=1
                                        ; implicit-def: $vgpr5
.LBB159_26:                             ;   in Loop: Header=BB159_23 Depth=1
	global_load_dword v4, v[2:3], off
	s_waitcnt vmcnt(0)
	v_xor_b32_e32 v5, 0x80000000, v4
	s_branch .LBB159_22
.LBB159_27:
	v_mul_u32_u24_e32 v1, 25, v0
	s_cmpk_lg_i32 s17, 0x84
	v_lshlrev_b32_e32 v1, 3, v1
	s_mov_b64 s[6:7], -1
	s_cbranch_scc0 .LBB159_33
; %bb.28:
	ds_read_b64 v[2:3], v1
	s_mov_b32 s6, 0
	s_waitcnt lgkmcnt(0)
	v_cmp_gt_f32_e32 vcc, 0, v3
	v_cndmask_b32_e64 v4, v3, -v3, vcc
	v_cmp_gt_f32_e32 vcc, 0, v2
	v_cndmask_b32_e64 v5, v2, -v2, vcc
	v_cmp_ngt_f32_e32 vcc, v5, v4
                                        ; implicit-def: $vgpr4_vgpr5
	s_and_saveexec_b64 s[10:11], vcc
	s_xor_b64 s[10:11], exec, s[10:11]
	s_cbranch_execz .LBB159_30
; %bb.29:
	v_div_scale_f32 v4, s[12:13], v3, v3, v2
	v_rcp_f32_e32 v5, v4
	v_div_scale_f32 v6, vcc, v2, v3, v2
	s_mov_b32 s7, -1.0
	v_fma_f32 v7, -v4, v5, 1.0
	v_fmac_f32_e32 v5, v7, v5
	v_mul_f32_e32 v7, v6, v5
	v_fma_f32 v8, -v4, v7, v6
	v_fmac_f32_e32 v7, v8, v5
	v_fma_f32 v4, -v4, v7, v6
	v_div_fmas_f32 v4, v4, v5, v7
	v_div_fixup_f32 v4, v4, v3, v2
	v_fmac_f32_e32 v3, v2, v4
	v_div_scale_f32 v2, s[12:13], v3, v3, 1.0
	v_rcp_f32_e32 v5, v2
	v_fma_f32 v6, -v2, v5, 1.0
	v_fmac_f32_e32 v5, v6, v5
	v_div_scale_f32 v6, vcc, 1.0, v3, 1.0
	v_mul_f32_e32 v7, v6, v5
	v_fma_f32 v8, -v2, v7, v6
	v_fmac_f32_e32 v7, v8, v5
	v_fma_f32 v2, -v2, v7, v6
	v_div_fmas_f32 v2, v2, v5, v7
	v_mul_f32_e32 v5, 0, v4
	v_div_fixup_f32 v2, v2, v3, 1.0
	v_pk_add_f32 v[4:5], v[4:5], s[6:7]
	v_pk_mul_f32 v[4:5], v[4:5], v[2:3] op_sel_hi:[1,0]
                                        ; implicit-def: $vgpr2_vgpr3
.LBB159_30:
	s_andn2_saveexec_b64 s[6:7], s[10:11]
	s_cbranch_execz .LBB159_32
; %bb.31:
	v_div_scale_f32 v4, s[10:11], v2, v2, v3
	v_rcp_f32_e32 v5, v4
	v_div_scale_f32 v6, vcc, v3, v2, v3
	v_fma_f32 v7, -v4, v5, 1.0
	v_fmac_f32_e32 v5, v7, v5
	v_mul_f32_e32 v7, v6, v5
	v_fma_f32 v8, -v4, v7, v6
	v_fmac_f32_e32 v7, v8, v5
	v_fma_f32 v4, -v4, v7, v6
	v_div_fmas_f32 v4, v4, v5, v7
	v_div_fixup_f32 v5, v4, v2, v3
	v_fmac_f32_e32 v2, v3, v5
	v_div_scale_f32 v3, s[10:11], v2, v2, 1.0
	v_rcp_f32_e32 v4, v3
	s_mov_b32 s10, 1.0
	s_mov_b32 s11, 0
	v_fma_f32 v6, -v3, v4, 1.0
	v_fmac_f32_e32 v4, v6, v4
	v_div_scale_f32 v6, vcc, 1.0, v2, 1.0
	v_mul_f32_e32 v7, v6, v4
	v_fma_f32 v8, -v3, v7, v6
	v_fmac_f32_e32 v7, v8, v4
	v_fma_f32 v3, -v3, v7, v6
	v_div_fmas_f32 v3, v3, v4, v7
	v_mul_f32_e32 v4, 0, v5
	v_pk_add_f32 v[6:7], v[4:5], s[10:11]
	v_pk_add_f32 v[4:5], v[4:5], s[10:11] neg_lo:[1,0] neg_hi:[1,0]
	v_div_fixup_f32 v2, v3, v2, 1.0
	v_mov_b32_e32 v7, v5
	v_pk_mul_f32 v[4:5], v[6:7], v[2:3] op_sel_hi:[1,0]
.LBB159_32:
	s_or_b64 exec, exec, s[6:7]
	s_mov_b64 s[6:7], 0
	ds_write_b64 v1, v[4:5]
.LBB159_33:
	s_and_b64 vcc, exec, s[6:7]
	s_cbranch_vccz .LBB159_35
; %bb.34:
	v_mov_b32_e32 v2, 1.0
	v_mov_b32_e32 v3, 0
	ds_write_b64 v1, v[2:3]
.LBB159_35:
	s_or_b64 exec, exec, s[28:29]
	s_mul_i32 s6, s8, 0xffffffe8
	s_add_i32 s43, s43, -1
	s_add_i32 s6, s6, s19
	s_cmp_ge_u32 s8, s43
	s_cselect_b32 s6, s6, 24
	v_cmp_gt_i32_e32 vcc, s6, v0
	s_waitcnt lgkmcnt(0)
	; wave barrier
	s_waitcnt lgkmcnt(0)
	s_and_saveexec_b64 s[6:7], vcc
	s_cbranch_execz .LBB159_102
; %bb.36:
	s_load_dwordx2 s[6:7], s[4:5], 0x58
	s_load_dword s12, s[4:5], 0x50
	s_waitcnt lgkmcnt(0)
	s_mul_i32 s5, s9, s7
	s_mul_hi_u32 s7, s9, s6
	s_mul_i32 s4, s9, s6
	s_add_i32 s5, s7, s5
	s_lshl_b64 s[6:7], s[4:5], 3
	s_add_u32 s4, s14, s6
	s_addc_u32 s5, s15, s7
	s_lshl_b64 s[10:11], s[26:27], 3
	s_add_u32 s9, s4, s10
	s_addc_u32 s13, s5, s11
	v_mad_u64_u32 v[0:1], s[4:5], s8, 24, v[0:1]
	v_mad_i64_i32 v[0:1], s[4:5], s12, v0, 0
	v_lshlrev_b64 v[0:1], 3, v[0:1]
	v_mov_b32_e32 v2, s13
	v_add_co_u32_e32 v10, vcc, s9, v0
	v_addc_co_u32_e32 v11, vcc, v2, v1, vcc
	s_cmpk_eq_i32 s16, 0x6f
	s_mov_b64 s[4:5], -1
	s_cbranch_scc1 .LBB159_70
; %bb.37:
	s_add_u32 s4, s14, s10
	s_addc_u32 s5, s15, s11
	s_add_u32 s4, s4, s6
	s_addc_u32 s5, s5, s7
	v_mov_b32_e32 v2, s5
	v_add_co_u32_e32 v3, vcc, s4, v0
	v_addc_co_u32_e32 v2, vcc, v2, v1, vcc
	v_add_co_u32_e32 v12, vcc, 4, v3
	s_mov_b32 s17, 0
	s_mov_b32 s8, s24
	s_mov_b32 s9, s24
	s_mov_b32 s12, s25
	s_mov_b32 s13, s25
	v_addc_co_u32_e32 v13, vcc, 0, v2, vcc
	v_mov_b32_e32 v14, 0
	s_mov_b32 s16, s17
	s_mov_b32 s28, s17
	s_branch .LBB159_39
.LBB159_38:                             ;   in Loop: Header=BB159_39 Depth=1
	s_cmp_ge_i32 s28, s42
	s_cselect_b64 s[4:5], -1, 0
	s_add_i32 s16, s16, 1
	s_cmp_eq_u32 s16, 3
	s_cselect_b64 s[18:19], -1, 0
	s_or_b64 s[4:5], s[4:5], s[18:19]
	s_andn2_b64 vcc, exec, s[4:5]
	s_cbranch_vccz .LBB159_69
.LBB159_39:                             ; =>This Loop Header: Depth=1
                                        ;     Child Loop BB159_42 Depth 2
                                        ;       Child Loop BB159_44 Depth 3
                                        ;       Child Loop BB159_48 Depth 3
	;; [unrolled: 1-line block ×3, first 2 shown]
                                        ;         Child Loop BB159_54 Depth 4
                                        ;         Child Loop BB159_60 Depth 4
                                        ;       Child Loop BB159_63 Depth 3
                                        ;         Child Loop BB159_65 Depth 4
	s_lshl_b64 s[4:5], s[16:17], 2
	s_getpc_b64 s[18:19]
	s_add_u32 s18, s18, __const._ZL30rocblas_trsm_small_left_deviceILi24ELi24ELb0E19rocblas_complex_numIfES1_PKS1_PS1_Ev13rocblas_fill_18rocblas_operation_17rocblas_diagonal_iiT3_T4_lilT5_lili.step_sizes@rel32@lo+4
	s_addc_u32 s19, s19, __const._ZL30rocblas_trsm_small_left_deviceILi24ELi24ELb0E19rocblas_complex_numIfES1_PKS1_PS1_Ev13rocblas_fill_18rocblas_operation_17rocblas_diagonal_iiT3_T4_lilT5_lili.step_sizes@rel32@hi+12
	s_add_u32 s4, s4, s18
	s_addc_u32 s5, s5, s19
	s_load_dword s29, s[4:5], 0x0
	s_waitcnt lgkmcnt(0)
	s_add_i32 s30, s29, -1
	s_add_i32 s4, s30, s28
	s_cmp_ge_i32 s4, s42
	s_cbranch_scc1 .LBB159_38
; %bb.40:                               ;   in Loop: Header=BB159_39 Depth=1
	s_max_i32 s31, s29, 1
	s_cmp_lg_u32 s16, 2
	s_cselect_b64 s[18:19], -1, 0
	s_and_b32 s34, s31, 0x7ffffffe
	s_cmp_lg_u32 s31, s34
	s_cselect_b64 s[20:21], -1, 0
	s_ashr_i32 s35, s28, 31
	s_ashr_i32 s36, s29, 31
	s_mul_i32 s37, s28, 0xc8
	s_mul_i32 s38, s29, 0xc8
	s_branch .LBB159_42
.LBB159_41:                             ;   in Loop: Header=BB159_42 Depth=2
	s_add_u32 s28, s28, s29
	s_addc_u32 s35, s35, s36
	s_add_i32 s4, s30, s28
	s_add_i32 s37, s37, s38
	s_cmp_ge_i32 s4, s42
	s_cbranch_scc1 .LBB159_38
.LBB159_42:                             ;   Parent Loop BB159_39 Depth=1
                                        ; =>  This Loop Header: Depth=2
                                        ;       Child Loop BB159_44 Depth 3
                                        ;       Child Loop BB159_48 Depth 3
	;; [unrolled: 1-line block ×3, first 2 shown]
                                        ;         Child Loop BB159_54 Depth 4
                                        ;         Child Loop BB159_60 Depth 4
                                        ;       Child Loop BB159_63 Depth 3
                                        ;         Child Loop BB159_65 Depth 4
	s_and_b64 vcc, exec, s[18:19]
	s_cbranch_vccz .LBB159_46
; %bb.43:                               ;   in Loop: Header=BB159_42 Depth=2
	v_mov_b32_e32 v2, 0
	s_mov_b32 s22, s28
	s_mov_b32 s23, s28
	;; [unrolled: 1-line block ×5, first 2 shown]
.LBB159_44:                             ;   Parent Loop BB159_39 Depth=1
                                        ;     Parent Loop BB159_42 Depth=2
                                        ; =>    This Inner Loop Header: Depth=3
	s_add_i32 s4, s27, s22
	s_add_i32 s40, s26, s23
	s_ashr_i32 s5, s4, 31
	s_ashr_i32 s41, s40, 31
	s_lshl_b64 s[4:5], s[4:5], 3
	s_lshl_b64 s[40:41], s[40:41], 3
	v_mov_b32_e32 v3, s5
	v_add_co_u32_e64 v6, s[4:5], s4, v10
	v_mov_b32_e32 v5, s41
	v_add_co_u32_e32 v4, vcc, s40, v10
	v_addc_co_u32_e64 v7, s[4:5], v11, v3, s[4:5]
	v_addc_co_u32_e32 v5, vcc, v11, v5, vcc
	global_load_dwordx2 v[8:9], v[6:7], off
	global_load_dwordx2 v[16:17], v[4:5], off
	s_add_i32 s27, s27, 2
	s_add_i32 s26, s26, 2
	s_add_i32 s39, s39, -2
	s_mov_b32 s40, s34
	s_mov_b64 s[4:5], s[20:21]
	s_cmp_lg_u32 s39, 0
	s_waitcnt vmcnt(1)
	v_mov_b32_e32 v4, v8
	s_waitcnt vmcnt(0)
	v_mov_b32_e32 v5, v16
	v_mov_b32_e32 v16, v9
	v_pk_mul_f32 v[6:7], v[16:17], s[12:13]
	v_pk_mul_f32 v[8:9], v[16:17], s[8:9]
	v_pk_fma_f32 v[6:7], v[4:5], s[8:9], v[6:7] neg_lo:[0,0,1] neg_hi:[0,0,1]
	v_pk_fma_f32 v[4:5], v[4:5], s[12:13], v[8:9]
	buffer_store_dword v4, v2, s[0:3], 0 offen offset:4
	buffer_store_dword v6, v2, s[0:3], 0 offen
	buffer_store_dword v5, v2, s[0:3], 0 offen offset:12
	buffer_store_dword v7, v2, s[0:3], 0 offen offset:8
	v_add_u32_e32 v2, 16, v2
	s_cbranch_scc1 .LBB159_44
; %bb.45:                               ;   in Loop: Header=BB159_42 Depth=2
	s_and_b64 vcc, exec, s[4:5]
	s_cbranch_vccnz .LBB159_47
	s_branch .LBB159_49
.LBB159_46:                             ;   in Loop: Header=BB159_42 Depth=2
	s_mov_b32 s40, 0
	s_cbranch_execz .LBB159_49
.LBB159_47:                             ;   in Loop: Header=BB159_42 Depth=2
	s_sub_i32 s4, s31, s40
	s_add_u32 s22, s28, s40
	s_addc_u32 s23, s35, 0
	s_lshl_b64 s[22:23], s[22:23], 3
	v_mov_b32_e32 v3, s23
	v_add_co_u32_e32 v2, vcc, s22, v12
	s_lshl_b32 s5, s40, 3
	v_addc_co_u32_e32 v3, vcc, v13, v3, vcc
	v_add_u32_e32 v4, s5, v14
.LBB159_48:                             ;   Parent Loop BB159_39 Depth=1
                                        ;     Parent Loop BB159_42 Depth=2
                                        ; =>    This Inner Loop Header: Depth=3
	global_load_dwordx2 v[6:7], v[2:3], off offset:-4
	s_add_i32 s4, s4, -1
	v_add_co_u32_e32 v2, vcc, 8, v2
	v_addc_co_u32_e32 v3, vcc, 0, v3, vcc
	s_cmp_eq_u32 s4, 0
	s_waitcnt vmcnt(0)
	v_mul_f32_e32 v5, s25, v7
	v_mul_f32_e32 v7, s24, v7
	v_fma_f32 v5, v6, s24, -v5
	v_fmac_f32_e32 v7, s25, v6
	buffer_store_dword v5, v4, s[0:3], 0 offen
	buffer_store_dword v7, v4, s[0:3], 0 offen offset:4
	v_add_u32_e32 v4, 8, v4
	s_cbranch_scc0 .LBB159_48
.LBB159_49:                             ;   in Loop: Header=BB159_42 Depth=2
	s_cmp_lt_i32 s28, 1
	s_cbranch_scc1 .LBB159_61
; %bb.50:                               ;   in Loop: Header=BB159_42 Depth=2
	s_mov_b32 s39, s28
	s_mov_b32 s40, s28
	;; [unrolled: 1-line block ×4, first 2 shown]
	s_branch .LBB159_52
.LBB159_51:                             ;   in Loop: Header=BB159_52 Depth=3
	s_add_i32 s4, s4, 1
	s_add_i32 s41, s41, 8
	s_cmp_ge_i32 s4, s28
	s_cbranch_scc1 .LBB159_61
.LBB159_52:                             ;   Parent Loop BB159_39 Depth=1
                                        ;     Parent Loop BB159_42 Depth=2
                                        ; =>    This Loop Header: Depth=3
                                        ;         Child Loop BB159_54 Depth 4
                                        ;         Child Loop BB159_60 Depth 4
	s_mov_b32 s5, s17
	s_lshl_b64 s[22:23], s[4:5], 3
	s_waitcnt vmcnt(0)
	v_mov_b32_e32 v3, s23
	v_add_co_u32_e32 v2, vcc, s22, v10
	v_addc_co_u32_e32 v3, vcc, v11, v3, vcc
	global_load_dwordx2 v[2:3], v[2:3], off
	s_and_b64 vcc, exec, s[18:19]
	s_cbranch_vccz .LBB159_56
; %bb.53:                               ;   in Loop: Header=BB159_52 Depth=3
	s_mov_b32 s5, s4
	s_waitcnt vmcnt(0)
	v_mov_b32_e32 v6, v2
	v_mov_b32_e32 v7, v2
	;; [unrolled: 1-line block ×6, first 2 shown]
	s_mov_b32 s22, 1
	s_mov_b32 s23, 0
	;; [unrolled: 1-line block ×3, first 2 shown]
.LBB159_54:                             ;   Parent Loop BB159_39 Depth=1
                                        ;     Parent Loop BB159_42 Depth=2
                                        ;       Parent Loop BB159_52 Depth=3
                                        ; =>      This Inner Loop Header: Depth=4
	buffer_load_dword v16, v5, s[0:3], 0 offen
	buffer_load_dword v18, v5, s[0:3], 0 offen offset:4
	buffer_load_dword v17, v5, s[0:3], 0 offen offset:8
	;; [unrolled: 1-line block ×3, first 2 shown]
	s_add_i32 s27, s22, s40
	s_add_i32 s43, s23, s39
	s_mul_i32 s43, s43, 24
	s_mul_i32 s27, s27, 24
	s_add_i32 s27, s27, s5
	s_add_i32 s43, s43, s4
	s_lshl_b32 s43, s43, 3
	s_lshl_b32 s27, s27, 3
	v_mov_b32_e32 v15, s43
	v_mov_b32_e32 v22, s27
	ds_read_b64 v[20:21], v15
	ds_read_b64 v[22:23], v22
	s_add_i32 s23, s23, 2
	s_add_i32 s22, s22, 2
	s_add_i32 s26, s26, -2
	s_waitcnt lgkmcnt(1)
	v_mov_b32_e32 v24, v20
	s_waitcnt lgkmcnt(0)
	v_mov_b32_e32 v25, v22
	v_mov_b32_e32 v22, v21
	v_pk_mul_f32 v[20:21], v[22:23], v[8:9]
	v_pk_mul_f32 v[22:23], v[22:23], v[6:7]
	v_pk_fma_f32 v[20:21], v[24:25], v[6:7], v[20:21] neg_lo:[0,0,1] neg_hi:[0,0,1]
	v_pk_fma_f32 v[22:23], v[24:25], v[8:9], v[22:23]
	s_cmp_lg_u32 s26, 0
	s_waitcnt vmcnt(1)
	v_pk_add_f32 v[16:17], v[16:17], v[20:21] neg_lo:[0,1] neg_hi:[0,1]
	s_waitcnt vmcnt(0)
	v_pk_add_f32 v[18:19], v[18:19], v[22:23] neg_lo:[0,1] neg_hi:[0,1]
	buffer_store_dword v16, v5, s[0:3], 0 offen
	buffer_store_dword v18, v5, s[0:3], 0 offen offset:4
	buffer_store_dword v17, v5, s[0:3], 0 offen offset:8
	;; [unrolled: 1-line block ×3, first 2 shown]
	v_add_u32_e32 v5, 16, v5
	s_cbranch_scc1 .LBB159_54
; %bb.55:                               ;   in Loop: Header=BB159_52 Depth=3
	s_mov_b64 s[22:23], s[20:21]
	s_mov_b32 s26, s34
	s_branch .LBB159_58
.LBB159_56:                             ;   in Loop: Header=BB159_52 Depth=3
	s_mov_b64 s[22:23], 0
                                        ; implicit-def: $vgpr4_vgpr5
	s_mov_b32 s26, s34
	s_cbranch_execz .LBB159_58
; %bb.57:                               ;   in Loop: Header=BB159_52 Depth=3
	s_waitcnt vmcnt(0)
	v_mov_b32_e32 v4, v3
	s_mov_b64 s[22:23], -1
	s_mov_b32 s26, 0
.LBB159_58:                             ;   in Loop: Header=BB159_52 Depth=3
	s_andn2_b64 vcc, exec, s[22:23]
	s_cbranch_vccnz .LBB159_51
; %bb.59:                               ;   in Loop: Header=BB159_52 Depth=3
	s_add_i32 s22, s28, s26
	s_mulk_i32 s22, 0xc0
	s_lshl_b32 s23, s26, 3
	s_waitcnt vmcnt(0)
	v_mov_b32_e32 v5, v3
	v_mov_b32_e32 v3, v2
	s_sub_i32 s5, s31, s26
	s_add_i32 s22, s41, s22
	v_add_u32_e32 v6, s23, v14
.LBB159_60:                             ;   Parent Loop BB159_39 Depth=1
                                        ;     Parent Loop BB159_42 Depth=2
                                        ;       Parent Loop BB159_52 Depth=3
                                        ; =>      This Inner Loop Header: Depth=4
	buffer_load_dword v8, v6, s[0:3], 0 offen
	buffer_load_dword v9, v6, s[0:3], 0 offen offset:4
	v_mov_b32_e32 v7, s22
	ds_read_b64 v[16:17], v7
	s_add_i32 s5, s5, -1
	s_addk_i32 s22, 0xc0
	s_cmp_eq_u32 s5, 0
	s_waitcnt lgkmcnt(0)
	v_pk_mul_f32 v[18:19], v[16:17], v[4:5]
	v_pk_fma_f32 v[20:21], v[16:17], v[2:3], v[18:19] op_sel:[0,0,1] op_sel_hi:[1,1,0] neg_lo:[0,0,1] neg_hi:[0,0,1]
	v_pk_fma_f32 v[16:17], v[16:17], v[2:3], v[18:19] op_sel:[0,0,1] op_sel_hi:[1,1,0]
	v_mov_b32_e32 v21, v17
	s_waitcnt vmcnt(0)
	v_pk_add_f32 v[8:9], v[8:9], v[20:21] neg_lo:[0,1] neg_hi:[0,1]
	buffer_store_dword v8, v6, s[0:3], 0 offen
	buffer_store_dword v9, v6, s[0:3], 0 offen offset:4
	v_add_u32_e32 v6, 8, v6
	s_cbranch_scc0 .LBB159_60
	s_branch .LBB159_51
.LBB159_61:                             ;   in Loop: Header=BB159_42 Depth=2
	s_mov_b32 s26, 0
	s_mov_b32 s27, s37
	s_branch .LBB159_63
.LBB159_62:                             ;   in Loop: Header=BB159_63 Depth=3
	s_mul_i32 s5, s4, 0xc8
	v_mov_b32_e32 v4, s5
	ds_read_b64 v[4:5], v4
	s_lshl_b32 s5, s26, 3
	v_add_u32_e32 v8, s5, v14
	s_ashr_i32 s5, s4, 31
	s_lshl_b64 s[4:5], s[4:5], 3
	s_waitcnt vmcnt(0) lgkmcnt(0)
	v_mul_f32_e32 v6, v5, v3
	v_mul_f32_e32 v7, v4, v3
	v_fma_f32 v6, v4, v2, -v6
	v_fmac_f32_e32 v7, v5, v2
	v_mov_b32_e32 v3, s5
	v_add_co_u32_e32 v2, vcc, s4, v10
	s_add_i32 s26, s26, 1
	s_addk_i32 s27, 0xc0
	v_addc_co_u32_e32 v3, vcc, v11, v3, vcc
	s_cmp_eq_u32 s26, s31
	buffer_store_dword v6, v8, s[0:3], 0 offen
	buffer_store_dword v7, v8, s[0:3], 0 offen offset:4
	global_store_dwordx2 v[2:3], v[6:7], off
	s_cbranch_scc1 .LBB159_41
.LBB159_63:                             ;   Parent Loop BB159_39 Depth=1
                                        ;     Parent Loop BB159_42 Depth=2
                                        ; =>    This Loop Header: Depth=3
                                        ;         Child Loop BB159_65 Depth 4
	s_cmp_lg_u32 s26, 0
	s_cbranch_scc0 .LBB159_67
; %bb.64:                               ;   in Loop: Header=BB159_63 Depth=3
	s_lshl_b32 s4, s26, 3
	v_add_u32_e32 v4, s4, v14
	buffer_load_dword v2, v4, s[0:3], 0 offen
	buffer_load_dword v3, v4, s[0:3], 0 offen offset:4
	v_mov_b32_e32 v5, 0
	s_mov_b32 s4, 0
	s_mov_b32 s5, s27
.LBB159_65:                             ;   Parent Loop BB159_39 Depth=1
                                        ;     Parent Loop BB159_42 Depth=2
                                        ;       Parent Loop BB159_63 Depth=3
                                        ; =>      This Inner Loop Header: Depth=4
	buffer_load_dword v7, v5, s[0:3], 0 offen offset:4
	buffer_load_dword v6, v5, s[0:3], 0 offen
	v_mov_b32_e32 v8, s5
	ds_read_b64 v[8:9], v8
	s_add_i32 s4, s4, 1
	s_add_i32 s5, s5, 8
	v_add_u32_e32 v5, 8, v5
	s_cmp_ge_u32 s4, s26
	s_waitcnt vmcnt(1)
	v_mov_b32_e32 v16, v7
	s_waitcnt lgkmcnt(0)
	v_pk_mul_f32 v[16:17], v[8:9], v[16:17] op_sel_hi:[1,0]
	s_waitcnt vmcnt(0)
	v_pk_fma_f32 v[18:19], v[8:9], v[6:7], v[16:17] op_sel:[0,0,1] op_sel_hi:[1,1,0] neg_lo:[0,0,1] neg_hi:[0,0,1]
	v_pk_fma_f32 v[6:7], v[8:9], v[6:7], v[16:17] op_sel:[0,0,1] op_sel_hi:[1,0,0]
	v_mov_b32_e32 v19, v7
	v_pk_add_f32 v[2:3], v[2:3], v[18:19] neg_lo:[0,1] neg_hi:[0,1]
	buffer_store_dword v2, v4, s[0:3], 0 offen
	buffer_store_dword v3, v4, s[0:3], 0 offen offset:4
	s_cbranch_scc0 .LBB159_65
; %bb.66:                               ;   in Loop: Header=BB159_63 Depth=3
	s_add_i32 s4, s26, s28
	s_branch .LBB159_62
.LBB159_67:                             ;   in Loop: Header=BB159_63 Depth=3
                                        ; implicit-def: $vgpr2
                                        ; implicit-def: $sgpr4
	s_cbranch_execz .LBB159_62
; %bb.68:                               ;   in Loop: Header=BB159_63 Depth=3
	buffer_load_dword v2, off, s[0:3], 0
	buffer_load_dword v3, off, s[0:3], 0 offset:4
	s_mov_b32 s4, s28
	s_branch .LBB159_62
.LBB159_69:
	s_mov_b64 s[4:5], 0
.LBB159_70:
	s_and_b64 vcc, exec, s[4:5]
	s_cbranch_vccz .LBB159_102
; %bb.71:
	s_add_u32 s4, s14, s10
	s_addc_u32 s5, s15, s11
	s_add_u32 s4, s4, s6
	s_addc_u32 s5, s5, s7
	v_mov_b32_e32 v2, s5
	v_add_co_u32_e32 v0, vcc, s4, v0
	v_addc_co_u32_e32 v1, vcc, v2, v1, vcc
	v_add_co_u32_e32 v8, vcc, 4, v0
	s_mul_i32 s26, s42, 0xc0
	s_mov_b32 s7, 0
	s_mov_b32 s8, s24
	;; [unrolled: 1-line block ×5, first 2 shown]
	v_addc_co_u32_e32 v9, vcc, 0, v1, vcc
	s_addk_i32 s26, 0xff40
	v_mov_b32_e32 v12, 0
	s_mov_b32 s10, s33
	s_mov_b32 s14, s7
	s_branch .LBB159_73
.LBB159_72:                             ;   in Loop: Header=BB159_73 Depth=1
	s_cmp_lt_i32 s10, 0
	s_cselect_b64 s[4:5], -1, 0
	s_add_i32 s14, s14, 1
	s_cmp_eq_u32 s14, 3
	s_cselect_b64 s[16:17], -1, 0
	s_or_b64 s[4:5], s[4:5], s[16:17]
	s_and_b64 vcc, exec, s[4:5]
	s_cbranch_vccnz .LBB159_102
.LBB159_73:                             ; =>This Loop Header: Depth=1
                                        ;     Child Loop BB159_76 Depth 2
                                        ;       Child Loop BB159_78 Depth 3
                                        ;       Child Loop BB159_82 Depth 3
	;; [unrolled: 1-line block ×3, first 2 shown]
                                        ;         Child Loop BB159_95 Depth 4
                                        ;         Child Loop BB159_101 Depth 4
                                        ;       Child Loop BB159_86 Depth 3
                                        ;         Child Loop BB159_88 Depth 4
	s_mov_b32 s15, s7
	s_lshl_b64 s[4:5], s[14:15], 2
	s_getpc_b64 s[16:17]
	s_add_u32 s16, s16, __const._ZL30rocblas_trsm_small_left_deviceILi24ELi24ELb0E19rocblas_complex_numIfES1_PKS1_PS1_Ev13rocblas_fill_18rocblas_operation_17rocblas_diagonal_iiT3_T4_lilT5_lili.step_sizes@rel32@lo+4
	s_addc_u32 s17, s17, __const._ZL30rocblas_trsm_small_left_deviceILi24ELi24ELb0E19rocblas_complex_numIfES1_PKS1_PS1_Ev13rocblas_fill_18rocblas_operation_17rocblas_diagonal_iiT3_T4_lilT5_lili.step_sizes@rel32@hi+12
	s_add_u32 s4, s4, s16
	s_addc_u32 s5, s5, s17
	s_load_dword s15, s[4:5], 0x0
	s_waitcnt lgkmcnt(0)
	s_add_i32 s27, s15, -1
	s_cmp_lt_i32 s10, s27
	s_cbranch_scc1 .LBB159_72
; %bb.74:                               ;   in Loop: Header=BB159_73 Depth=1
	s_max_i32 s28, s15, 1
	s_cmp_lg_u32 s14, 2
	s_cselect_b64 s[16:17], -1, 0
	s_and_b32 s29, s28, 0x7ffffffe
	s_cmp_lg_u32 s28, s29
	s_cselect_b64 s[18:19], -1, 0
	s_lshl_b32 s4, s10, 3
	s_add_i32 s30, s26, s4
	s_lshl_b32 s4, s15, 3
	s_sub_i32 s31, 0, s4
	s_mul_i32 s34, s10, 0xc8
	s_mul_i32 s35, s15, 0xffffff38
	s_branch .LBB159_76
.LBB159_75:                             ;   in Loop: Header=BB159_76 Depth=2
	s_sub_i32 s10, s10, s15
	s_add_i32 s30, s30, s31
	s_add_i32 s34, s34, s35
	s_cmp_lt_i32 s10, s27
	s_cbranch_scc1 .LBB159_72
.LBB159_76:                             ;   Parent Loop BB159_73 Depth=1
                                        ; =>  This Loop Header: Depth=2
                                        ;       Child Loop BB159_78 Depth 3
                                        ;       Child Loop BB159_82 Depth 3
	;; [unrolled: 1-line block ×3, first 2 shown]
                                        ;         Child Loop BB159_95 Depth 4
                                        ;         Child Loop BB159_101 Depth 4
                                        ;       Child Loop BB159_86 Depth 3
                                        ;         Child Loop BB159_88 Depth 4
	s_and_b64 vcc, exec, s[16:17]
	s_cbranch_vccz .LBB159_80
; %bb.77:                               ;   in Loop: Header=BB159_76 Depth=2
	v_mov_b32_e32 v0, 0
	s_mov_b32 s11, s10
	s_mov_b32 s20, 1
	;; [unrolled: 1-line block ×4, first 2 shown]
.LBB159_78:                             ;   Parent Loop BB159_73 Depth=1
                                        ;     Parent Loop BB159_76 Depth=2
                                        ; =>    This Inner Loop Header: Depth=3
	s_sub_i32 s4, s10, s21
	s_sub_i32 s36, s11, s20
	s_ashr_i32 s5, s4, 31
	s_ashr_i32 s37, s36, 31
	s_lshl_b64 s[4:5], s[4:5], 3
	s_lshl_b64 s[36:37], s[36:37], 3
	v_mov_b32_e32 v1, s5
	v_add_co_u32_e64 v4, s[4:5], s4, v10
	v_mov_b32_e32 v3, s37
	v_add_co_u32_e32 v2, vcc, s36, v10
	v_addc_co_u32_e64 v5, s[4:5], v11, v1, s[4:5]
	v_addc_co_u32_e32 v3, vcc, v11, v3, vcc
	global_load_dwordx2 v[6:7], v[4:5], off
	global_load_dwordx2 v[14:15], v[2:3], off
	s_add_i32 s21, s21, 2
	s_add_i32 s20, s20, 2
	s_add_i32 s22, s22, -2
	s_mov_b32 s6, s29
	s_mov_b64 s[4:5], s[18:19]
	s_cmp_lg_u32 s22, 0
	s_waitcnt vmcnt(1)
	v_mov_b32_e32 v2, v6
	s_waitcnt vmcnt(0)
	v_mov_b32_e32 v3, v14
	v_mov_b32_e32 v14, v7
	v_pk_mul_f32 v[4:5], v[14:15], s[12:13]
	v_pk_mul_f32 v[6:7], v[14:15], s[8:9]
	v_pk_fma_f32 v[4:5], v[2:3], s[8:9], v[4:5] neg_lo:[0,0,1] neg_hi:[0,0,1]
	v_pk_fma_f32 v[2:3], v[2:3], s[12:13], v[6:7]
	buffer_store_dword v2, v0, s[0:3], 0 offen offset:4
	buffer_store_dword v4, v0, s[0:3], 0 offen
	buffer_store_dword v3, v0, s[0:3], 0 offen offset:12
	buffer_store_dword v5, v0, s[0:3], 0 offen offset:8
	v_add_u32_e32 v0, 16, v0
	s_cbranch_scc1 .LBB159_78
; %bb.79:                               ;   in Loop: Header=BB159_76 Depth=2
	s_ashr_i32 s11, s10, 31
	s_and_b64 vcc, exec, s[4:5]
	s_cbranch_vccnz .LBB159_81
	s_branch .LBB159_83
.LBB159_80:                             ;   in Loop: Header=BB159_76 Depth=2
	s_mov_b32 s6, 0
	s_ashr_i32 s11, s10, 31
	s_cbranch_execz .LBB159_83
.LBB159_81:                             ;   in Loop: Header=BB159_76 Depth=2
	s_lshl_b64 s[20:21], s[10:11], 3
	s_sub_i32 s4, s28, s6
	s_lshl_b64 s[22:23], s[6:7], 3
	s_sub_u32 s5, s20, s22
	s_subb_u32 s20, s21, s23
	v_mov_b32_e32 v1, s20
	v_add_co_u32_e32 v0, vcc, s5, v8
	s_lshl_b32 s5, s6, 3
	v_addc_co_u32_e32 v1, vcc, v9, v1, vcc
	v_add_u32_e32 v2, s5, v12
.LBB159_82:                             ;   Parent Loop BB159_73 Depth=1
                                        ;     Parent Loop BB159_76 Depth=2
                                        ; =>    This Inner Loop Header: Depth=3
	global_load_dwordx2 v[4:5], v[0:1], off offset:-4
	s_add_i32 s4, s4, -1
	v_add_co_u32_e32 v0, vcc, -8, v0
	v_addc_co_u32_e32 v1, vcc, -1, v1, vcc
	s_cmp_eq_u32 s4, 0
	s_waitcnt vmcnt(0)
	v_mul_f32_e32 v3, s25, v5
	v_mul_f32_e32 v5, s24, v5
	v_fma_f32 v3, v4, s24, -v3
	v_fmac_f32_e32 v5, s25, v4
	buffer_store_dword v3, v2, s[0:3], 0 offen
	buffer_store_dword v5, v2, s[0:3], 0 offen offset:4
	v_add_u32_e32 v2, 8, v2
	s_cbranch_scc0 .LBB159_82
.LBB159_83:                             ;   in Loop: Header=BB159_76 Depth=2
	s_cmp_le_i32 s33, s10
	s_mov_b32 s6, s30
	s_mov_b32 s4, s33
	s_cbranch_scc0 .LBB159_93
.LBB159_84:                             ;   in Loop: Header=BB159_76 Depth=2
	s_mov_b32 s6, 0
	s_mov_b32 s36, s34
	s_branch .LBB159_86
.LBB159_85:                             ;   in Loop: Header=BB159_86 Depth=3
	s_mulk_i32 s20, 0xc8
	v_mov_b32_e32 v2, s20
	ds_read_b64 v[2:3], v2
	s_lshl_b64 s[4:5], s[4:5], 3
	s_lshl_b32 s20, s6, 3
	s_add_i32 s6, s6, 1
	s_add_i32 s36, s36, -8
	s_waitcnt vmcnt(0) lgkmcnt(0)
	v_mul_f32_e32 v4, v3, v1
	v_mul_f32_e32 v5, v2, v1
	v_fma_f32 v4, v2, v0, -v4
	v_fmac_f32_e32 v5, v3, v0
	v_mov_b32_e32 v1, s5
	v_add_co_u32_e32 v0, vcc, s4, v10
	v_add_u32_e32 v6, s20, v12
	v_addc_co_u32_e32 v1, vcc, v11, v1, vcc
	s_cmp_eq_u32 s6, s28
	buffer_store_dword v4, v6, s[0:3], 0 offen
	buffer_store_dword v5, v6, s[0:3], 0 offen offset:4
	global_store_dwordx2 v[0:1], v[4:5], off
	s_cbranch_scc1 .LBB159_75
.LBB159_86:                             ;   Parent Loop BB159_73 Depth=1
                                        ;     Parent Loop BB159_76 Depth=2
                                        ; =>    This Loop Header: Depth=3
                                        ;         Child Loop BB159_88 Depth 4
	s_cmp_lg_u32 s6, 0
	s_cbranch_scc0 .LBB159_90
; %bb.87:                               ;   in Loop: Header=BB159_86 Depth=3
	s_lshl_b32 s4, s6, 3
	v_add_u32_e32 v2, s4, v12
	buffer_load_dword v0, v2, s[0:3], 0 offen
	buffer_load_dword v1, v2, s[0:3], 0 offen offset:4
	v_mov_b32_e32 v3, 0
	s_mov_b32 s4, 0
	s_mov_b32 s5, s36
.LBB159_88:                             ;   Parent Loop BB159_73 Depth=1
                                        ;     Parent Loop BB159_76 Depth=2
                                        ;       Parent Loop BB159_86 Depth=3
                                        ; =>      This Inner Loop Header: Depth=4
	buffer_load_dword v5, v3, s[0:3], 0 offen offset:4
	buffer_load_dword v4, v3, s[0:3], 0 offen
	v_mov_b32_e32 v6, s5
	ds_read_b64 v[6:7], v6
	s_add_i32 s4, s4, 1
	s_addk_i32 s5, 0xff40
	v_add_u32_e32 v3, 8, v3
	s_cmp_ge_u32 s4, s6
	s_waitcnt vmcnt(1)
	v_mov_b32_e32 v14, v5
	s_waitcnt lgkmcnt(0)
	v_pk_mul_f32 v[14:15], v[6:7], v[14:15] op_sel_hi:[1,0]
	s_waitcnt vmcnt(0)
	v_pk_fma_f32 v[16:17], v[6:7], v[4:5], v[14:15] op_sel:[0,0,1] op_sel_hi:[1,1,0] neg_lo:[0,0,1] neg_hi:[0,0,1]
	v_pk_fma_f32 v[4:5], v[6:7], v[4:5], v[14:15] op_sel:[0,0,1] op_sel_hi:[1,0,0]
	v_mov_b32_e32 v17, v5
	v_pk_add_f32 v[0:1], v[0:1], v[16:17] neg_lo:[0,1] neg_hi:[0,1]
	buffer_store_dword v0, v2, s[0:3], 0 offen
	buffer_store_dword v1, v2, s[0:3], 0 offen offset:4
	s_cbranch_scc0 .LBB159_88
; %bb.89:                               ;   in Loop: Header=BB159_86 Depth=3
	s_sub_i32 s20, s10, s6
	s_ashr_i32 s21, s20, 31
	s_mov_b64 s[4:5], s[20:21]
	s_branch .LBB159_85
.LBB159_90:                             ;   in Loop: Header=BB159_86 Depth=3
                                        ; implicit-def: $vgpr0
                                        ; implicit-def: $sgpr20
                                        ; implicit-def: $sgpr4_sgpr5
	s_cbranch_execz .LBB159_85
; %bb.91:                               ;   in Loop: Header=BB159_86 Depth=3
	buffer_load_dword v0, off, s[0:3], 0
	buffer_load_dword v1, off, s[0:3], 0 offset:4
	s_mov_b64 s[4:5], s[10:11]
	s_mov_b32 s20, s10
	s_branch .LBB159_85
.LBB159_92:                             ;   in Loop: Header=BB159_93 Depth=3
	s_add_i32 s4, s4, -1
	s_addk_i32 s6, 0xff40
	s_cmp_le_i32 s4, s10
	s_cbranch_scc1 .LBB159_84
.LBB159_93:                             ;   Parent Loop BB159_73 Depth=1
                                        ;     Parent Loop BB159_76 Depth=2
                                        ; =>    This Loop Header: Depth=3
                                        ;         Child Loop BB159_95 Depth 4
                                        ;         Child Loop BB159_101 Depth 4
	s_ashr_i32 s5, s4, 31
	s_lshl_b64 s[20:21], s[4:5], 3
	s_waitcnt vmcnt(0)
	v_mov_b32_e32 v1, s21
	v_add_co_u32_e32 v0, vcc, s20, v10
	v_addc_co_u32_e32 v1, vcc, v11, v1, vcc
	global_load_dwordx2 v[0:1], v[0:1], off
	s_and_b64 vcc, exec, s[16:17]
	s_cbranch_vccz .LBB159_97
; %bb.94:                               ;   in Loop: Header=BB159_93 Depth=3
	s_mul_i32 s5, s4, 24
	s_add_i32 s5, s5, s10
	s_mov_b32 s20, s5
	s_waitcnt vmcnt(0)
	v_mov_b32_e32 v4, v0
	v_mov_b32_e32 v5, v0
	;; [unrolled: 1-line block ×6, first 2 shown]
	s_mov_b32 s21, 1
	s_mov_b32 s22, 0
	;; [unrolled: 1-line block ×3, first 2 shown]
.LBB159_95:                             ;   Parent Loop BB159_73 Depth=1
                                        ;     Parent Loop BB159_76 Depth=2
                                        ;       Parent Loop BB159_93 Depth=3
                                        ; =>      This Inner Loop Header: Depth=4
	buffer_load_dword v14, v3, s[0:3], 0 offen
	buffer_load_dword v16, v3, s[0:3], 0 offen offset:4
	buffer_load_dword v15, v3, s[0:3], 0 offen offset:8
	buffer_load_dword v17, v3, s[0:3], 0 offen offset:12
	s_sub_i32 s36, s20, s21
	s_sub_i32 s37, s5, s22
	s_lshl_b32 s37, s37, 3
	s_lshl_b32 s36, s36, 3
	v_mov_b32_e32 v13, s37
	v_mov_b32_e32 v20, s36
	ds_read_b64 v[18:19], v13
	ds_read_b64 v[20:21], v20
	s_add_i32 s22, s22, 2
	s_add_i32 s21, s21, 2
	s_add_i32 s23, s23, -2
	s_waitcnt lgkmcnt(1)
	v_mov_b32_e32 v22, v18
	s_waitcnt lgkmcnt(0)
	v_mov_b32_e32 v23, v20
	v_mov_b32_e32 v20, v19
	v_pk_mul_f32 v[18:19], v[20:21], v[6:7]
	v_pk_mul_f32 v[20:21], v[20:21], v[4:5]
	v_pk_fma_f32 v[18:19], v[22:23], v[4:5], v[18:19] neg_lo:[0,0,1] neg_hi:[0,0,1]
	v_pk_fma_f32 v[20:21], v[22:23], v[6:7], v[20:21]
	s_cmp_lg_u32 s23, 0
	s_waitcnt vmcnt(1)
	v_pk_add_f32 v[14:15], v[14:15], v[18:19] neg_lo:[0,1] neg_hi:[0,1]
	s_waitcnt vmcnt(0)
	v_pk_add_f32 v[16:17], v[16:17], v[20:21] neg_lo:[0,1] neg_hi:[0,1]
	buffer_store_dword v14, v3, s[0:3], 0 offen
	buffer_store_dword v16, v3, s[0:3], 0 offen offset:4
	buffer_store_dword v15, v3, s[0:3], 0 offen offset:8
	;; [unrolled: 1-line block ×3, first 2 shown]
	v_add_u32_e32 v3, 16, v3
	s_cbranch_scc1 .LBB159_95
; %bb.96:                               ;   in Loop: Header=BB159_93 Depth=3
	s_mov_b64 s[20:21], s[18:19]
	s_mov_b32 s22, s29
	s_branch .LBB159_99
.LBB159_97:                             ;   in Loop: Header=BB159_93 Depth=3
	s_mov_b64 s[20:21], 0
                                        ; implicit-def: $vgpr2_vgpr3
	s_mov_b32 s22, s29
	s_cbranch_execz .LBB159_99
; %bb.98:                               ;   in Loop: Header=BB159_93 Depth=3
	s_waitcnt vmcnt(0)
	v_mov_b32_e32 v2, v1
	s_mov_b64 s[20:21], -1
	s_mov_b32 s22, 0
.LBB159_99:                             ;   in Loop: Header=BB159_93 Depth=3
	s_andn2_b64 vcc, exec, s[20:21]
	s_cbranch_vccnz .LBB159_92
; %bb.100:                              ;   in Loop: Header=BB159_93 Depth=3
	s_lshl_b32 s21, s22, 3
	s_waitcnt vmcnt(0)
	v_mov_b32_e32 v3, v1
	v_mov_b32_e32 v1, v0
	s_sub_i32 s5, s6, s21
	s_sub_i32 s20, s28, s22
	v_add_u32_e32 v4, s21, v12
.LBB159_101:                            ;   Parent Loop BB159_73 Depth=1
                                        ;     Parent Loop BB159_76 Depth=2
                                        ;       Parent Loop BB159_93 Depth=3
                                        ; =>      This Inner Loop Header: Depth=4
	buffer_load_dword v6, v4, s[0:3], 0 offen
	buffer_load_dword v7, v4, s[0:3], 0 offen offset:4
	v_mov_b32_e32 v5, s5
	ds_read_b64 v[14:15], v5
	s_add_i32 s5, s5, -8
	s_add_i32 s20, s20, -1
	s_cmp_eq_u32 s20, 0
	s_waitcnt lgkmcnt(0)
	v_pk_mul_f32 v[16:17], v[14:15], v[2:3]
	v_pk_fma_f32 v[18:19], v[14:15], v[0:1], v[16:17] op_sel:[0,0,1] op_sel_hi:[1,1,0] neg_lo:[0,0,1] neg_hi:[0,0,1]
	v_pk_fma_f32 v[14:15], v[14:15], v[0:1], v[16:17] op_sel:[0,0,1] op_sel_hi:[1,1,0]
	v_mov_b32_e32 v19, v15
	s_waitcnt vmcnt(0)
	v_pk_add_f32 v[6:7], v[6:7], v[18:19] neg_lo:[0,1] neg_hi:[0,1]
	buffer_store_dword v6, v4, s[0:3], 0 offen
	buffer_store_dword v7, v4, s[0:3], 0 offen offset:4
	v_add_u32_e32 v4, 8, v4
	s_cbranch_scc0 .LBB159_101
	s_branch .LBB159_92
.LBB159_102:
	s_endpgm
	.section	.rodata,"a",@progbits
	.p2align	6, 0x0
	.amdhsa_kernel _ZL30rocblas_trsm_small_left_deviceILi24ELi24ELb0E19rocblas_complex_numIfES1_PKS1_PS1_Ev13rocblas_fill_18rocblas_operation_17rocblas_diagonal_iiT3_T4_lilT5_lili
		.amdhsa_group_segment_fixed_size 4608
		.amdhsa_private_segment_fixed_size 208
		.amdhsa_kernarg_size 360
		.amdhsa_user_sgpr_count 8
		.amdhsa_user_sgpr_private_segment_buffer 1
		.amdhsa_user_sgpr_dispatch_ptr 0
		.amdhsa_user_sgpr_queue_ptr 0
		.amdhsa_user_sgpr_kernarg_segment_ptr 1
		.amdhsa_user_sgpr_dispatch_id 0
		.amdhsa_user_sgpr_flat_scratch_init 1
		.amdhsa_user_sgpr_kernarg_preload_length 0
		.amdhsa_user_sgpr_kernarg_preload_offset 0
		.amdhsa_user_sgpr_private_segment_size 0
		.amdhsa_uses_dynamic_stack 0
		.amdhsa_system_sgpr_private_segment_wavefront_offset 1
		.amdhsa_system_sgpr_workgroup_id_x 1
		.amdhsa_system_sgpr_workgroup_id_y 0
		.amdhsa_system_sgpr_workgroup_id_z 1
		.amdhsa_system_sgpr_workgroup_info 0
		.amdhsa_system_vgpr_workitem_id 0
		.amdhsa_next_free_vgpr 26
		.amdhsa_next_free_sgpr 46
		.amdhsa_accum_offset 28
		.amdhsa_reserve_vcc 1
		.amdhsa_reserve_flat_scratch 0
		.amdhsa_float_round_mode_32 0
		.amdhsa_float_round_mode_16_64 0
		.amdhsa_float_denorm_mode_32 3
		.amdhsa_float_denorm_mode_16_64 3
		.amdhsa_dx10_clamp 1
		.amdhsa_ieee_mode 1
		.amdhsa_fp16_overflow 0
		.amdhsa_tg_split 0
		.amdhsa_exception_fp_ieee_invalid_op 0
		.amdhsa_exception_fp_denorm_src 0
		.amdhsa_exception_fp_ieee_div_zero 0
		.amdhsa_exception_fp_ieee_overflow 0
		.amdhsa_exception_fp_ieee_underflow 0
		.amdhsa_exception_fp_ieee_inexact 0
		.amdhsa_exception_int_div_zero 0
	.end_amdhsa_kernel
	.section	.text._ZL30rocblas_trsm_small_left_deviceILi24ELi24ELb0E19rocblas_complex_numIfES1_PKS1_PS1_Ev13rocblas_fill_18rocblas_operation_17rocblas_diagonal_iiT3_T4_lilT5_lili,"axG",@progbits,_ZL30rocblas_trsm_small_left_deviceILi24ELi24ELb0E19rocblas_complex_numIfES1_PKS1_PS1_Ev13rocblas_fill_18rocblas_operation_17rocblas_diagonal_iiT3_T4_lilT5_lili,comdat
.Lfunc_end159:
	.size	_ZL30rocblas_trsm_small_left_deviceILi24ELi24ELb0E19rocblas_complex_numIfES1_PKS1_PS1_Ev13rocblas_fill_18rocblas_operation_17rocblas_diagonal_iiT3_T4_lilT5_lili, .Lfunc_end159-_ZL30rocblas_trsm_small_left_deviceILi24ELi24ELb0E19rocblas_complex_numIfES1_PKS1_PS1_Ev13rocblas_fill_18rocblas_operation_17rocblas_diagonal_iiT3_T4_lilT5_lili
                                        ; -- End function
	.section	.AMDGPU.csdata,"",@progbits
; Kernel info:
; codeLenInByte = 4352
; NumSgprs: 50
; NumVgprs: 26
; NumAgprs: 0
; TotalNumVgprs: 26
; ScratchSize: 208
; MemoryBound: 0
; FloatMode: 240
; IeeeMode: 1
; LDSByteSize: 4608 bytes/workgroup (compile time only)
; SGPRBlocks: 6
; VGPRBlocks: 3
; NumSGPRsForWavesPerEU: 50
; NumVGPRsForWavesPerEU: 26
; AccumOffset: 28
; Occupancy: 4
; WaveLimiterHint : 0
; COMPUTE_PGM_RSRC2:SCRATCH_EN: 1
; COMPUTE_PGM_RSRC2:USER_SGPR: 8
; COMPUTE_PGM_RSRC2:TRAP_HANDLER: 0
; COMPUTE_PGM_RSRC2:TGID_X_EN: 1
; COMPUTE_PGM_RSRC2:TGID_Y_EN: 0
; COMPUTE_PGM_RSRC2:TGID_Z_EN: 1
; COMPUTE_PGM_RSRC2:TIDIG_COMP_CNT: 0
; COMPUTE_PGM_RSRC3_GFX90A:ACCUM_OFFSET: 6
; COMPUTE_PGM_RSRC3_GFX90A:TG_SPLIT: 0
	.section	.text._ZL38rocblas_trsm_small_left_device_sharedBILi24ELi24ELb1E19rocblas_complex_numIfES1_PKS1_PS1_Ev13rocblas_fill_18rocblas_operation_17rocblas_diagonal_iiT3_T4_lilT5_lili,"axG",@progbits,_ZL38rocblas_trsm_small_left_device_sharedBILi24ELi24ELb1E19rocblas_complex_numIfES1_PKS1_PS1_Ev13rocblas_fill_18rocblas_operation_17rocblas_diagonal_iiT3_T4_lilT5_lili,comdat
	.globl	_ZL38rocblas_trsm_small_left_device_sharedBILi24ELi24ELb1E19rocblas_complex_numIfES1_PKS1_PS1_Ev13rocblas_fill_18rocblas_operation_17rocblas_diagonal_iiT3_T4_lilT5_lili ; -- Begin function _ZL38rocblas_trsm_small_left_device_sharedBILi24ELi24ELb1E19rocblas_complex_numIfES1_PKS1_PS1_Ev13rocblas_fill_18rocblas_operation_17rocblas_diagonal_iiT3_T4_lilT5_lili
	.p2align	8
	.type	_ZL38rocblas_trsm_small_left_device_sharedBILi24ELi24ELb1E19rocblas_complex_numIfES1_PKS1_PS1_Ev13rocblas_fill_18rocblas_operation_17rocblas_diagonal_iiT3_T4_lilT5_lili,@function
_ZL38rocblas_trsm_small_left_device_sharedBILi24ELi24ELb1E19rocblas_complex_numIfES1_PKS1_PS1_Ev13rocblas_fill_18rocblas_operation_17rocblas_diagonal_iiT3_T4_lilT5_lili: ; @_ZL38rocblas_trsm_small_left_device_sharedBILi24ELi24ELb1E19rocblas_complex_numIfES1_PKS1_PS1_Ev13rocblas_fill_18rocblas_operation_17rocblas_diagonal_iiT3_T4_lilT5_lili
; %bb.0:
	s_add_u32 s0, s0, s10
	s_load_dwordx4 s[20:23], s[4:5], 0x4
	s_load_dwordx2 s[30:31], s[4:5], 0x14
	s_load_dwordx4 s[16:19], s[4:5], 0x38
	s_load_dwordx2 s[24:25], s[4:5], 0x48
	s_load_dword s42, s[4:5], 0x68
	s_addc_u32 s1, s1, 0
	s_waitcnt lgkmcnt(0)
	s_min_i32 s33, s22, 24
	s_mov_b32 s43, 0
	s_add_i32 s45, s33, -1
	v_cmp_gt_i32_e32 vcc, s33, v0
	s_and_saveexec_b64 s[26:27], vcc
	s_cbranch_execz .LBB160_35
; %bb.1:
	s_load_dword s28, s[4:5], 0x30
	s_load_dwordx4 s[12:15], s[4:5], 0x20
	s_mul_i32 s6, s9, s17
	s_mul_hi_u32 s7, s9, s16
	s_mul_i32 s16, s9, s16
	s_waitcnt lgkmcnt(0)
	s_ashr_i32 s29, s28, 31
	s_cmpk_lg_i32 s20, 0x71
	s_cselect_b64 s[34:35], -1, 0
	s_add_i32 s17, s7, s6
	v_cndmask_b32_e64 v1, 0, 1, s[34:35]
	s_cmp_lt_u32 s45, 3
	v_cmp_ne_u32_e64 s[6:7], 1, v1
	s_cbranch_scc1 .LBB160_20
; %bb.2:
	s_lshl_b64 s[10:11], s[16:17], 3
	s_add_u32 s36, s12, s10
	s_addc_u32 s37, s13, s11
	s_lshl_b64 s[10:11], s[14:15], 3
	s_add_u32 s10, s36, s10
	s_addc_u32 s11, s37, s11
	v_lshlrev_b32_e32 v1, 3, v0
	v_mov_b32_e32 v3, s11
	v_add_co_u32_e32 v2, vcc, s10, v1
	s_mul_hi_i32 s10, s28, 24
	s_lshl_b64 s[36:37], s[28:29], 5
	s_lshl_b64 s[38:39], s[28:29], 4
	;; [unrolled: 1-line block ×3, first 2 shown]
	v_addc_co_u32_e32 v3, vcc, 0, v3, vcc
	s_and_b32 s43, s33, -4
	s_mul_i32 s44, s28, 24
	s_mov_b32 s46, 0
	v_mov_b32_e32 v8, s41
	v_mov_b32_e32 v9, s39
	;; [unrolled: 1-line block ×4, first 2 shown]
	s_branch .LBB160_4
.LBB160_3:                              ;   in Loop: Header=BB160_4 Depth=1
	global_load_dword v4, v[6:7], off
	s_add_i32 s46, s46, 4
	v_add_co_u32_e32 v2, vcc, s36, v2
	v_addc_co_u32_e32 v3, vcc, v3, v11, vcc
	s_cmp_eq_u32 s43, s46
	s_waitcnt vmcnt(0)
	ds_write_b64 v1, v[4:5] offset:576
	v_add_u32_e32 v1, 0x300, v1
	s_cbranch_scc1 .LBB160_20
.LBB160_4:                              ; =>This Inner Loop Header: Depth=1
	s_and_b64 vcc, exec, s[34:35]
	s_cbranch_vccz .LBB160_6
; %bb.5:                                ;   in Loop: Header=BB160_4 Depth=1
	global_load_dword v5, v[2:3], off offset:4
	s_cbranch_execz .LBB160_7
	s_branch .LBB160_8
.LBB160_6:                              ;   in Loop: Header=BB160_4 Depth=1
                                        ; implicit-def: $vgpr5
.LBB160_7:                              ;   in Loop: Header=BB160_4 Depth=1
	global_load_dword v4, v[2:3], off offset:4
	s_waitcnt vmcnt(0)
	v_xor_b32_e32 v5, 0x80000000, v4
.LBB160_8:                              ;   in Loop: Header=BB160_4 Depth=1
	global_load_dword v4, v[2:3], off
	v_add_co_u32_e64 v6, s[10:11], s40, v2
	s_and_b64 vcc, exec, s[6:7]
	v_addc_co_u32_e64 v7, s[10:11], v3, v8, s[10:11]
	s_waitcnt vmcnt(0)
	ds_write_b64 v1, v[4:5]
	s_cbranch_vccnz .LBB160_10
; %bb.9:                                ;   in Loop: Header=BB160_4 Depth=1
	global_load_dword v5, v[6:7], off offset:4
	s_cbranch_execz .LBB160_11
	s_branch .LBB160_12
.LBB160_10:                             ;   in Loop: Header=BB160_4 Depth=1
                                        ; implicit-def: $vgpr5
.LBB160_11:                             ;   in Loop: Header=BB160_4 Depth=1
	global_load_dword v4, v[6:7], off offset:4
	s_waitcnt vmcnt(0)
	v_xor_b32_e32 v5, 0x80000000, v4
.LBB160_12:                             ;   in Loop: Header=BB160_4 Depth=1
	global_load_dword v4, v[6:7], off
	v_add_co_u32_e64 v6, s[10:11], s38, v2
	s_and_b64 vcc, exec, s[6:7]
	v_addc_co_u32_e64 v7, s[10:11], v3, v9, s[10:11]
	s_waitcnt vmcnt(0)
	ds_write_b64 v1, v[4:5] offset:192
	s_cbranch_vccnz .LBB160_14
; %bb.13:                               ;   in Loop: Header=BB160_4 Depth=1
	global_load_dword v5, v[6:7], off offset:4
	s_cbranch_execz .LBB160_15
	s_branch .LBB160_16
.LBB160_14:                             ;   in Loop: Header=BB160_4 Depth=1
                                        ; implicit-def: $vgpr5
.LBB160_15:                             ;   in Loop: Header=BB160_4 Depth=1
	global_load_dword v4, v[6:7], off offset:4
	s_waitcnt vmcnt(0)
	v_xor_b32_e32 v5, 0x80000000, v4
.LBB160_16:                             ;   in Loop: Header=BB160_4 Depth=1
	global_load_dword v4, v[6:7], off
	v_add_co_u32_e64 v6, s[10:11], s44, v2
	s_and_b64 vcc, exec, s[6:7]
	v_addc_co_u32_e64 v7, s[10:11], v3, v10, s[10:11]
	s_waitcnt vmcnt(0)
	ds_write_b64 v1, v[4:5] offset:384
	s_cbranch_vccnz .LBB160_18
; %bb.17:                               ;   in Loop: Header=BB160_4 Depth=1
	global_load_dword v5, v[6:7], off offset:4
	s_cbranch_execnz .LBB160_3
	s_branch .LBB160_19
.LBB160_18:                             ;   in Loop: Header=BB160_4 Depth=1
                                        ; implicit-def: $vgpr5
.LBB160_19:                             ;   in Loop: Header=BB160_4 Depth=1
	global_load_dword v4, v[6:7], off offset:4
	s_waitcnt vmcnt(0)
	v_xor_b32_e32 v5, 0x80000000, v4
	s_branch .LBB160_3
.LBB160_20:
	s_and_b32 s34, s33, 3
	s_cmp_eq_u32 s34, 0
	s_cbranch_scc1 .LBB160_27
; %bb.21:
	s_mul_i32 s10, s43, 0xc0
	v_lshl_add_u32 v1, v0, 3, s10
	s_lshl_b64 s[10:11], s[16:17], 3
	s_mul_i32 s16, s29, s43
	s_mul_hi_u32 s17, s28, s43
	s_add_i32 s17, s17, s16
	s_mul_i32 s16, s28, s43
	s_lshl_b64 s[16:17], s[16:17], 3
	s_add_u32 s16, s10, s16
	s_addc_u32 s17, s11, s17
	s_lshl_b64 s[10:11], s[14:15], 3
	s_add_u32 s10, s16, s10
	s_addc_u32 s11, s17, s11
	s_add_u32 s10, s12, s10
	v_lshlrev_b32_e32 v2, 3, v0
	s_addc_u32 s11, s13, s11
	v_mov_b32_e32 v3, s11
	v_add_co_u32_e32 v2, vcc, s10, v2
	v_addc_co_u32_e32 v3, vcc, 0, v3, vcc
	v_add_co_u32_e32 v2, vcc, 4, v2
	s_lshl_b64 s[10:11], s[28:29], 3
	v_addc_co_u32_e32 v3, vcc, 0, v3, vcc
	v_mov_b32_e32 v6, s11
	s_branch .LBB160_23
.LBB160_22:                             ;   in Loop: Header=BB160_23 Depth=1
	global_load_dword v4, v[2:3], off offset:-4
	s_add_i32 s34, s34, -1
	v_add_co_u32_e32 v2, vcc, s10, v2
	s_cmp_lg_u32 s34, 0
	v_addc_co_u32_e32 v3, vcc, v3, v6, vcc
	s_waitcnt vmcnt(0)
	ds_write_b64 v1, v[4:5]
	v_add_u32_e32 v1, 0xc0, v1
	s_cbranch_scc0 .LBB160_27
.LBB160_23:                             ; =>This Inner Loop Header: Depth=1
	s_and_b64 vcc, exec, s[6:7]
	s_cbranch_vccnz .LBB160_25
; %bb.24:                               ;   in Loop: Header=BB160_23 Depth=1
	global_load_dword v5, v[2:3], off
	s_cbranch_execnz .LBB160_22
	s_branch .LBB160_26
.LBB160_25:                             ;   in Loop: Header=BB160_23 Depth=1
                                        ; implicit-def: $vgpr5
.LBB160_26:                             ;   in Loop: Header=BB160_23 Depth=1
	global_load_dword v4, v[2:3], off
	s_waitcnt vmcnt(0)
	v_xor_b32_e32 v5, 0x80000000, v4
	s_branch .LBB160_22
.LBB160_27:
	v_mul_u32_u24_e32 v1, 25, v0
	s_cmpk_lg_i32 s21, 0x84
	v_lshlrev_b32_e32 v1, 3, v1
	s_mov_b64 s[6:7], -1
	s_cbranch_scc0 .LBB160_33
; %bb.28:
	ds_read_b64 v[2:3], v1
	s_mov_b32 s6, 0
	s_waitcnt lgkmcnt(0)
	v_cmp_gt_f32_e32 vcc, 0, v3
	v_cndmask_b32_e64 v4, v3, -v3, vcc
	v_cmp_gt_f32_e32 vcc, 0, v2
	v_cndmask_b32_e64 v5, v2, -v2, vcc
	v_cmp_ngt_f32_e32 vcc, v5, v4
                                        ; implicit-def: $vgpr4_vgpr5
	s_and_saveexec_b64 s[10:11], vcc
	s_xor_b64 s[10:11], exec, s[10:11]
	s_cbranch_execz .LBB160_30
; %bb.29:
	v_div_scale_f32 v4, s[12:13], v3, v3, v2
	v_rcp_f32_e32 v5, v4
	v_div_scale_f32 v6, vcc, v2, v3, v2
	s_mov_b32 s7, -1.0
	v_fma_f32 v7, -v4, v5, 1.0
	v_fmac_f32_e32 v5, v7, v5
	v_mul_f32_e32 v7, v6, v5
	v_fma_f32 v8, -v4, v7, v6
	v_fmac_f32_e32 v7, v8, v5
	v_fma_f32 v4, -v4, v7, v6
	v_div_fmas_f32 v4, v4, v5, v7
	v_div_fixup_f32 v4, v4, v3, v2
	v_fmac_f32_e32 v3, v2, v4
	v_div_scale_f32 v2, s[12:13], v3, v3, 1.0
	v_rcp_f32_e32 v5, v2
	v_fma_f32 v6, -v2, v5, 1.0
	v_fmac_f32_e32 v5, v6, v5
	v_div_scale_f32 v6, vcc, 1.0, v3, 1.0
	v_mul_f32_e32 v7, v6, v5
	v_fma_f32 v8, -v2, v7, v6
	v_fmac_f32_e32 v7, v8, v5
	v_fma_f32 v2, -v2, v7, v6
	v_div_fmas_f32 v2, v2, v5, v7
	v_mul_f32_e32 v5, 0, v4
	v_div_fixup_f32 v2, v2, v3, 1.0
	v_pk_add_f32 v[4:5], v[4:5], s[6:7]
	v_pk_mul_f32 v[4:5], v[4:5], v[2:3] op_sel_hi:[1,0]
                                        ; implicit-def: $vgpr2_vgpr3
.LBB160_30:
	s_andn2_saveexec_b64 s[6:7], s[10:11]
	s_cbranch_execz .LBB160_32
; %bb.31:
	v_div_scale_f32 v4, s[10:11], v2, v2, v3
	v_rcp_f32_e32 v5, v4
	v_div_scale_f32 v6, vcc, v3, v2, v3
	v_fma_f32 v7, -v4, v5, 1.0
	v_fmac_f32_e32 v5, v7, v5
	v_mul_f32_e32 v7, v6, v5
	v_fma_f32 v8, -v4, v7, v6
	v_fmac_f32_e32 v7, v8, v5
	v_fma_f32 v4, -v4, v7, v6
	v_div_fmas_f32 v4, v4, v5, v7
	v_div_fixup_f32 v5, v4, v2, v3
	v_fmac_f32_e32 v2, v3, v5
	v_div_scale_f32 v3, s[10:11], v2, v2, 1.0
	v_rcp_f32_e32 v4, v3
	s_mov_b32 s10, 1.0
	s_mov_b32 s11, 0
	v_fma_f32 v6, -v3, v4, 1.0
	v_fmac_f32_e32 v4, v6, v4
	v_div_scale_f32 v6, vcc, 1.0, v2, 1.0
	v_mul_f32_e32 v7, v6, v4
	v_fma_f32 v8, -v3, v7, v6
	v_fmac_f32_e32 v7, v8, v4
	v_fma_f32 v3, -v3, v7, v6
	v_div_fmas_f32 v3, v3, v4, v7
	v_mul_f32_e32 v4, 0, v5
	v_pk_add_f32 v[6:7], v[4:5], s[10:11]
	v_pk_add_f32 v[4:5], v[4:5], s[10:11] neg_lo:[1,0] neg_hi:[1,0]
	v_div_fixup_f32 v2, v3, v2, 1.0
	v_mov_b32_e32 v7, v5
	v_pk_mul_f32 v[4:5], v[6:7], v[2:3] op_sel_hi:[1,0]
.LBB160_32:
	s_or_b64 exec, exec, s[6:7]
	s_mov_b64 s[6:7], 0
	ds_write_b64 v1, v[4:5]
.LBB160_33:
	s_and_b64 vcc, exec, s[6:7]
	s_cbranch_vccz .LBB160_35
; %bb.34:
	v_mov_b32_e32 v2, 1.0
	v_mov_b32_e32 v3, 0
	ds_write_b64 v1, v[2:3]
.LBB160_35:
	s_or_b64 exec, exec, s[26:27]
	s_load_dword s21, s[4:5], 0x50
	s_load_dwordx2 s[6:7], s[4:5], 0x58
	s_mul_i32 s26, s8, 24
	s_waitcnt lgkmcnt(0)
	s_ashr_i32 s44, s21, 31
	s_mul_i32 s5, s9, s7
	s_mul_hi_u32 s7, s9, s6
	s_mul_i32 s4, s9, s6
	s_add_i32 s5, s7, s5
	s_lshl_b64 s[16:17], s[4:5], 3
	s_add_u32 s4, s18, s16
	s_addc_u32 s5, s19, s17
	s_lshl_b64 s[24:25], s[24:25], 3
	s_add_u32 s6, s4, s24
	s_mul_i32 s4, s8, 0xffffffe8
	s_addc_u32 s7, s5, s25
	s_add_i32 s42, s42, -1
	s_add_i32 s4, s4, s23
	s_cmp_ge_u32 s8, s42
	s_cselect_b32 s9, s4, 24
	s_mul_hi_i32 s5, s21, s26
	s_mul_i32 s4, s21, s26
	s_ashr_i32 s27, s26, 31
	s_lshl_b64 s[4:5], s[4:5], 3
	s_add_u32 s23, s6, s4
	s_addc_u32 s46, s7, s5
	s_cmp_gt_i32 s22, 0
	v_cmp_gt_i32_e32 vcc, s9, v0
	s_cselect_b64 s[4:5], -1, 0
	s_mov_b32 s6, 0
	s_and_b64 s[28:29], vcc, s[4:5]
	s_and_saveexec_b64 s[34:35], s[28:29]
	s_cbranch_execz .LBB160_48
; %bb.36:
	s_cmp_lt_i32 s22, 2
	s_mov_b64 s[4:5], -1
	s_cbranch_scc1 .LBB160_45
; %bb.37:
	v_mad_i64_i32 v[2:3], s[4:5], s21, v0, 0
	s_add_i32 s5, s33, -2
	v_lshlrev_b64 v[2:3], 3, v[2:3]
	s_lshr_b32 s47, s5, 1
	v_mov_b32_e32 v4, s46
	v_add_co_u32_e32 v1, vcc, s23, v2
	s_mov_b32 s40, 1
	s_add_i32 s47, s47, 1
	s_mov_b32 s43, 0
	v_addc_co_u32_e32 v2, vcc, v4, v3, vcc
	s_mov_b32 s36, s30
	s_mov_b32 s37, s30
	;; [unrolled: 1-line block ×5, first 2 shown]
	s_cmp_lt_u32 s5, 6
	s_mov_b32 s5, s40
	s_cbranch_scc1 .LBB160_41
; %bb.38:
	s_and_b32 s48, s47, -4
	s_mov_b32 s42, s43
.LBB160_39:                             ; =>This Inner Loop Header: Depth=1
	s_lshl_b64 s[4:5], s[42:43], 3
	s_mov_b32 s41, s43
	s_add_i32 s6, s40, 2
	s_add_i32 s8, s42, 2
	s_mov_b32 s9, s43
	s_mov_b32 s7, s43
	s_add_i32 s10, s40, 4
	s_add_i32 s12, s42, 4
	s_mov_b32 s13, s43
	;; [unrolled: 4-line block ×3, first 2 shown]
	s_mov_b32 s15, s43
	v_mov_b32_e32 v3, s5
	v_add_co_u32_e32 v4, vcc, s4, v1
	s_lshl_b64 s[52:53], s[40:41], 3
	s_lshl_b64 s[8:9], s[8:9], 3
	;; [unrolled: 1-line block ×7, first 2 shown]
	v_addc_co_u32_e32 v5, vcc, v2, v3, vcc
	v_mov_b32_e32 v3, s53
	v_mov_b32_e32 v7, s9
	v_add_co_u32_e32 v6, vcc, s8, v1
	v_mov_b32_e32 v9, s7
	v_add_co_u32_e64 v8, s[4:5], s6, v1
	v_mov_b32_e32 v11, s13
	v_add_co_u32_e64 v10, s[6:7], s12, v1
	;; [unrolled: 2-line block ×5, first 2 shown]
	v_add_co_u32_e64 v18, s[14:15], s52, v1
	v_addc_co_u32_e64 v19, s[14:15], v2, v3, s[14:15]
	v_addc_co_u32_e32 v7, vcc, v2, v7, vcc
	v_addc_co_u32_e64 v9, vcc, v2, v9, s[4:5]
	v_addc_co_u32_e64 v11, vcc, v2, v11, s[6:7]
	;; [unrolled: 1-line block ×5, first 2 shown]
	global_load_dwordx2 v[20:21], v[4:5], off
	global_load_dwordx2 v[22:23], v[18:19], off
	;; [unrolled: 1-line block ×8, first 2 shown]
	s_mul_i32 s4, s40, 24
	s_mul_i32 s5, s42, 24
	s_add_i32 s42, s42, 8
	s_add_i32 s48, s48, -4
	v_add_lshl_u32 v3, s5, v0, 3
	v_add_lshl_u32 v36, s4, v0, 3
	s_add_i32 s6, s4, 48
	s_add_i32 s7, s5, 48
	;; [unrolled: 1-line block ×4, first 2 shown]
	s_addk_i32 s4, 0x90
	s_addk_i32 s5, 0x90
	s_add_i32 s40, s40, 8
	s_cmp_lg_u32 s48, 0
	v_add_lshl_u32 v37, s7, v0, 3
	v_add_lshl_u32 v38, s6, v0, 3
	;; [unrolled: 1-line block ×6, first 2 shown]
	s_waitcnt vmcnt(7)
	v_mov_b32_e32 v4, v20
	s_waitcnt vmcnt(6)
	v_mov_b32_e32 v5, v22
	v_mov_b32_e32 v22, v21
	s_waitcnt vmcnt(4)
	v_mov_b32_e32 v7, v26
	;; [unrolled: 3-line block ×4, first 2 shown]
	v_mov_b32_e32 v34, v33
	v_pk_mul_f32 v[12:13], s[38:39], v[22:23]
	v_pk_mul_f32 v[14:15], s[36:37], v[22:23]
	v_mov_b32_e32 v6, v24
	v_mov_b32_e32 v8, v28
	;; [unrolled: 1-line block ×3, first 2 shown]
	v_pk_mul_f32 v[16:17], s[38:39], v[26:27]
	v_pk_mul_f32 v[18:19], s[36:37], v[26:27]
	;; [unrolled: 1-line block ×6, first 2 shown]
	v_pk_fma_f32 v[12:13], s[36:37], v[4:5], v[12:13] neg_lo:[0,0,1] neg_hi:[0,0,1]
	v_pk_fma_f32 v[4:5], s[38:39], v[4:5], v[14:15]
	v_pk_fma_f32 v[14:15], s[36:37], v[6:7], v[16:17] neg_lo:[0,0,1] neg_hi:[0,0,1]
	v_pk_fma_f32 v[6:7], s[38:39], v[6:7], v[18:19]
	;; [unrolled: 2-line block ×4, first 2 shown]
	v_mov_b32_e32 v20, v12
	v_mov_b32_e32 v21, v4
	;; [unrolled: 1-line block ×12, first 2 shown]
	ds_write_b64 v3, v[20:21] offset:4608
	ds_write_b64 v36, v[4:5] offset:4608
	;; [unrolled: 1-line block ×8, first 2 shown]
	s_cbranch_scc1 .LBB160_39
; %bb.40:
	s_mov_b32 s43, s40
	s_mov_b64 s[4:5], s[42:43]
.LBB160_41:
	s_and_b32 s6, s47, 3
	s_cmp_eq_u32 s6, 0
	s_mov_b32 s7, 0
	s_cbranch_scc1 .LBB160_44
; %bb.42:
	s_sub_i32 s6, 0, s6
	v_mov_b32_e32 v3, s6
.LBB160_43:                             ; =>This Inner Loop Header: Depth=1
	s_mov_b32 s6, s4
	s_lshl_b64 s[8:9], s[6:7], 3
	s_mov_b32 s6, s5
	v_mov_b32_e32 v5, s9
	v_add_co_u32_e32 v4, vcc, s8, v1
	s_lshl_b64 s[10:11], s[6:7], 3
	v_addc_co_u32_e32 v5, vcc, v2, v5, vcc
	v_mov_b32_e32 v7, s11
	v_add_co_u32_e32 v6, vcc, s10, v1
	v_addc_co_u32_e32 v7, vcc, v2, v7, vcc
	global_load_dwordx2 v[8:9], v[4:5], off
	global_load_dwordx2 v[10:11], v[6:7], off
	s_mul_i32 s8, s4, 24
	v_add_co_u32_e32 v3, vcc, 1, v3
	s_mul_i32 s6, s5, 24
	s_add_i32 s4, s4, 2
	v_add_lshl_u32 v12, s8, v0, 3
	s_add_i32 s5, s5, 2
	s_andn2_b64 vcc, exec, vcc
	v_add_lshl_u32 v13, s6, v0, 3
	s_waitcnt vmcnt(1)
	v_mov_b32_e32 v4, v8
	s_waitcnt vmcnt(0)
	v_mov_b32_e32 v5, v10
	v_mov_b32_e32 v10, v9
	v_pk_mul_f32 v[6:7], s[38:39], v[10:11]
	v_pk_mul_f32 v[8:9], s[36:37], v[10:11]
	v_pk_fma_f32 v[6:7], s[36:37], v[4:5], v[6:7] neg_lo:[0,0,1] neg_hi:[0,0,1]
	v_pk_fma_f32 v[4:5], s[38:39], v[4:5], v[8:9]
	v_mov_b32_e32 v8, v6
	v_mov_b32_e32 v9, v4
	;; [unrolled: 1-line block ×3, first 2 shown]
	ds_write_b64 v12, v[8:9] offset:4608
	ds_write_b64 v13, v[4:5] offset:4608
	s_cbranch_vccnz .LBB160_43
.LBB160_44:
	s_and_b32 s6, s33, 30
	s_cmp_lg_u32 s33, s6
	s_cselect_b64 s[4:5], -1, 0
.LBB160_45:
	s_and_b64 vcc, exec, s[4:5]
	s_cbranch_vccz .LBB160_48
; %bb.46:
	s_mul_i32 s5, s6, 0xc0
	s_sub_i32 s4, s33, s6
	v_lshl_add_u32 v1, v0, 3, s5
	s_lshl_b64 s[8:9], s[26:27], 3
	s_lshl_b32 s5, s6, 3
	s_add_u32 s5, s18, s5
	s_addc_u32 s6, s19, 0
	s_add_u32 s5, s5, s24
	s_addc_u32 s7, s6, s25
	v_lshlrev_b32_e32 v2, 3, v0
	s_add_u32 s6, s5, s16
	v_mov_b32_e32 v3, s9
	v_add_co_u32_e32 v4, vcc, s8, v2
	s_addc_u32 s7, s7, s17
	v_addc_co_u32_e32 v5, vcc, 0, v3, vcc
	v_pk_mov_b32 v[2:3], s[6:7], s[6:7] op_sel:[0,1]
	v_mad_u64_u32 v[2:3], s[6:7], v4, s21, v[2:3]
	v_mul_lo_u32 v4, v4, s44
	v_mul_lo_u32 v5, v5, s21
	v_add3_u32 v3, v5, v3, v4
	v_add_co_u32_e32 v2, vcc, 4, v2
	v_add_u32_e32 v1, 0x1200, v1
	v_addc_co_u32_e32 v3, vcc, 0, v3, vcc
.LBB160_47:                             ; =>This Inner Loop Header: Depth=1
	global_load_dwordx2 v[4:5], v[2:3], off offset:-4
	s_add_i32 s4, s4, -1
	v_add_co_u32_e32 v2, vcc, 8, v2
	v_addc_co_u32_e32 v3, vcc, 0, v3, vcc
	s_cmp_lg_u32 s4, 0
	s_waitcnt vmcnt(0)
	v_mul_f32_e32 v6, s31, v5
	v_mul_f32_e32 v7, s30, v5
	v_fma_f32 v6, s30, v4, -v6
	v_fmac_f32_e32 v7, s31, v4
	ds_write_b64 v1, v[6:7]
	v_add_u32_e32 v1, 0xc0, v1
	s_cbranch_scc1 .LBB160_47
.LBB160_48:
	s_or_b64 exec, exec, s[34:35]
	s_cmpk_eq_i32 s20, 0x6f
	s_mov_b64 s[4:5], -1
	s_waitcnt lgkmcnt(0)
	; wave barrier
	s_waitcnt lgkmcnt(0)
	s_cbranch_scc1 .LBB160_77
; %bb.49:
	v_mov_b32_e32 v1, 0x1200
	s_lshl_b32 s14, s33, 3
	s_mov_b32 s5, 0
	v_lshl_or_b32 v1, v0, 3, v1
	s_add_i32 s14, s14, -8
	v_mov_b32_e32 v10, 0
	s_mov_b32 s4, s5
	s_mov_b32 s15, s45
	s_branch .LBB160_51
.LBB160_50:                             ;   in Loop: Header=BB160_51 Depth=1
	s_cmp_lt_i32 s15, 0
	s_cselect_b64 s[6:7], -1, 0
	s_add_i32 s4, s4, 1
	s_cmp_eq_u32 s4, 3
	s_cselect_b64 s[8:9], -1, 0
	s_or_b64 s[6:7], s[6:7], s[8:9]
	s_andn2_b64 vcc, exec, s[6:7]
	s_cbranch_vccz .LBB160_76
.LBB160_51:                             ; =>This Loop Header: Depth=1
                                        ;     Child Loop BB160_54 Depth 2
                                        ;       Child Loop BB160_55 Depth 3
                                        ;       Child Loop BB160_59 Depth 3
                                        ;         Child Loop BB160_61 Depth 4
                                        ;         Child Loop BB160_67 Depth 4
                                        ;       Child Loop BB160_70 Depth 3
                                        ;         Child Loop BB160_72 Depth 4
	s_lshl_b64 s[6:7], s[4:5], 2
	s_getpc_b64 s[8:9]
	s_add_u32 s8, s8, __const._ZL38rocblas_trsm_small_left_device_sharedBILi24ELi24ELb1E19rocblas_complex_numIfES1_PKS1_PS1_Ev13rocblas_fill_18rocblas_operation_17rocblas_diagonal_iiT3_T4_lilT5_lili.step_sizes@rel32@lo+4
	s_addc_u32 s9, s9, __const._ZL38rocblas_trsm_small_left_device_sharedBILi24ELi24ELb1E19rocblas_complex_numIfES1_PKS1_PS1_Ev13rocblas_fill_18rocblas_operation_17rocblas_diagonal_iiT3_T4_lilT5_lili.step_sizes@rel32@hi+12
	s_add_u32 s6, s6, s8
	s_addc_u32 s7, s7, s9
	s_load_dword s20, s[6:7], 0x0
	s_waitcnt lgkmcnt(0)
	s_add_i32 s30, s20, -1
	s_cmp_lt_i32 s15, s30
	s_cbranch_scc1 .LBB160_50
; %bb.52:                               ;   in Loop: Header=BB160_51 Depth=1
	s_max_i32 s31, s20, 1
	s_cmp_lg_u32 s4, 2
	s_cselect_b64 s[6:7], -1, 0
	s_and_b32 s34, s31, 0x7ffffffe
	s_cmp_lg_u32 s31, s34
	s_mul_i32 s10, s15, 0xc0
	s_cselect_b64 s[8:9], -1, 0
	v_add_u32_e32 v11, s10, v1
	s_mul_i32 s35, s20, 0xffffff40
	s_add_i32 s36, s14, s10
	s_mul_i32 s37, s15, 0xc8
	s_mul_i32 s38, s20, 0xffffff38
	s_branch .LBB160_54
.LBB160_53:                             ;   in Loop: Header=BB160_54 Depth=2
	s_sub_i32 s15, s15, s20
	s_add_i32 s36, s36, s35
	s_add_i32 s37, s37, s38
	s_cmp_lt_i32 s15, s30
	v_add_u32_e32 v11, s35, v11
	s_cbranch_scc1 .LBB160_50
.LBB160_54:                             ;   Parent Loop BB160_51 Depth=1
                                        ; =>  This Loop Header: Depth=2
                                        ;       Child Loop BB160_55 Depth 3
                                        ;       Child Loop BB160_59 Depth 3
                                        ;         Child Loop BB160_61 Depth 4
                                        ;         Child Loop BB160_67 Depth 4
                                        ;       Child Loop BB160_70 Depth 3
                                        ;         Child Loop BB160_72 Depth 4
	v_mov_b32_e32 v2, 0
	v_mov_b32_e32 v3, v11
	s_mov_b32 s10, s31
.LBB160_55:                             ;   Parent Loop BB160_51 Depth=1
                                        ;     Parent Loop BB160_54 Depth=2
                                        ; =>    This Inner Loop Header: Depth=3
	ds_read_b64 v[4:5], v3
	s_add_i32 s10, s10, -1
	v_add_u32_e32 v3, 0xffffff40, v3
	s_cmp_eq_u32 s10, 0
	s_waitcnt lgkmcnt(0)
	buffer_store_dword v5, v2, s[0:3], 0 offen offset:4
	buffer_store_dword v4, v2, s[0:3], 0 offen
	v_add_u32_e32 v2, 8, v2
	s_cbranch_scc0 .LBB160_55
; %bb.56:                               ;   in Loop: Header=BB160_54 Depth=2
	s_cmp_le_i32 s45, s15
	s_cbranch_scc1 .LBB160_68
; %bb.57:                               ;   in Loop: Header=BB160_54 Depth=2
	s_mov_b32 s39, s15
	s_mov_b32 s40, s36
	;; [unrolled: 1-line block ×3, first 2 shown]
	s_branch .LBB160_59
.LBB160_58:                             ;   in Loop: Header=BB160_59 Depth=3
	s_add_i32 s41, s41, -1
	s_add_i32 s40, s40, -8
	s_cmp_le_i32 s41, s15
	s_cbranch_scc1 .LBB160_68
.LBB160_59:                             ;   Parent Loop BB160_51 Depth=1
                                        ;     Parent Loop BB160_54 Depth=2
                                        ; =>    This Loop Header: Depth=3
                                        ;         Child Loop BB160_61 Depth 4
                                        ;         Child Loop BB160_67 Depth 4
	s_mul_i32 s10, s41, 24
	s_waitcnt lgkmcnt(0)
	v_add_lshl_u32 v2, s10, v0, 3
	ds_read_b64 v[2:3], v2 offset:4608
	s_and_b64 vcc, exec, s[6:7]
	s_cbranch_vccz .LBB160_63
; %bb.60:                               ;   in Loop: Header=BB160_59 Depth=3
	s_mov_b32 s10, s41
	s_waitcnt lgkmcnt(0)
	v_mov_b32_e32 v6, v2
	v_mov_b32_e32 v7, v2
	;; [unrolled: 1-line block ×6, first 2 shown]
	s_mov_b32 s11, 1
	s_mov_b32 s12, 0
	;; [unrolled: 1-line block ×3, first 2 shown]
.LBB160_61:                             ;   Parent Loop BB160_51 Depth=1
                                        ;     Parent Loop BB160_54 Depth=2
                                        ;       Parent Loop BB160_59 Depth=3
                                        ; =>      This Inner Loop Header: Depth=4
	buffer_load_dword v12, v5, s[0:3], 0 offen
	buffer_load_dword v14, v5, s[0:3], 0 offen offset:4
	buffer_load_dword v13, v5, s[0:3], 0 offen offset:8
	;; [unrolled: 1-line block ×3, first 2 shown]
	s_sub_i32 s42, s39, s11
	s_sub_i32 s43, s15, s12
	s_mul_i32 s43, s43, 24
	s_mul_i32 s42, s42, 24
	s_add_i32 s42, s42, s10
	s_add_i32 s43, s43, s41
	s_lshl_b32 s43, s43, 3
	s_lshl_b32 s42, s42, 3
	v_mov_b32_e32 v16, s43
	v_mov_b32_e32 v18, s42
	ds_read_b64 v[16:17], v16
	ds_read_b64 v[18:19], v18
	s_add_i32 s12, s12, 2
	s_add_i32 s11, s11, 2
	s_add_i32 s13, s13, -2
	s_waitcnt lgkmcnt(1)
	v_mov_b32_e32 v20, v16
	s_waitcnt lgkmcnt(0)
	v_mov_b32_e32 v21, v18
	v_mov_b32_e32 v18, v17
	v_pk_mul_f32 v[16:17], v[18:19], v[8:9]
	v_pk_mul_f32 v[18:19], v[18:19], v[6:7]
	v_pk_fma_f32 v[16:17], v[20:21], v[6:7], v[16:17] neg_lo:[0,0,1] neg_hi:[0,0,1]
	v_pk_fma_f32 v[18:19], v[20:21], v[8:9], v[18:19]
	s_cmp_lg_u32 s13, 0
	s_waitcnt vmcnt(1)
	v_pk_add_f32 v[12:13], v[12:13], v[16:17] neg_lo:[0,1] neg_hi:[0,1]
	s_waitcnt vmcnt(0)
	v_pk_add_f32 v[14:15], v[14:15], v[18:19] neg_lo:[0,1] neg_hi:[0,1]
	buffer_store_dword v12, v5, s[0:3], 0 offen
	buffer_store_dword v14, v5, s[0:3], 0 offen offset:4
	buffer_store_dword v13, v5, s[0:3], 0 offen offset:8
	;; [unrolled: 1-line block ×3, first 2 shown]
	v_add_u32_e32 v5, 16, v5
	s_cbranch_scc1 .LBB160_61
; %bb.62:                               ;   in Loop: Header=BB160_59 Depth=3
	s_mov_b64 s[10:11], s[8:9]
	s_mov_b32 s12, s34
	s_branch .LBB160_65
.LBB160_63:                             ;   in Loop: Header=BB160_59 Depth=3
	s_mov_b64 s[10:11], 0
                                        ; implicit-def: $vgpr4_vgpr5
	s_mov_b32 s12, s34
	s_cbranch_execz .LBB160_65
; %bb.64:                               ;   in Loop: Header=BB160_59 Depth=3
	s_waitcnt lgkmcnt(0)
	v_mov_b32_e32 v4, v3
	s_mov_b64 s[10:11], -1
	s_mov_b32 s12, 0
.LBB160_65:                             ;   in Loop: Header=BB160_59 Depth=3
	s_andn2_b64 vcc, exec, s[10:11]
	s_cbranch_vccnz .LBB160_58
; %bb.66:                               ;   in Loop: Header=BB160_59 Depth=3
	s_sub_i32 s10, s31, s12
	s_mul_i32 s11, s12, 0xffffff40
	s_lshl_b32 s12, s12, 3
	s_waitcnt lgkmcnt(0)
	v_mov_b32_e32 v5, v3
	v_mov_b32_e32 v3, v2
	s_add_i32 s11, s40, s11
	v_add_u32_e32 v6, s12, v10
.LBB160_67:                             ;   Parent Loop BB160_51 Depth=1
                                        ;     Parent Loop BB160_54 Depth=2
                                        ;       Parent Loop BB160_59 Depth=3
                                        ; =>      This Inner Loop Header: Depth=4
	buffer_load_dword v8, v6, s[0:3], 0 offen
	buffer_load_dword v9, v6, s[0:3], 0 offen offset:4
	v_mov_b32_e32 v7, s11
	ds_read_b64 v[12:13], v7
	s_add_i32 s10, s10, -1
	s_addk_i32 s11, 0xff40
	s_cmp_eq_u32 s10, 0
	s_waitcnt lgkmcnt(0)
	v_pk_mul_f32 v[14:15], v[12:13], v[4:5]
	v_pk_fma_f32 v[16:17], v[12:13], v[2:3], v[14:15] op_sel:[0,0,1] op_sel_hi:[1,1,0] neg_lo:[0,0,1] neg_hi:[0,0,1]
	v_pk_fma_f32 v[12:13], v[12:13], v[2:3], v[14:15] op_sel:[0,0,1] op_sel_hi:[1,1,0]
	v_mov_b32_e32 v17, v13
	s_waitcnt vmcnt(0)
	v_pk_add_f32 v[8:9], v[8:9], v[16:17] neg_lo:[0,1] neg_hi:[0,1]
	buffer_store_dword v8, v6, s[0:3], 0 offen
	buffer_store_dword v9, v6, s[0:3], 0 offen offset:4
	v_add_u32_e32 v6, 8, v6
	s_cbranch_scc0 .LBB160_67
	s_branch .LBB160_58
.LBB160_68:                             ;   in Loop: Header=BB160_54 Depth=2
	s_mul_i32 s12, s15, 24
	s_mov_b32 s13, 0
	s_mov_b32 s39, s37
	s_branch .LBB160_70
.LBB160_69:                             ;   in Loop: Header=BB160_70 Depth=3
	s_mul_i32 s10, s41, 0xc8
	v_mov_b32_e32 v4, s10
	ds_read_b64 v[4:5], v4
	s_lshl_b32 s10, s13, 3
	s_add_i32 s13, s13, 1
	s_addk_i32 s39, 0xff40
	v_add_u32_e32 v8, s10, v10
	s_waitcnt vmcnt(0) lgkmcnt(0)
	v_mul_f32_e32 v6, v5, v3
	v_mul_f32_e32 v7, v4, v3
	v_fma_f32 v6, v4, v2, -v6
	v_fmac_f32_e32 v7, v5, v2
	v_add_lshl_u32 v2, s40, v0, 3
	s_cmp_eq_u32 s13, s31
	buffer_store_dword v6, v8, s[0:3], 0 offen
	buffer_store_dword v7, v8, s[0:3], 0 offen offset:4
	ds_write_b64 v2, v[6:7] offset:4608
	s_cbranch_scc1 .LBB160_53
.LBB160_70:                             ;   Parent Loop BB160_51 Depth=1
                                        ;     Parent Loop BB160_54 Depth=2
                                        ; =>    This Loop Header: Depth=3
                                        ;         Child Loop BB160_72 Depth 4
	s_cmp_lg_u32 s13, 0
	s_cbranch_scc0 .LBB160_74
; %bb.71:                               ;   in Loop: Header=BB160_70 Depth=3
	s_lshl_b32 s10, s13, 3
	v_add_u32_e32 v4, s10, v10
	s_waitcnt lgkmcnt(0)
	buffer_load_dword v2, v4, s[0:3], 0 offen
	buffer_load_dword v3, v4, s[0:3], 0 offen offset:4
	v_mov_b32_e32 v5, 0
	s_mov_b32 s10, 0
	s_mov_b32 s11, s39
.LBB160_72:                             ;   Parent Loop BB160_51 Depth=1
                                        ;     Parent Loop BB160_54 Depth=2
                                        ;       Parent Loop BB160_70 Depth=3
                                        ; =>      This Inner Loop Header: Depth=4
	buffer_load_dword v7, v5, s[0:3], 0 offen offset:4
	buffer_load_dword v6, v5, s[0:3], 0 offen
	v_mov_b32_e32 v8, s11
	ds_read_b64 v[8:9], v8
	s_add_i32 s10, s10, 1
	s_add_i32 s11, s11, -8
	v_add_u32_e32 v5, 8, v5
	s_cmp_ge_u32 s10, s13
	s_waitcnt vmcnt(1)
	v_mov_b32_e32 v12, v7
	s_waitcnt lgkmcnt(0)
	v_pk_mul_f32 v[12:13], v[8:9], v[12:13] op_sel_hi:[1,0]
	s_waitcnt vmcnt(0)
	v_pk_fma_f32 v[14:15], v[8:9], v[6:7], v[12:13] op_sel:[0,0,1] op_sel_hi:[1,1,0] neg_lo:[0,0,1] neg_hi:[0,0,1]
	v_pk_fma_f32 v[6:7], v[8:9], v[6:7], v[12:13] op_sel:[0,0,1] op_sel_hi:[1,0,0]
	v_mov_b32_e32 v15, v7
	v_pk_add_f32 v[2:3], v[2:3], v[14:15] neg_lo:[0,1] neg_hi:[0,1]
	buffer_store_dword v2, v4, s[0:3], 0 offen
	buffer_store_dword v3, v4, s[0:3], 0 offen offset:4
	s_cbranch_scc0 .LBB160_72
; %bb.73:                               ;   in Loop: Header=BB160_70 Depth=3
	s_sub_i32 s41, s15, s13
	s_mul_i32 s40, s41, 24
	s_branch .LBB160_69
.LBB160_74:                             ;   in Loop: Header=BB160_70 Depth=3
                                        ; implicit-def: $vgpr2
                                        ; implicit-def: $sgpr41
                                        ; implicit-def: $sgpr40
	s_cbranch_execz .LBB160_69
; %bb.75:                               ;   in Loop: Header=BB160_70 Depth=3
	s_waitcnt lgkmcnt(0)
	buffer_load_dword v2, off, s[0:3], 0
	buffer_load_dword v3, off, s[0:3], 0 offset:4
	s_mov_b32 s40, s12
	s_mov_b32 s41, s15
	s_branch .LBB160_69
.LBB160_76:
	s_mov_b64 s[4:5], 0
.LBB160_77:
	s_and_b64 vcc, exec, s[4:5]
	s_cbranch_vccz .LBB160_105
; %bb.78:
	v_mov_b32_e32 v1, 0x1200
	s_mov_b32 s5, 0
	v_lshl_or_b32 v1, v0, 3, v1
	v_mov_b32_e32 v10, 0
	s_mov_b32 s4, s5
	s_mov_b32 s14, s5
	s_branch .LBB160_80
.LBB160_79:                             ;   in Loop: Header=BB160_80 Depth=1
	s_cmp_ge_i32 s14, s33
	s_cselect_b64 s[6:7], -1, 0
	s_add_i32 s4, s4, 1
	s_cmp_eq_u32 s4, 3
	s_cselect_b64 s[8:9], -1, 0
	s_or_b64 s[6:7], s[6:7], s[8:9]
	s_and_b64 vcc, exec, s[6:7]
	s_cbranch_vccnz .LBB160_105
.LBB160_80:                             ; =>This Loop Header: Depth=1
                                        ;     Child Loop BB160_83 Depth 2
                                        ;       Child Loop BB160_84 Depth 3
                                        ;       Child Loop BB160_88 Depth 3
                                        ;         Child Loop BB160_90 Depth 4
                                        ;         Child Loop BB160_96 Depth 4
                                        ;       Child Loop BB160_99 Depth 3
                                        ;         Child Loop BB160_101 Depth 4
	s_lshl_b64 s[6:7], s[4:5], 2
	s_getpc_b64 s[8:9]
	s_add_u32 s8, s8, __const._ZL38rocblas_trsm_small_left_device_sharedBILi24ELi24ELb1E19rocblas_complex_numIfES1_PKS1_PS1_Ev13rocblas_fill_18rocblas_operation_17rocblas_diagonal_iiT3_T4_lilT5_lili.step_sizes@rel32@lo+4
	s_addc_u32 s9, s9, __const._ZL38rocblas_trsm_small_left_device_sharedBILi24ELi24ELb1E19rocblas_complex_numIfES1_PKS1_PS1_Ev13rocblas_fill_18rocblas_operation_17rocblas_diagonal_iiT3_T4_lilT5_lili.step_sizes@rel32@hi+12
	s_add_u32 s6, s6, s8
	s_addc_u32 s7, s7, s9
	s_load_dword s15, s[6:7], 0x0
	s_waitcnt lgkmcnt(0)
	s_add_i32 s20, s15, -1
	s_add_i32 s6, s20, s14
	s_cmp_ge_i32 s6, s33
	s_cbranch_scc1 .LBB160_79
; %bb.81:                               ;   in Loop: Header=BB160_80 Depth=1
	s_max_i32 s30, s15, 1
	s_cmp_lg_u32 s4, 2
	s_cselect_b64 s[6:7], -1, 0
	s_and_b32 s31, s30, 0x7ffffffe
	s_cmp_lg_u32 s30, s31
	s_mul_i32 s10, s14, 0xc0
	s_cselect_b64 s[8:9], -1, 0
	v_add_u32_e32 v11, s10, v1
	s_mul_i32 s34, s15, 0xc0
	s_mul_i32 s35, s14, 0xc8
	;; [unrolled: 1-line block ×3, first 2 shown]
	s_branch .LBB160_83
.LBB160_82:                             ;   in Loop: Header=BB160_83 Depth=2
	s_add_i32 s14, s14, s15
	s_add_i32 s10, s20, s14
	s_add_i32 s35, s35, s36
	s_cmp_ge_i32 s10, s33
	v_add_u32_e32 v11, s34, v11
	s_cbranch_scc1 .LBB160_79
.LBB160_83:                             ;   Parent Loop BB160_80 Depth=1
                                        ; =>  This Loop Header: Depth=2
                                        ;       Child Loop BB160_84 Depth 3
                                        ;       Child Loop BB160_88 Depth 3
                                        ;         Child Loop BB160_90 Depth 4
                                        ;         Child Loop BB160_96 Depth 4
                                        ;       Child Loop BB160_99 Depth 3
                                        ;         Child Loop BB160_101 Depth 4
	v_mov_b32_e32 v2, 0
	v_mov_b32_e32 v3, v11
	s_mov_b32 s10, s30
.LBB160_84:                             ;   Parent Loop BB160_80 Depth=1
                                        ;     Parent Loop BB160_83 Depth=2
                                        ; =>    This Inner Loop Header: Depth=3
	ds_read_b64 v[4:5], v3
	s_add_i32 s10, s10, -1
	v_add_u32_e32 v3, 0xc0, v3
	s_cmp_eq_u32 s10, 0
	s_waitcnt lgkmcnt(0)
	buffer_store_dword v5, v2, s[0:3], 0 offen offset:4
	buffer_store_dword v4, v2, s[0:3], 0 offen
	v_add_u32_e32 v2, 8, v2
	s_cbranch_scc0 .LBB160_84
; %bb.85:                               ;   in Loop: Header=BB160_83 Depth=2
	s_cmp_lt_i32 s14, 1
	s_cbranch_scc1 .LBB160_97
; %bb.86:                               ;   in Loop: Header=BB160_83 Depth=2
	s_mov_b32 s37, 0
	s_mov_b32 s38, s14
	s_branch .LBB160_88
.LBB160_87:                             ;   in Loop: Header=BB160_88 Depth=3
	s_add_i32 s37, s37, 1
	s_add_i32 s38, s38, 24
	s_cmp_ge_i32 s37, s14
	s_cbranch_scc1 .LBB160_97
.LBB160_88:                             ;   Parent Loop BB160_80 Depth=1
                                        ;     Parent Loop BB160_83 Depth=2
                                        ; =>    This Loop Header: Depth=3
                                        ;         Child Loop BB160_90 Depth 4
                                        ;         Child Loop BB160_96 Depth 4
	s_mul_i32 s10, s37, 24
	s_waitcnt lgkmcnt(0)
	v_add_lshl_u32 v2, s10, v0, 3
	ds_read_b64 v[2:3], v2 offset:4608
	s_and_b64 vcc, exec, s[6:7]
	s_cbranch_vccz .LBB160_92
; %bb.89:                               ;   in Loop: Header=BB160_88 Depth=3
	s_add_i32 s10, s10, s14
	s_mov_b32 s11, s10
	s_waitcnt lgkmcnt(0)
	v_mov_b32_e32 v6, v2
	v_mov_b32_e32 v7, v2
	;; [unrolled: 1-line block ×6, first 2 shown]
	s_mov_b32 s12, 1
	s_mov_b32 s13, 0
	;; [unrolled: 1-line block ×3, first 2 shown]
.LBB160_90:                             ;   Parent Loop BB160_80 Depth=1
                                        ;     Parent Loop BB160_83 Depth=2
                                        ;       Parent Loop BB160_88 Depth=3
                                        ; =>      This Inner Loop Header: Depth=4
	buffer_load_dword v12, v5, s[0:3], 0 offen
	buffer_load_dword v14, v5, s[0:3], 0 offen offset:4
	buffer_load_dword v13, v5, s[0:3], 0 offen offset:8
	;; [unrolled: 1-line block ×3, first 2 shown]
	s_add_i32 s40, s11, s12
	s_add_i32 s41, s10, s13
	s_lshl_b32 s41, s41, 3
	s_lshl_b32 s40, s40, 3
	v_mov_b32_e32 v16, s41
	v_mov_b32_e32 v18, s40
	ds_read_b64 v[16:17], v16
	ds_read_b64 v[18:19], v18
	s_add_i32 s13, s13, 2
	s_add_i32 s12, s12, 2
	s_add_i32 s39, s39, -2
	s_waitcnt lgkmcnt(1)
	v_mov_b32_e32 v20, v16
	s_waitcnt lgkmcnt(0)
	v_mov_b32_e32 v21, v18
	v_mov_b32_e32 v18, v17
	v_pk_mul_f32 v[16:17], v[18:19], v[8:9]
	v_pk_mul_f32 v[18:19], v[18:19], v[6:7]
	v_pk_fma_f32 v[16:17], v[20:21], v[6:7], v[16:17] neg_lo:[0,0,1] neg_hi:[0,0,1]
	v_pk_fma_f32 v[18:19], v[20:21], v[8:9], v[18:19]
	s_cmp_lg_u32 s39, 0
	s_waitcnt vmcnt(1)
	v_pk_add_f32 v[12:13], v[12:13], v[16:17] neg_lo:[0,1] neg_hi:[0,1]
	s_waitcnt vmcnt(0)
	v_pk_add_f32 v[14:15], v[14:15], v[18:19] neg_lo:[0,1] neg_hi:[0,1]
	buffer_store_dword v12, v5, s[0:3], 0 offen
	buffer_store_dword v14, v5, s[0:3], 0 offen offset:4
	buffer_store_dword v13, v5, s[0:3], 0 offen offset:8
	;; [unrolled: 1-line block ×3, first 2 shown]
	v_add_u32_e32 v5, 16, v5
	s_cbranch_scc1 .LBB160_90
; %bb.91:                               ;   in Loop: Header=BB160_88 Depth=3
	s_mov_b64 s[10:11], s[8:9]
	s_mov_b32 s12, s31
	s_branch .LBB160_94
.LBB160_92:                             ;   in Loop: Header=BB160_88 Depth=3
	s_mov_b64 s[10:11], 0
                                        ; implicit-def: $vgpr4_vgpr5
	s_mov_b32 s12, s31
	s_cbranch_execz .LBB160_94
; %bb.93:                               ;   in Loop: Header=BB160_88 Depth=3
	s_waitcnt lgkmcnt(0)
	v_mov_b32_e32 v4, v3
	s_mov_b64 s[10:11], -1
	s_mov_b32 s12, 0
.LBB160_94:                             ;   in Loop: Header=BB160_88 Depth=3
	s_andn2_b64 vcc, exec, s[10:11]
	s_cbranch_vccnz .LBB160_87
; %bb.95:                               ;   in Loop: Header=BB160_88 Depth=3
	s_sub_i32 s10, s30, s12
	s_add_i32 s11, s12, s38
	s_lshl_b32 s12, s12, 3
	s_waitcnt lgkmcnt(0)
	v_mov_b32_e32 v5, v3
	v_mov_b32_e32 v3, v2
	s_lshl_b32 s11, s11, 3
	v_add_u32_e32 v6, s12, v10
.LBB160_96:                             ;   Parent Loop BB160_80 Depth=1
                                        ;     Parent Loop BB160_83 Depth=2
                                        ;       Parent Loop BB160_88 Depth=3
                                        ; =>      This Inner Loop Header: Depth=4
	buffer_load_dword v8, v6, s[0:3], 0 offen
	buffer_load_dword v9, v6, s[0:3], 0 offen offset:4
	v_mov_b32_e32 v7, s11
	ds_read_b64 v[12:13], v7
	s_add_i32 s10, s10, -1
	s_add_i32 s11, s11, 8
	s_cmp_eq_u32 s10, 0
	s_waitcnt lgkmcnt(0)
	v_pk_mul_f32 v[14:15], v[12:13], v[4:5]
	v_pk_fma_f32 v[16:17], v[12:13], v[2:3], v[14:15] op_sel:[0,0,1] op_sel_hi:[1,1,0] neg_lo:[0,0,1] neg_hi:[0,0,1]
	v_pk_fma_f32 v[12:13], v[12:13], v[2:3], v[14:15] op_sel:[0,0,1] op_sel_hi:[1,1,0]
	v_mov_b32_e32 v17, v13
	s_waitcnt vmcnt(0)
	v_pk_add_f32 v[8:9], v[8:9], v[16:17] neg_lo:[0,1] neg_hi:[0,1]
	buffer_store_dword v8, v6, s[0:3], 0 offen
	buffer_store_dword v9, v6, s[0:3], 0 offen offset:4
	v_add_u32_e32 v6, 8, v6
	s_cbranch_scc0 .LBB160_96
	s_branch .LBB160_87
.LBB160_97:                             ;   in Loop: Header=BB160_83 Depth=2
	s_mov_b32 s12, 0
	s_mov_b32 s13, s35
	s_branch .LBB160_99
.LBB160_98:                             ;   in Loop: Header=BB160_99 Depth=3
	s_mul_i32 s10, s37, 0xc8
	v_mov_b32_e32 v4, s10
	ds_read_b64 v[4:5], v4
	s_mul_i32 s10, s37, 24
	s_lshl_b32 s11, s12, 3
	s_add_i32 s12, s12, 1
	s_add_i32 s13, s13, 8
	s_waitcnt vmcnt(0) lgkmcnt(0)
	v_mul_f32_e32 v6, v5, v3
	v_mul_f32_e32 v7, v4, v3
	v_add_u32_e32 v8, s11, v10
	v_fma_f32 v6, v4, v2, -v6
	v_fmac_f32_e32 v7, v5, v2
	v_add_lshl_u32 v2, s10, v0, 3
	s_cmp_eq_u32 s12, s30
	buffer_store_dword v6, v8, s[0:3], 0 offen
	buffer_store_dword v7, v8, s[0:3], 0 offen offset:4
	ds_write_b64 v2, v[6:7] offset:4608
	s_cbranch_scc1 .LBB160_82
.LBB160_99:                             ;   Parent Loop BB160_80 Depth=1
                                        ;     Parent Loop BB160_83 Depth=2
                                        ; =>    This Loop Header: Depth=3
                                        ;         Child Loop BB160_101 Depth 4
	s_cmp_lg_u32 s12, 0
	s_cbranch_scc0 .LBB160_103
; %bb.100:                              ;   in Loop: Header=BB160_99 Depth=3
	s_lshl_b32 s10, s12, 3
	v_add_u32_e32 v4, s10, v10
	s_waitcnt lgkmcnt(0)
	buffer_load_dword v2, v4, s[0:3], 0 offen
	buffer_load_dword v3, v4, s[0:3], 0 offen offset:4
	v_mov_b32_e32 v5, 0
	s_mov_b32 s10, 0
	s_mov_b32 s11, s13
.LBB160_101:                            ;   Parent Loop BB160_80 Depth=1
                                        ;     Parent Loop BB160_83 Depth=2
                                        ;       Parent Loop BB160_99 Depth=3
                                        ; =>      This Inner Loop Header: Depth=4
	buffer_load_dword v7, v5, s[0:3], 0 offen offset:4
	buffer_load_dword v6, v5, s[0:3], 0 offen
	v_mov_b32_e32 v8, s11
	ds_read_b64 v[8:9], v8
	s_add_i32 s10, s10, 1
	s_addk_i32 s11, 0xc0
	v_add_u32_e32 v5, 8, v5
	s_cmp_ge_u32 s10, s12
	s_waitcnt vmcnt(1)
	v_mov_b32_e32 v12, v7
	s_waitcnt lgkmcnt(0)
	v_pk_mul_f32 v[12:13], v[8:9], v[12:13] op_sel_hi:[1,0]
	s_waitcnt vmcnt(0)
	v_pk_fma_f32 v[14:15], v[8:9], v[6:7], v[12:13] op_sel:[0,0,1] op_sel_hi:[1,1,0] neg_lo:[0,0,1] neg_hi:[0,0,1]
	v_pk_fma_f32 v[6:7], v[8:9], v[6:7], v[12:13] op_sel:[0,0,1] op_sel_hi:[1,0,0]
	v_mov_b32_e32 v15, v7
	v_pk_add_f32 v[2:3], v[2:3], v[14:15] neg_lo:[0,1] neg_hi:[0,1]
	buffer_store_dword v2, v4, s[0:3], 0 offen
	buffer_store_dword v3, v4, s[0:3], 0 offen offset:4
	s_cbranch_scc0 .LBB160_101
; %bb.102:                              ;   in Loop: Header=BB160_99 Depth=3
	s_add_i32 s37, s12, s14
	s_branch .LBB160_98
.LBB160_103:                            ;   in Loop: Header=BB160_99 Depth=3
                                        ; implicit-def: $vgpr2
                                        ; implicit-def: $sgpr37
	s_cbranch_execz .LBB160_98
; %bb.104:                              ;   in Loop: Header=BB160_99 Depth=3
	s_waitcnt lgkmcnt(0)
	buffer_load_dword v2, off, s[0:3], 0
	buffer_load_dword v3, off, s[0:3], 0 offset:4
	s_mov_b32 s37, s14
	s_branch .LBB160_98
.LBB160_105:
	s_waitcnt lgkmcnt(0)
	; wave barrier
	s_waitcnt lgkmcnt(0)
	s_and_saveexec_b64 s[4:5], s[28:29]
	s_cbranch_execz .LBB160_112
; %bb.106:
	s_cmp_lt_i32 s22, 8
	s_mov_b32 s4, 0
	s_cbranch_scc1 .LBB160_109
; %bb.107:
	v_mad_i64_i32 v[2:3], s[4:5], s21, v0, 0
	v_lshlrev_b64 v[2:3], 3, v[2:3]
	v_mov_b32_e32 v4, s46
	v_add_co_u32_e32 v1, vcc, s23, v2
	v_addc_co_u32_e32 v2, vcc, v4, v3, vcc
	v_mov_b32_e32 v3, 0x1200
	s_lshl_b32 s4, s33, 3
	v_lshl_or_b32 v3, v0, 3, v3
	s_and_b32 s5, s4, 0xc0
	s_mov_b32 s4, 0
	s_mov_b64 s[6:7], 0
.LBB160_108:                            ; =>This Inner Loop Header: Depth=1
	ds_read2_b64 v[4:7], v3 offset1:24
	ds_read2_b64 v[8:11], v3 offset0:48 offset1:72
	ds_read2_b64 v[12:15], v3 offset0:96 offset1:120
	;; [unrolled: 1-line block ×3, first 2 shown]
	s_add_i32 s4, s4, 8
	v_add_co_u32_e32 v20, vcc, s6, v1
	s_add_u32 s6, s6, 64
	v_mov_b32_e32 v21, s7
	s_addc_u32 s7, s7, 0
	v_add_u32_e32 v3, 0x600, v3
	v_addc_co_u32_e32 v21, vcc, v2, v21, vcc
	s_cmp_lg_u32 s5, s6
	s_waitcnt lgkmcnt(3)
	global_store_dwordx4 v[20:21], v[4:7], off
	s_waitcnt lgkmcnt(2)
	global_store_dwordx4 v[20:21], v[8:11], off offset:16
	s_waitcnt lgkmcnt(1)
	global_store_dwordx4 v[20:21], v[12:15], off offset:32
	s_waitcnt lgkmcnt(0)
	global_store_dwordx4 v[20:21], v[16:19], off offset:48
	s_cbranch_scc1 .LBB160_108
.LBB160_109:
	s_and_b32 s6, s33, 7
	s_cmp_eq_u32 s6, 0
	s_mov_b32 s5, 0
	s_cbranch_scc1 .LBB160_112
; %bb.110:
	s_lshl_b64 s[8:9], s[26:27], 3
	v_lshlrev_b32_e32 v1, 3, v0
	v_mov_b32_e32 v2, s9
	v_add_co_u32_e32 v1, vcc, s8, v1
	s_lshl_b64 s[8:9], s[4:5], 3
	s_add_u32 s5, s18, s8
	s_addc_u32 s7, s19, s9
	s_add_u32 s5, s5, s24
	s_addc_u32 s7, s7, s25
	;; [unrolled: 2-line block ×3, first 2 shown]
	v_addc_co_u32_e32 v4, vcc, 0, v2, vcc
	v_pk_mov_b32 v[2:3], s[8:9], s[8:9] op_sel:[0,1]
	s_mulk_i32 s4, 0xc0
	v_mad_u64_u32 v[2:3], s[8:9], v1, s21, v[2:3]
	v_mul_lo_u32 v1, v1, s44
	v_mul_lo_u32 v4, v4, s21
	v_lshl_add_u32 v0, v0, 3, s4
	v_add3_u32 v3, v4, v3, v1
	v_add_u32_e32 v0, 0x1200, v0
.LBB160_111:                            ; =>This Inner Loop Header: Depth=1
	ds_read_b64 v[4:5], v0
	s_add_i32 s6, s6, -1
	v_add_u32_e32 v0, 0xc0, v0
	s_cmp_lg_u32 s6, 0
	s_waitcnt lgkmcnt(0)
	global_store_dwordx2 v[2:3], v[4:5], off
	v_add_co_u32_e32 v2, vcc, 8, v2
	v_addc_co_u32_e32 v3, vcc, 0, v3, vcc
	s_cbranch_scc1 .LBB160_111
.LBB160_112:
	s_endpgm
	.section	.rodata,"a",@progbits
	.p2align	6, 0x0
	.amdhsa_kernel _ZL38rocblas_trsm_small_left_device_sharedBILi24ELi24ELb1E19rocblas_complex_numIfES1_PKS1_PS1_Ev13rocblas_fill_18rocblas_operation_17rocblas_diagonal_iiT3_T4_lilT5_lili
		.amdhsa_group_segment_fixed_size 9216
		.amdhsa_private_segment_fixed_size 208
		.amdhsa_kernarg_size 360
		.amdhsa_user_sgpr_count 8
		.amdhsa_user_sgpr_private_segment_buffer 1
		.amdhsa_user_sgpr_dispatch_ptr 0
		.amdhsa_user_sgpr_queue_ptr 0
		.amdhsa_user_sgpr_kernarg_segment_ptr 1
		.amdhsa_user_sgpr_dispatch_id 0
		.amdhsa_user_sgpr_flat_scratch_init 1
		.amdhsa_user_sgpr_kernarg_preload_length 0
		.amdhsa_user_sgpr_kernarg_preload_offset 0
		.amdhsa_user_sgpr_private_segment_size 0
		.amdhsa_uses_dynamic_stack 0
		.amdhsa_system_sgpr_private_segment_wavefront_offset 1
		.amdhsa_system_sgpr_workgroup_id_x 1
		.amdhsa_system_sgpr_workgroup_id_y 0
		.amdhsa_system_sgpr_workgroup_id_z 1
		.amdhsa_system_sgpr_workgroup_info 0
		.amdhsa_system_vgpr_workitem_id 0
		.amdhsa_next_free_vgpr 43
		.amdhsa_next_free_sgpr 54
		.amdhsa_accum_offset 44
		.amdhsa_reserve_vcc 1
		.amdhsa_reserve_flat_scratch 0
		.amdhsa_float_round_mode_32 0
		.amdhsa_float_round_mode_16_64 0
		.amdhsa_float_denorm_mode_32 3
		.amdhsa_float_denorm_mode_16_64 3
		.amdhsa_dx10_clamp 1
		.amdhsa_ieee_mode 1
		.amdhsa_fp16_overflow 0
		.amdhsa_tg_split 0
		.amdhsa_exception_fp_ieee_invalid_op 0
		.amdhsa_exception_fp_denorm_src 0
		.amdhsa_exception_fp_ieee_div_zero 0
		.amdhsa_exception_fp_ieee_overflow 0
		.amdhsa_exception_fp_ieee_underflow 0
		.amdhsa_exception_fp_ieee_inexact 0
		.amdhsa_exception_int_div_zero 0
	.end_amdhsa_kernel
	.section	.text._ZL38rocblas_trsm_small_left_device_sharedBILi24ELi24ELb1E19rocblas_complex_numIfES1_PKS1_PS1_Ev13rocblas_fill_18rocblas_operation_17rocblas_diagonal_iiT3_T4_lilT5_lili,"axG",@progbits,_ZL38rocblas_trsm_small_left_device_sharedBILi24ELi24ELb1E19rocblas_complex_numIfES1_PKS1_PS1_Ev13rocblas_fill_18rocblas_operation_17rocblas_diagonal_iiT3_T4_lilT5_lili,comdat
.Lfunc_end160:
	.size	_ZL38rocblas_trsm_small_left_device_sharedBILi24ELi24ELb1E19rocblas_complex_numIfES1_PKS1_PS1_Ev13rocblas_fill_18rocblas_operation_17rocblas_diagonal_iiT3_T4_lilT5_lili, .Lfunc_end160-_ZL38rocblas_trsm_small_left_device_sharedBILi24ELi24ELb1E19rocblas_complex_numIfES1_PKS1_PS1_Ev13rocblas_fill_18rocblas_operation_17rocblas_diagonal_iiT3_T4_lilT5_lili
                                        ; -- End function
	.section	.AMDGPU.csdata,"",@progbits
; Kernel info:
; codeLenInByte = 5356
; NumSgprs: 58
; NumVgprs: 43
; NumAgprs: 0
; TotalNumVgprs: 43
; ScratchSize: 208
; MemoryBound: 0
; FloatMode: 240
; IeeeMode: 1
; LDSByteSize: 9216 bytes/workgroup (compile time only)
; SGPRBlocks: 7
; VGPRBlocks: 5
; NumSGPRsForWavesPerEU: 58
; NumVGPRsForWavesPerEU: 43
; AccumOffset: 44
; Occupancy: 2
; WaveLimiterHint : 0
; COMPUTE_PGM_RSRC2:SCRATCH_EN: 1
; COMPUTE_PGM_RSRC2:USER_SGPR: 8
; COMPUTE_PGM_RSRC2:TRAP_HANDLER: 0
; COMPUTE_PGM_RSRC2:TGID_X_EN: 1
; COMPUTE_PGM_RSRC2:TGID_Y_EN: 0
; COMPUTE_PGM_RSRC2:TGID_Z_EN: 1
; COMPUTE_PGM_RSRC2:TIDIG_COMP_CNT: 0
; COMPUTE_PGM_RSRC3_GFX90A:ACCUM_OFFSET: 10
; COMPUTE_PGM_RSRC3_GFX90A:TG_SPLIT: 0
	.section	.text._ZL30rocblas_trsm_small_left_deviceILi24ELi24ELb1E19rocblas_complex_numIfES1_PKS1_PS1_Ev13rocblas_fill_18rocblas_operation_17rocblas_diagonal_iiT3_T4_lilT5_lili,"axG",@progbits,_ZL30rocblas_trsm_small_left_deviceILi24ELi24ELb1E19rocblas_complex_numIfES1_PKS1_PS1_Ev13rocblas_fill_18rocblas_operation_17rocblas_diagonal_iiT3_T4_lilT5_lili,comdat
	.globl	_ZL30rocblas_trsm_small_left_deviceILi24ELi24ELb1E19rocblas_complex_numIfES1_PKS1_PS1_Ev13rocblas_fill_18rocblas_operation_17rocblas_diagonal_iiT3_T4_lilT5_lili ; -- Begin function _ZL30rocblas_trsm_small_left_deviceILi24ELi24ELb1E19rocblas_complex_numIfES1_PKS1_PS1_Ev13rocblas_fill_18rocblas_operation_17rocblas_diagonal_iiT3_T4_lilT5_lili
	.p2align	8
	.type	_ZL30rocblas_trsm_small_left_deviceILi24ELi24ELb1E19rocblas_complex_numIfES1_PKS1_PS1_Ev13rocblas_fill_18rocblas_operation_17rocblas_diagonal_iiT3_T4_lilT5_lili,@function
_ZL30rocblas_trsm_small_left_deviceILi24ELi24ELb1E19rocblas_complex_numIfES1_PKS1_PS1_Ev13rocblas_fill_18rocblas_operation_17rocblas_diagonal_iiT3_T4_lilT5_lili: ; @_ZL30rocblas_trsm_small_left_deviceILi24ELi24ELb1E19rocblas_complex_numIfES1_PKS1_PS1_Ev13rocblas_fill_18rocblas_operation_17rocblas_diagonal_iiT3_T4_lilT5_lili
; %bb.0:
	s_add_u32 s0, s0, s10
	s_load_dwordx4 s[16:19], s[4:5], 0x4
	s_load_dwordx2 s[24:25], s[4:5], 0x14
	s_load_dwordx4 s[12:15], s[4:5], 0x38
	s_load_dwordx2 s[26:27], s[4:5], 0x48
	s_load_dword s43, s[4:5], 0x68
	s_addc_u32 s1, s1, 0
	s_waitcnt lgkmcnt(0)
	s_min_i32 s33, s18, 24
	s_mov_b32 s44, 0
	s_add_i32 s42, s33, -1
	v_cmp_gt_i32_e32 vcc, s33, v0
	s_and_saveexec_b64 s[28:29], vcc
	s_cbranch_execz .LBB161_35
; %bb.1:
	s_load_dword s30, s[4:5], 0x30
	s_load_dwordx4 s[20:23], s[4:5], 0x20
	s_mul_i32 s6, s9, s13
	s_mul_hi_u32 s7, s9, s12
	s_mul_i32 s12, s9, s12
	s_waitcnt lgkmcnt(0)
	s_ashr_i32 s31, s30, 31
	s_cmpk_lg_i32 s16, 0x71
	s_cselect_b64 s[34:35], -1, 0
	s_add_i32 s13, s7, s6
	v_cndmask_b32_e64 v2, 0, 1, s[34:35]
	s_cmp_lt_u32 s42, 3
	v_lshlrev_b32_e32 v1, 3, v0
	v_cmp_ne_u32_e64 s[6:7], 1, v2
	s_cbranch_scc1 .LBB161_20
; %bb.2:
	s_lshl_b64 s[10:11], s[12:13], 3
	s_add_u32 s18, s20, s10
	s_addc_u32 s36, s21, s11
	s_lshl_b64 s[10:11], s[22:23], 3
	s_add_u32 s10, s18, s10
	s_addc_u32 s11, s36, s11
	v_mov_b32_e32 v3, s11
	v_add_co_u32_e32 v2, vcc, s10, v1
	s_mul_hi_i32 s10, s30, 24
	s_lshl_b64 s[36:37], s[30:31], 5
	s_lshl_b64 s[38:39], s[30:31], 4
	;; [unrolled: 1-line block ×3, first 2 shown]
	v_addc_co_u32_e32 v3, vcc, 0, v3, vcc
	s_and_b32 s44, s33, -4
	s_mul_i32 s18, s30, 24
	s_mov_b32 s45, 0
	v_mov_b32_e32 v8, s41
	v_mov_b32_e32 v9, s39
	;; [unrolled: 1-line block ×5, first 2 shown]
	s_branch .LBB161_4
.LBB161_3:                              ;   in Loop: Header=BB161_4 Depth=1
	global_load_dword v4, v[6:7], off
	s_add_i32 s45, s45, 4
	v_add_co_u32_e32 v2, vcc, s36, v2
	v_addc_co_u32_e32 v3, vcc, v3, v11, vcc
	s_cmp_eq_u32 s44, s45
	s_waitcnt vmcnt(0)
	ds_write_b64 v12, v[4:5] offset:576
	v_add_u32_e32 v12, 0x300, v12
	s_cbranch_scc1 .LBB161_20
.LBB161_4:                              ; =>This Inner Loop Header: Depth=1
	s_and_b64 vcc, exec, s[34:35]
	s_cbranch_vccz .LBB161_6
; %bb.5:                                ;   in Loop: Header=BB161_4 Depth=1
	global_load_dword v5, v[2:3], off offset:4
	s_cbranch_execz .LBB161_7
	s_branch .LBB161_8
.LBB161_6:                              ;   in Loop: Header=BB161_4 Depth=1
                                        ; implicit-def: $vgpr5
.LBB161_7:                              ;   in Loop: Header=BB161_4 Depth=1
	global_load_dword v4, v[2:3], off offset:4
	s_waitcnt vmcnt(0)
	v_xor_b32_e32 v5, 0x80000000, v4
.LBB161_8:                              ;   in Loop: Header=BB161_4 Depth=1
	global_load_dword v4, v[2:3], off
	v_add_co_u32_e64 v6, s[10:11], s40, v2
	s_and_b64 vcc, exec, s[6:7]
	v_addc_co_u32_e64 v7, s[10:11], v3, v8, s[10:11]
	s_waitcnt vmcnt(0)
	ds_write_b64 v12, v[4:5]
	s_cbranch_vccnz .LBB161_10
; %bb.9:                                ;   in Loop: Header=BB161_4 Depth=1
	global_load_dword v5, v[6:7], off offset:4
	s_cbranch_execz .LBB161_11
	s_branch .LBB161_12
.LBB161_10:                             ;   in Loop: Header=BB161_4 Depth=1
                                        ; implicit-def: $vgpr5
.LBB161_11:                             ;   in Loop: Header=BB161_4 Depth=1
	global_load_dword v4, v[6:7], off offset:4
	s_waitcnt vmcnt(0)
	v_xor_b32_e32 v5, 0x80000000, v4
.LBB161_12:                             ;   in Loop: Header=BB161_4 Depth=1
	global_load_dword v4, v[6:7], off
	v_add_co_u32_e64 v6, s[10:11], s38, v2
	s_and_b64 vcc, exec, s[6:7]
	v_addc_co_u32_e64 v7, s[10:11], v3, v9, s[10:11]
	s_waitcnt vmcnt(0)
	ds_write_b64 v12, v[4:5] offset:192
	s_cbranch_vccnz .LBB161_14
; %bb.13:                               ;   in Loop: Header=BB161_4 Depth=1
	global_load_dword v5, v[6:7], off offset:4
	s_cbranch_execz .LBB161_15
	s_branch .LBB161_16
.LBB161_14:                             ;   in Loop: Header=BB161_4 Depth=1
                                        ; implicit-def: $vgpr5
.LBB161_15:                             ;   in Loop: Header=BB161_4 Depth=1
	global_load_dword v4, v[6:7], off offset:4
	s_waitcnt vmcnt(0)
	v_xor_b32_e32 v5, 0x80000000, v4
.LBB161_16:                             ;   in Loop: Header=BB161_4 Depth=1
	global_load_dword v4, v[6:7], off
	v_add_co_u32_e64 v6, s[10:11], s18, v2
	s_and_b64 vcc, exec, s[6:7]
	v_addc_co_u32_e64 v7, s[10:11], v3, v10, s[10:11]
	s_waitcnt vmcnt(0)
	ds_write_b64 v12, v[4:5] offset:384
	s_cbranch_vccnz .LBB161_18
; %bb.17:                               ;   in Loop: Header=BB161_4 Depth=1
	global_load_dword v5, v[6:7], off offset:4
	s_cbranch_execnz .LBB161_3
	s_branch .LBB161_19
.LBB161_18:                             ;   in Loop: Header=BB161_4 Depth=1
                                        ; implicit-def: $vgpr5
.LBB161_19:                             ;   in Loop: Header=BB161_4 Depth=1
	global_load_dword v4, v[6:7], off offset:4
	s_waitcnt vmcnt(0)
	v_xor_b32_e32 v5, 0x80000000, v4
	s_branch .LBB161_3
.LBB161_20:
	s_and_b32 s18, s33, 3
	s_cmp_eq_u32 s18, 0
	s_cbranch_scc1 .LBB161_27
; %bb.21:
	s_mul_i32 s10, s44, 0xc0
	v_lshl_add_u32 v6, v0, 3, s10
	s_lshl_b64 s[10:11], s[12:13], 3
	s_mul_i32 s12, s31, s44
	s_mul_hi_u32 s13, s30, s44
	s_add_i32 s13, s13, s12
	s_mul_i32 s12, s30, s44
	s_lshl_b64 s[12:13], s[12:13], 3
	s_add_u32 s12, s10, s12
	s_addc_u32 s13, s11, s13
	s_lshl_b64 s[10:11], s[22:23], 3
	s_add_u32 s10, s12, s10
	s_addc_u32 s11, s13, s11
	s_add_u32 s10, s20, s10
	s_addc_u32 s11, s21, s11
	v_mov_b32_e32 v2, s11
	v_add_co_u32_e32 v1, vcc, s10, v1
	v_addc_co_u32_e32 v3, vcc, 0, v2, vcc
	v_add_co_u32_e32 v2, vcc, 4, v1
	s_lshl_b64 s[10:11], s[30:31], 3
	v_addc_co_u32_e32 v3, vcc, 0, v3, vcc
	v_mov_b32_e32 v1, s11
	s_branch .LBB161_23
.LBB161_22:                             ;   in Loop: Header=BB161_23 Depth=1
	global_load_dword v4, v[2:3], off offset:-4
	s_add_i32 s18, s18, -1
	v_add_co_u32_e32 v2, vcc, s10, v2
	s_cmp_lg_u32 s18, 0
	v_addc_co_u32_e32 v3, vcc, v3, v1, vcc
	s_waitcnt vmcnt(0)
	ds_write_b64 v6, v[4:5]
	v_add_u32_e32 v6, 0xc0, v6
	s_cbranch_scc0 .LBB161_27
.LBB161_23:                             ; =>This Inner Loop Header: Depth=1
	s_and_b64 vcc, exec, s[6:7]
	s_cbranch_vccnz .LBB161_25
; %bb.24:                               ;   in Loop: Header=BB161_23 Depth=1
	global_load_dword v5, v[2:3], off
	s_cbranch_execnz .LBB161_22
	s_branch .LBB161_26
.LBB161_25:                             ;   in Loop: Header=BB161_23 Depth=1
                                        ; implicit-def: $vgpr5
.LBB161_26:                             ;   in Loop: Header=BB161_23 Depth=1
	global_load_dword v4, v[2:3], off
	s_waitcnt vmcnt(0)
	v_xor_b32_e32 v5, 0x80000000, v4
	s_branch .LBB161_22
.LBB161_27:
	v_mul_u32_u24_e32 v1, 25, v0
	s_cmpk_lg_i32 s17, 0x84
	v_lshlrev_b32_e32 v1, 3, v1
	s_mov_b64 s[6:7], -1
	s_cbranch_scc0 .LBB161_33
; %bb.28:
	ds_read_b64 v[2:3], v1
	s_mov_b32 s6, 0
	s_waitcnt lgkmcnt(0)
	v_cmp_gt_f32_e32 vcc, 0, v3
	v_cndmask_b32_e64 v4, v3, -v3, vcc
	v_cmp_gt_f32_e32 vcc, 0, v2
	v_cndmask_b32_e64 v5, v2, -v2, vcc
	v_cmp_ngt_f32_e32 vcc, v5, v4
                                        ; implicit-def: $vgpr4_vgpr5
	s_and_saveexec_b64 s[10:11], vcc
	s_xor_b64 s[10:11], exec, s[10:11]
	s_cbranch_execz .LBB161_30
; %bb.29:
	v_div_scale_f32 v4, s[12:13], v3, v3, v2
	v_rcp_f32_e32 v5, v4
	v_div_scale_f32 v6, vcc, v2, v3, v2
	s_mov_b32 s7, -1.0
	v_fma_f32 v7, -v4, v5, 1.0
	v_fmac_f32_e32 v5, v7, v5
	v_mul_f32_e32 v7, v6, v5
	v_fma_f32 v8, -v4, v7, v6
	v_fmac_f32_e32 v7, v8, v5
	v_fma_f32 v4, -v4, v7, v6
	v_div_fmas_f32 v4, v4, v5, v7
	v_div_fixup_f32 v4, v4, v3, v2
	v_fmac_f32_e32 v3, v2, v4
	v_div_scale_f32 v2, s[12:13], v3, v3, 1.0
	v_rcp_f32_e32 v5, v2
	v_fma_f32 v6, -v2, v5, 1.0
	v_fmac_f32_e32 v5, v6, v5
	v_div_scale_f32 v6, vcc, 1.0, v3, 1.0
	v_mul_f32_e32 v7, v6, v5
	v_fma_f32 v8, -v2, v7, v6
	v_fmac_f32_e32 v7, v8, v5
	v_fma_f32 v2, -v2, v7, v6
	v_div_fmas_f32 v2, v2, v5, v7
	v_mul_f32_e32 v5, 0, v4
	v_div_fixup_f32 v2, v2, v3, 1.0
	v_pk_add_f32 v[4:5], v[4:5], s[6:7]
	v_pk_mul_f32 v[4:5], v[4:5], v[2:3] op_sel_hi:[1,0]
                                        ; implicit-def: $vgpr2_vgpr3
.LBB161_30:
	s_andn2_saveexec_b64 s[6:7], s[10:11]
	s_cbranch_execz .LBB161_32
; %bb.31:
	v_div_scale_f32 v4, s[10:11], v2, v2, v3
	v_rcp_f32_e32 v5, v4
	v_div_scale_f32 v6, vcc, v3, v2, v3
	v_fma_f32 v7, -v4, v5, 1.0
	v_fmac_f32_e32 v5, v7, v5
	v_mul_f32_e32 v7, v6, v5
	v_fma_f32 v8, -v4, v7, v6
	v_fmac_f32_e32 v7, v8, v5
	v_fma_f32 v4, -v4, v7, v6
	v_div_fmas_f32 v4, v4, v5, v7
	v_div_fixup_f32 v5, v4, v2, v3
	v_fmac_f32_e32 v2, v3, v5
	v_div_scale_f32 v3, s[10:11], v2, v2, 1.0
	v_rcp_f32_e32 v4, v3
	s_mov_b32 s10, 1.0
	s_mov_b32 s11, 0
	v_fma_f32 v6, -v3, v4, 1.0
	v_fmac_f32_e32 v4, v6, v4
	v_div_scale_f32 v6, vcc, 1.0, v2, 1.0
	v_mul_f32_e32 v7, v6, v4
	v_fma_f32 v8, -v3, v7, v6
	v_fmac_f32_e32 v7, v8, v4
	v_fma_f32 v3, -v3, v7, v6
	v_div_fmas_f32 v3, v3, v4, v7
	v_mul_f32_e32 v4, 0, v5
	v_pk_add_f32 v[6:7], v[4:5], s[10:11]
	v_pk_add_f32 v[4:5], v[4:5], s[10:11] neg_lo:[1,0] neg_hi:[1,0]
	v_div_fixup_f32 v2, v3, v2, 1.0
	v_mov_b32_e32 v7, v5
	v_pk_mul_f32 v[4:5], v[6:7], v[2:3] op_sel_hi:[1,0]
.LBB161_32:
	s_or_b64 exec, exec, s[6:7]
	s_mov_b64 s[6:7], 0
	ds_write_b64 v1, v[4:5]
.LBB161_33:
	s_and_b64 vcc, exec, s[6:7]
	s_cbranch_vccz .LBB161_35
; %bb.34:
	v_mov_b32_e32 v2, 1.0
	v_mov_b32_e32 v3, 0
	ds_write_b64 v1, v[2:3]
.LBB161_35:
	s_or_b64 exec, exec, s[28:29]
	s_mul_i32 s6, s8, 0xffffffe8
	s_add_i32 s43, s43, -1
	s_add_i32 s6, s6, s19
	s_cmp_ge_u32 s8, s43
	s_cselect_b32 s6, s6, 24
	v_cmp_gt_i32_e32 vcc, s6, v0
	s_waitcnt lgkmcnt(0)
	; wave barrier
	s_waitcnt lgkmcnt(0)
	s_and_saveexec_b64 s[6:7], vcc
	s_cbranch_execz .LBB161_103
; %bb.36:
	s_load_dwordx2 s[6:7], s[4:5], 0x58
	s_load_dword s12, s[4:5], 0x50
	s_waitcnt lgkmcnt(0)
	s_mul_i32 s5, s9, s7
	s_mul_hi_u32 s7, s9, s6
	s_mul_i32 s4, s9, s6
	s_add_i32 s5, s7, s5
	s_lshl_b64 s[6:7], s[4:5], 3
	s_add_u32 s4, s14, s6
	s_addc_u32 s5, s15, s7
	s_lshl_b64 s[10:11], s[26:27], 3
	s_add_u32 s9, s4, s10
	s_addc_u32 s13, s5, s11
	v_mad_u64_u32 v[0:1], s[4:5], s8, 24, v[0:1]
	v_mad_i64_i32 v[0:1], s[4:5], s12, v0, 0
	v_lshlrev_b64 v[0:1], 3, v[0:1]
	v_mov_b32_e32 v2, s13
	v_add_co_u32_e32 v10, vcc, s9, v0
	v_addc_co_u32_e32 v11, vcc, v2, v1, vcc
	s_cmpk_eq_i32 s16, 0x6f
	s_mov_b64 s[4:5], -1
	s_cbranch_scc1 .LBB161_70
; %bb.37:
	s_add_u32 s4, s14, s10
	s_addc_u32 s5, s15, s11
	s_add_u32 s4, s4, s6
	s_addc_u32 s5, s5, s7
	v_mov_b32_e32 v2, s5
	v_add_co_u32_e32 v3, vcc, s4, v0
	v_addc_co_u32_e32 v2, vcc, v2, v1, vcc
	v_add_co_u32_e32 v12, vcc, 4, v3
	s_lshl_b32 s34, s33, 3
	s_mov_b32 s17, 0
	s_mov_b32 s8, s24
	;; [unrolled: 1-line block ×5, first 2 shown]
	v_addc_co_u32_e32 v13, vcc, 0, v2, vcc
	s_add_i32 s34, s34, -8
	v_mov_b32_e32 v14, 0
	s_mov_b32 s18, s17
	s_mov_b32 s20, s42
	s_branch .LBB161_39
.LBB161_38:                             ;   in Loop: Header=BB161_39 Depth=1
	s_cmp_lt_i32 s20, 0
	s_cselect_b64 s[4:5], -1, 0
	s_add_i32 s18, s18, 1
	s_cmp_eq_u32 s18, 3
	s_cselect_b64 s[22:23], -1, 0
	s_or_b64 s[4:5], s[4:5], s[22:23]
	s_andn2_b64 vcc, exec, s[4:5]
	s_cbranch_vccz .LBB161_69
.LBB161_39:                             ; =>This Loop Header: Depth=1
                                        ;     Child Loop BB161_42 Depth 2
                                        ;       Child Loop BB161_44 Depth 3
                                        ;       Child Loop BB161_48 Depth 3
	;; [unrolled: 1-line block ×3, first 2 shown]
                                        ;         Child Loop BB161_54 Depth 4
                                        ;         Child Loop BB161_60 Depth 4
                                        ;       Child Loop BB161_63 Depth 3
                                        ;         Child Loop BB161_65 Depth 4
	s_mov_b32 s19, s17
	s_lshl_b64 s[4:5], s[18:19], 2
	s_getpc_b64 s[22:23]
	s_add_u32 s22, s22, __const._ZL30rocblas_trsm_small_left_deviceILi24ELi24ELb1E19rocblas_complex_numIfES1_PKS1_PS1_Ev13rocblas_fill_18rocblas_operation_17rocblas_diagonal_iiT3_T4_lilT5_lili.step_sizes@rel32@lo+4
	s_addc_u32 s23, s23, __const._ZL30rocblas_trsm_small_left_deviceILi24ELi24ELb1E19rocblas_complex_numIfES1_PKS1_PS1_Ev13rocblas_fill_18rocblas_operation_17rocblas_diagonal_iiT3_T4_lilT5_lili.step_sizes@rel32@hi+12
	s_add_u32 s4, s4, s22
	s_addc_u32 s5, s5, s23
	s_load_dword s19, s[4:5], 0x0
	s_waitcnt lgkmcnt(0)
	s_add_i32 s35, s19, -1
	s_cmp_lt_i32 s20, s35
	s_cbranch_scc1 .LBB161_38
; %bb.40:                               ;   in Loop: Header=BB161_39 Depth=1
	s_max_i32 s36, s19, 1
	s_cmp_lg_u32 s18, 2
	s_cselect_b64 s[22:23], -1, 0
	s_and_b32 s37, s36, 0x7ffffffe
	s_cmp_lg_u32 s36, s37
	s_mul_i32 s4, s20, 0xc0
	s_cselect_b64 s[26:27], -1, 0
	s_add_i32 s38, s34, s4
	s_mul_i32 s39, s19, 0xffffff40
	s_mul_i32 s40, s20, 0xc8
	;; [unrolled: 1-line block ×3, first 2 shown]
	s_branch .LBB161_42
.LBB161_41:                             ;   in Loop: Header=BB161_42 Depth=2
	s_sub_i32 s20, s20, s19
	s_add_i32 s38, s38, s39
	s_add_i32 s40, s40, s41
	s_cmp_lt_i32 s20, s35
	s_cbranch_scc1 .LBB161_38
.LBB161_42:                             ;   Parent Loop BB161_39 Depth=1
                                        ; =>  This Loop Header: Depth=2
                                        ;       Child Loop BB161_44 Depth 3
                                        ;       Child Loop BB161_48 Depth 3
	;; [unrolled: 1-line block ×3, first 2 shown]
                                        ;         Child Loop BB161_54 Depth 4
                                        ;         Child Loop BB161_60 Depth 4
                                        ;       Child Loop BB161_63 Depth 3
                                        ;         Child Loop BB161_65 Depth 4
	s_and_b64 vcc, exec, s[22:23]
	s_cbranch_vccz .LBB161_46
; %bb.43:                               ;   in Loop: Header=BB161_42 Depth=2
	v_mov_b32_e32 v2, 0
	s_mov_b32 s21, s20
	s_mov_b32 s28, 1
	;; [unrolled: 1-line block ×4, first 2 shown]
.LBB161_44:                             ;   Parent Loop BB161_39 Depth=1
                                        ;     Parent Loop BB161_42 Depth=2
                                        ; =>    This Inner Loop Header: Depth=3
	s_sub_i32 s4, s20, s29
	s_sub_i32 s44, s21, s28
	s_ashr_i32 s5, s4, 31
	s_ashr_i32 s45, s44, 31
	s_lshl_b64 s[4:5], s[4:5], 3
	s_lshl_b64 s[44:45], s[44:45], 3
	v_mov_b32_e32 v3, s5
	v_add_co_u32_e64 v6, s[4:5], s4, v10
	v_mov_b32_e32 v5, s45
	v_add_co_u32_e32 v4, vcc, s44, v10
	v_addc_co_u32_e64 v7, s[4:5], v11, v3, s[4:5]
	v_addc_co_u32_e32 v5, vcc, v11, v5, vcc
	global_load_dwordx2 v[8:9], v[6:7], off
	global_load_dwordx2 v[16:17], v[4:5], off
	s_add_i32 s29, s29, 2
	s_add_i32 s28, s28, 2
	s_add_i32 s30, s30, -2
	s_mov_b32 s16, s37
	s_mov_b64 s[4:5], s[26:27]
	s_cmp_lg_u32 s30, 0
	s_waitcnt vmcnt(1)
	v_mov_b32_e32 v4, v8
	s_waitcnt vmcnt(0)
	v_mov_b32_e32 v5, v16
	v_mov_b32_e32 v16, v9
	v_pk_mul_f32 v[6:7], v[16:17], s[12:13]
	v_pk_mul_f32 v[8:9], v[16:17], s[8:9]
	v_pk_fma_f32 v[6:7], v[4:5], s[8:9], v[6:7] neg_lo:[0,0,1] neg_hi:[0,0,1]
	v_pk_fma_f32 v[4:5], v[4:5], s[12:13], v[8:9]
	buffer_store_dword v4, v2, s[0:3], 0 offen offset:4
	buffer_store_dword v6, v2, s[0:3], 0 offen
	buffer_store_dword v5, v2, s[0:3], 0 offen offset:12
	buffer_store_dword v7, v2, s[0:3], 0 offen offset:8
	v_add_u32_e32 v2, 16, v2
	s_cbranch_scc1 .LBB161_44
; %bb.45:                               ;   in Loop: Header=BB161_42 Depth=2
	s_ashr_i32 s21, s20, 31
	s_and_b64 vcc, exec, s[4:5]
	s_cbranch_vccnz .LBB161_47
	s_branch .LBB161_49
.LBB161_46:                             ;   in Loop: Header=BB161_42 Depth=2
	s_mov_b32 s16, 0
	s_ashr_i32 s21, s20, 31
	s_cbranch_execz .LBB161_49
.LBB161_47:                             ;   in Loop: Header=BB161_42 Depth=2
	s_lshl_b64 s[28:29], s[20:21], 3
	s_sub_i32 s4, s36, s16
	s_lshl_b64 s[30:31], s[16:17], 3
	s_sub_u32 s5, s28, s30
	s_subb_u32 s28, s29, s31
	v_mov_b32_e32 v3, s28
	v_add_co_u32_e32 v2, vcc, s5, v12
	s_lshl_b32 s5, s16, 3
	v_addc_co_u32_e32 v3, vcc, v13, v3, vcc
	v_add_u32_e32 v4, s5, v14
.LBB161_48:                             ;   Parent Loop BB161_39 Depth=1
                                        ;     Parent Loop BB161_42 Depth=2
                                        ; =>    This Inner Loop Header: Depth=3
	global_load_dwordx2 v[6:7], v[2:3], off offset:-4
	s_add_i32 s4, s4, -1
	v_add_co_u32_e32 v2, vcc, -8, v2
	v_addc_co_u32_e32 v3, vcc, -1, v3, vcc
	s_cmp_eq_u32 s4, 0
	s_waitcnt vmcnt(0)
	v_mul_f32_e32 v5, s25, v7
	v_mul_f32_e32 v7, s24, v7
	v_fma_f32 v5, v6, s24, -v5
	v_fmac_f32_e32 v7, s25, v6
	buffer_store_dword v5, v4, s[0:3], 0 offen
	buffer_store_dword v7, v4, s[0:3], 0 offen offset:4
	v_add_u32_e32 v4, 8, v4
	s_cbranch_scc0 .LBB161_48
.LBB161_49:                             ;   in Loop: Header=BB161_42 Depth=2
	s_cmp_le_i32 s42, s20
	s_cbranch_scc1 .LBB161_61
; %bb.50:                               ;   in Loop: Header=BB161_42 Depth=2
	s_mov_b32 s16, s20
	s_mov_b32 s43, s20
	;; [unrolled: 1-line block ×4, first 2 shown]
	s_branch .LBB161_52
.LBB161_51:                             ;   in Loop: Header=BB161_52 Depth=3
	s_add_i32 s4, s4, -1
	s_add_i32 s44, s44, -8
	s_cmp_le_i32 s4, s20
	s_cbranch_scc1 .LBB161_61
.LBB161_52:                             ;   Parent Loop BB161_39 Depth=1
                                        ;     Parent Loop BB161_42 Depth=2
                                        ; =>    This Loop Header: Depth=3
                                        ;         Child Loop BB161_54 Depth 4
                                        ;         Child Loop BB161_60 Depth 4
	s_ashr_i32 s5, s4, 31
	s_lshl_b64 s[28:29], s[4:5], 3
	s_waitcnt vmcnt(0)
	v_mov_b32_e32 v3, s29
	v_add_co_u32_e32 v2, vcc, s28, v10
	v_addc_co_u32_e32 v3, vcc, v11, v3, vcc
	global_load_dwordx2 v[2:3], v[2:3], off
	s_and_b64 vcc, exec, s[22:23]
	s_cbranch_vccz .LBB161_56
; %bb.53:                               ;   in Loop: Header=BB161_52 Depth=3
	s_mov_b32 s5, s4
	s_waitcnt vmcnt(0)
	v_mov_b32_e32 v6, v2
	v_mov_b32_e32 v7, v2
	;; [unrolled: 1-line block ×6, first 2 shown]
	s_mov_b32 s28, 1
	s_mov_b32 s29, 0
	;; [unrolled: 1-line block ×3, first 2 shown]
.LBB161_54:                             ;   Parent Loop BB161_39 Depth=1
                                        ;     Parent Loop BB161_42 Depth=2
                                        ;       Parent Loop BB161_52 Depth=3
                                        ; =>      This Inner Loop Header: Depth=4
	buffer_load_dword v16, v5, s[0:3], 0 offen
	buffer_load_dword v18, v5, s[0:3], 0 offen offset:4
	buffer_load_dword v17, v5, s[0:3], 0 offen offset:8
	;; [unrolled: 1-line block ×3, first 2 shown]
	s_sub_i32 s31, s43, s28
	s_sub_i32 s45, s16, s29
	s_mul_i32 s45, s45, 24
	s_mul_i32 s31, s31, 24
	s_add_i32 s31, s31, s5
	s_add_i32 s45, s45, s4
	s_lshl_b32 s45, s45, 3
	s_lshl_b32 s31, s31, 3
	v_mov_b32_e32 v15, s45
	v_mov_b32_e32 v22, s31
	ds_read_b64 v[20:21], v15
	ds_read_b64 v[22:23], v22
	s_add_i32 s29, s29, 2
	s_add_i32 s28, s28, 2
	s_add_i32 s30, s30, -2
	s_waitcnt lgkmcnt(1)
	v_mov_b32_e32 v24, v20
	s_waitcnt lgkmcnt(0)
	v_mov_b32_e32 v25, v22
	v_mov_b32_e32 v22, v21
	v_pk_mul_f32 v[20:21], v[22:23], v[8:9]
	v_pk_mul_f32 v[22:23], v[22:23], v[6:7]
	v_pk_fma_f32 v[20:21], v[24:25], v[6:7], v[20:21] neg_lo:[0,0,1] neg_hi:[0,0,1]
	v_pk_fma_f32 v[22:23], v[24:25], v[8:9], v[22:23]
	s_cmp_lg_u32 s30, 0
	s_waitcnt vmcnt(1)
	v_pk_add_f32 v[16:17], v[16:17], v[20:21] neg_lo:[0,1] neg_hi:[0,1]
	s_waitcnt vmcnt(0)
	v_pk_add_f32 v[18:19], v[18:19], v[22:23] neg_lo:[0,1] neg_hi:[0,1]
	buffer_store_dword v16, v5, s[0:3], 0 offen
	buffer_store_dword v18, v5, s[0:3], 0 offen offset:4
	buffer_store_dword v17, v5, s[0:3], 0 offen offset:8
	;; [unrolled: 1-line block ×3, first 2 shown]
	v_add_u32_e32 v5, 16, v5
	s_cbranch_scc1 .LBB161_54
; %bb.55:                               ;   in Loop: Header=BB161_52 Depth=3
	s_mov_b64 s[28:29], s[26:27]
	s_mov_b32 s30, s37
	s_branch .LBB161_58
.LBB161_56:                             ;   in Loop: Header=BB161_52 Depth=3
	s_mov_b64 s[28:29], 0
                                        ; implicit-def: $vgpr4_vgpr5
	s_mov_b32 s30, s37
	s_cbranch_execz .LBB161_58
; %bb.57:                               ;   in Loop: Header=BB161_52 Depth=3
	s_waitcnt vmcnt(0)
	v_mov_b32_e32 v4, v3
	s_mov_b64 s[28:29], -1
	s_mov_b32 s30, 0
.LBB161_58:                             ;   in Loop: Header=BB161_52 Depth=3
	s_andn2_b64 vcc, exec, s[28:29]
	s_cbranch_vccnz .LBB161_51
; %bb.59:                               ;   in Loop: Header=BB161_52 Depth=3
	s_mul_i32 s28, s30, 0xffffff40
	s_lshl_b32 s29, s30, 3
	s_waitcnt vmcnt(0)
	v_mov_b32_e32 v5, v3
	v_mov_b32_e32 v3, v2
	s_sub_i32 s5, s36, s30
	s_add_i32 s28, s44, s28
	v_add_u32_e32 v6, s29, v14
.LBB161_60:                             ;   Parent Loop BB161_39 Depth=1
                                        ;     Parent Loop BB161_42 Depth=2
                                        ;       Parent Loop BB161_52 Depth=3
                                        ; =>      This Inner Loop Header: Depth=4
	buffer_load_dword v8, v6, s[0:3], 0 offen
	buffer_load_dword v9, v6, s[0:3], 0 offen offset:4
	v_mov_b32_e32 v7, s28
	ds_read_b64 v[16:17], v7
	s_add_i32 s5, s5, -1
	s_addk_i32 s28, 0xff40
	s_cmp_eq_u32 s5, 0
	s_waitcnt lgkmcnt(0)
	v_pk_mul_f32 v[18:19], v[16:17], v[4:5]
	v_pk_fma_f32 v[20:21], v[16:17], v[2:3], v[18:19] op_sel:[0,0,1] op_sel_hi:[1,1,0] neg_lo:[0,0,1] neg_hi:[0,0,1]
	v_pk_fma_f32 v[16:17], v[16:17], v[2:3], v[18:19] op_sel:[0,0,1] op_sel_hi:[1,1,0]
	v_mov_b32_e32 v21, v17
	s_waitcnt vmcnt(0)
	v_pk_add_f32 v[8:9], v[8:9], v[20:21] neg_lo:[0,1] neg_hi:[0,1]
	buffer_store_dword v8, v6, s[0:3], 0 offen
	buffer_store_dword v9, v6, s[0:3], 0 offen offset:4
	v_add_u32_e32 v6, 8, v6
	s_cbranch_scc0 .LBB161_60
	s_branch .LBB161_51
.LBB161_61:                             ;   in Loop: Header=BB161_42 Depth=2
	s_mov_b32 s16, 0
	s_mov_b32 s43, s40
	s_branch .LBB161_63
.LBB161_62:                             ;   in Loop: Header=BB161_63 Depth=3
	s_mulk_i32 s28, 0xc8
	v_mov_b32_e32 v4, s28
	ds_read_b64 v[4:5], v4
	s_lshl_b64 s[4:5], s[4:5], 3
	s_lshl_b32 s28, s16, 3
	s_add_i32 s16, s16, 1
	s_addk_i32 s43, 0xff40
	s_waitcnt vmcnt(0) lgkmcnt(0)
	v_mul_f32_e32 v6, v5, v3
	v_mul_f32_e32 v7, v4, v3
	v_fma_f32 v6, v4, v2, -v6
	v_fmac_f32_e32 v7, v5, v2
	v_mov_b32_e32 v3, s5
	v_add_co_u32_e32 v2, vcc, s4, v10
	v_add_u32_e32 v8, s28, v14
	v_addc_co_u32_e32 v3, vcc, v11, v3, vcc
	s_cmp_eq_u32 s16, s36
	buffer_store_dword v6, v8, s[0:3], 0 offen
	buffer_store_dword v7, v8, s[0:3], 0 offen offset:4
	global_store_dwordx2 v[2:3], v[6:7], off
	s_cbranch_scc1 .LBB161_41
.LBB161_63:                             ;   Parent Loop BB161_39 Depth=1
                                        ;     Parent Loop BB161_42 Depth=2
                                        ; =>    This Loop Header: Depth=3
                                        ;         Child Loop BB161_65 Depth 4
	s_cmp_lg_u32 s16, 0
	s_cbranch_scc0 .LBB161_67
; %bb.64:                               ;   in Loop: Header=BB161_63 Depth=3
	s_lshl_b32 s4, s16, 3
	v_add_u32_e32 v4, s4, v14
	buffer_load_dword v2, v4, s[0:3], 0 offen
	buffer_load_dword v3, v4, s[0:3], 0 offen offset:4
	v_mov_b32_e32 v5, 0
	s_mov_b32 s4, 0
	s_mov_b32 s5, s43
.LBB161_65:                             ;   Parent Loop BB161_39 Depth=1
                                        ;     Parent Loop BB161_42 Depth=2
                                        ;       Parent Loop BB161_63 Depth=3
                                        ; =>      This Inner Loop Header: Depth=4
	buffer_load_dword v7, v5, s[0:3], 0 offen offset:4
	buffer_load_dword v6, v5, s[0:3], 0 offen
	v_mov_b32_e32 v8, s5
	ds_read_b64 v[8:9], v8
	s_add_i32 s4, s4, 1
	s_add_i32 s5, s5, -8
	v_add_u32_e32 v5, 8, v5
	s_cmp_ge_u32 s4, s16
	s_waitcnt vmcnt(1)
	v_mov_b32_e32 v16, v7
	s_waitcnt lgkmcnt(0)
	v_pk_mul_f32 v[16:17], v[8:9], v[16:17] op_sel_hi:[1,0]
	s_waitcnt vmcnt(0)
	v_pk_fma_f32 v[18:19], v[8:9], v[6:7], v[16:17] op_sel:[0,0,1] op_sel_hi:[1,1,0] neg_lo:[0,0,1] neg_hi:[0,0,1]
	v_pk_fma_f32 v[6:7], v[8:9], v[6:7], v[16:17] op_sel:[0,0,1] op_sel_hi:[1,0,0]
	v_mov_b32_e32 v19, v7
	v_pk_add_f32 v[2:3], v[2:3], v[18:19] neg_lo:[0,1] neg_hi:[0,1]
	buffer_store_dword v2, v4, s[0:3], 0 offen
	buffer_store_dword v3, v4, s[0:3], 0 offen offset:4
	s_cbranch_scc0 .LBB161_65
; %bb.66:                               ;   in Loop: Header=BB161_63 Depth=3
	s_sub_i32 s28, s20, s16
	s_ashr_i32 s29, s28, 31
	s_mov_b64 s[4:5], s[28:29]
	s_branch .LBB161_62
.LBB161_67:                             ;   in Loop: Header=BB161_63 Depth=3
                                        ; implicit-def: $vgpr2
                                        ; implicit-def: $sgpr28
                                        ; implicit-def: $sgpr4_sgpr5
	s_cbranch_execz .LBB161_62
; %bb.68:                               ;   in Loop: Header=BB161_63 Depth=3
	buffer_load_dword v2, off, s[0:3], 0
	buffer_load_dword v3, off, s[0:3], 0 offset:4
	s_mov_b64 s[4:5], s[20:21]
	s_mov_b32 s28, s20
	s_branch .LBB161_62
.LBB161_69:
	s_mov_b64 s[4:5], 0
.LBB161_70:
	s_and_b64 vcc, exec, s[4:5]
	s_cbranch_vccz .LBB161_103
; %bb.71:
	s_add_u32 s4, s14, s10
	s_addc_u32 s5, s15, s11
	s_add_u32 s4, s4, s6
	s_addc_u32 s5, s5, s7
	v_mov_b32_e32 v2, s5
	v_add_co_u32_e32 v0, vcc, s4, v0
	v_addc_co_u32_e32 v1, vcc, v2, v1, vcc
	v_add_co_u32_e32 v8, vcc, 4, v0
	s_mov_b32 s7, 0
	s_mov_b32 s8, s24
	;; [unrolled: 1-line block ×5, first 2 shown]
	v_addc_co_u32_e32 v9, vcc, 0, v1, vcc
	v_mov_b32_e32 v12, 0
	s_mov_b32 s20, s7
	s_mov_b32 s10, s7
	s_branch .LBB161_73
.LBB161_72:                             ;   in Loop: Header=BB161_73 Depth=1
	s_cmp_ge_i32 s20, s33
	s_cselect_b64 s[4:5], -1, 0
	s_add_i32 s10, s10, 1
	s_cmp_eq_u32 s10, 3
	s_cselect_b64 s[14:15], -1, 0
	s_or_b64 s[4:5], s[4:5], s[14:15]
	s_and_b64 vcc, exec, s[4:5]
	s_cbranch_vccnz .LBB161_103
.LBB161_73:                             ; =>This Loop Header: Depth=1
                                        ;     Child Loop BB161_76 Depth 2
                                        ;       Child Loop BB161_78 Depth 3
                                        ;       Child Loop BB161_82 Depth 3
	;; [unrolled: 1-line block ×3, first 2 shown]
                                        ;         Child Loop BB161_88 Depth 4
                                        ;         Child Loop BB161_94 Depth 4
                                        ;       Child Loop BB161_97 Depth 3
                                        ;         Child Loop BB161_99 Depth 4
	s_mov_b32 s11, s7
	s_lshl_b64 s[4:5], s[10:11], 2
	s_getpc_b64 s[14:15]
	s_add_u32 s14, s14, __const._ZL30rocblas_trsm_small_left_deviceILi24ELi24ELb1E19rocblas_complex_numIfES1_PKS1_PS1_Ev13rocblas_fill_18rocblas_operation_17rocblas_diagonal_iiT3_T4_lilT5_lili.step_sizes@rel32@lo+4
	s_addc_u32 s15, s15, __const._ZL30rocblas_trsm_small_left_deviceILi24ELi24ELb1E19rocblas_complex_numIfES1_PKS1_PS1_Ev13rocblas_fill_18rocblas_operation_17rocblas_diagonal_iiT3_T4_lilT5_lili.step_sizes@rel32@hi+12
	s_add_u32 s4, s4, s14
	s_addc_u32 s5, s5, s15
	s_load_dword s11, s[4:5], 0x0
	s_waitcnt lgkmcnt(0)
	s_add_i32 s21, s11, -1
	s_add_i32 s4, s21, s20
	s_cmp_ge_i32 s4, s33
	s_cbranch_scc1 .LBB161_72
; %bb.74:                               ;   in Loop: Header=BB161_73 Depth=1
	s_max_i32 s22, s11, 1
	s_cmp_lg_u32 s10, 2
	s_cselect_b64 s[14:15], -1, 0
	s_and_b32 s23, s22, 0x7ffffffe
	s_cmp_lg_u32 s22, s23
	s_cselect_b64 s[16:17], -1, 0
	s_ashr_i32 s26, s20, 31
	s_ashr_i32 s27, s11, 31
	s_mul_i32 s28, s20, 0xc8
	s_mul_i32 s29, s11, 0xc8
	s_branch .LBB161_76
.LBB161_75:                             ;   in Loop: Header=BB161_76 Depth=2
	s_add_u32 s20, s20, s11
	s_addc_u32 s26, s26, s27
	s_add_i32 s4, s21, s20
	s_add_i32 s28, s28, s29
	s_cmp_ge_i32 s4, s33
	s_cbranch_scc1 .LBB161_72
.LBB161_76:                             ;   Parent Loop BB161_73 Depth=1
                                        ; =>  This Loop Header: Depth=2
                                        ;       Child Loop BB161_78 Depth 3
                                        ;       Child Loop BB161_82 Depth 3
	;; [unrolled: 1-line block ×3, first 2 shown]
                                        ;         Child Loop BB161_88 Depth 4
                                        ;         Child Loop BB161_94 Depth 4
                                        ;       Child Loop BB161_97 Depth 3
                                        ;         Child Loop BB161_99 Depth 4
	s_and_b64 vcc, exec, s[14:15]
	s_cbranch_vccz .LBB161_80
; %bb.77:                               ;   in Loop: Header=BB161_76 Depth=2
	v_mov_b32_e32 v0, 0
	s_mov_b32 s6, s20
	s_mov_b32 s18, s20
	;; [unrolled: 1-line block ×5, first 2 shown]
.LBB161_78:                             ;   Parent Loop BB161_73 Depth=1
                                        ;     Parent Loop BB161_76 Depth=2
                                        ; =>    This Inner Loop Header: Depth=3
	s_add_i32 s4, s30, s6
	s_add_i32 s34, s19, s18
	s_ashr_i32 s5, s4, 31
	s_ashr_i32 s35, s34, 31
	s_lshl_b64 s[4:5], s[4:5], 3
	s_lshl_b64 s[34:35], s[34:35], 3
	v_mov_b32_e32 v1, s5
	v_add_co_u32_e64 v4, s[4:5], s4, v10
	v_mov_b32_e32 v3, s35
	v_add_co_u32_e32 v2, vcc, s34, v10
	v_addc_co_u32_e64 v5, s[4:5], v11, v1, s[4:5]
	v_addc_co_u32_e32 v3, vcc, v11, v3, vcc
	global_load_dwordx2 v[6:7], v[4:5], off
	global_load_dwordx2 v[14:15], v[2:3], off
	s_add_i32 s30, s30, 2
	s_add_i32 s19, s19, 2
	s_add_i32 s31, s31, -2
	s_mov_b32 s34, s23
	s_mov_b64 s[4:5], s[16:17]
	s_cmp_lg_u32 s31, 0
	s_waitcnt vmcnt(1)
	v_mov_b32_e32 v2, v6
	s_waitcnt vmcnt(0)
	v_mov_b32_e32 v3, v14
	v_mov_b32_e32 v14, v7
	v_pk_mul_f32 v[4:5], v[14:15], s[12:13]
	v_pk_mul_f32 v[6:7], v[14:15], s[8:9]
	v_pk_fma_f32 v[4:5], v[2:3], s[8:9], v[4:5] neg_lo:[0,0,1] neg_hi:[0,0,1]
	v_pk_fma_f32 v[2:3], v[2:3], s[12:13], v[6:7]
	buffer_store_dword v2, v0, s[0:3], 0 offen offset:4
	buffer_store_dword v4, v0, s[0:3], 0 offen
	buffer_store_dword v3, v0, s[0:3], 0 offen offset:12
	buffer_store_dword v5, v0, s[0:3], 0 offen offset:8
	v_add_u32_e32 v0, 16, v0
	s_cbranch_scc1 .LBB161_78
; %bb.79:                               ;   in Loop: Header=BB161_76 Depth=2
	s_and_b64 vcc, exec, s[4:5]
	s_cbranch_vccnz .LBB161_81
	s_branch .LBB161_83
.LBB161_80:                             ;   in Loop: Header=BB161_76 Depth=2
	s_mov_b32 s34, 0
	s_cbranch_execz .LBB161_83
.LBB161_81:                             ;   in Loop: Header=BB161_76 Depth=2
	s_sub_i32 s4, s22, s34
	s_add_u32 s18, s20, s34
	s_addc_u32 s19, s26, 0
	s_lshl_b64 s[18:19], s[18:19], 3
	v_mov_b32_e32 v1, s19
	v_add_co_u32_e32 v0, vcc, s18, v8
	s_lshl_b32 s5, s34, 3
	v_addc_co_u32_e32 v1, vcc, v9, v1, vcc
	v_add_u32_e32 v2, s5, v12
.LBB161_82:                             ;   Parent Loop BB161_73 Depth=1
                                        ;     Parent Loop BB161_76 Depth=2
                                        ; =>    This Inner Loop Header: Depth=3
	global_load_dwordx2 v[4:5], v[0:1], off offset:-4
	s_add_i32 s4, s4, -1
	v_add_co_u32_e32 v0, vcc, 8, v0
	v_addc_co_u32_e32 v1, vcc, 0, v1, vcc
	s_cmp_eq_u32 s4, 0
	s_waitcnt vmcnt(0)
	v_mul_f32_e32 v3, s25, v5
	v_mul_f32_e32 v5, s24, v5
	v_fma_f32 v3, v4, s24, -v3
	v_fmac_f32_e32 v5, s25, v4
	buffer_store_dword v3, v2, s[0:3], 0 offen
	buffer_store_dword v5, v2, s[0:3], 0 offen offset:4
	v_add_u32_e32 v2, 8, v2
	s_cbranch_scc0 .LBB161_82
.LBB161_83:                             ;   in Loop: Header=BB161_76 Depth=2
	s_cmp_lt_i32 s20, 1
	s_cbranch_scc1 .LBB161_95
; %bb.84:                               ;   in Loop: Header=BB161_76 Depth=2
	s_mov_b32 s6, 0
	s_mov_b32 s30, s20
	s_branch .LBB161_86
.LBB161_85:                             ;   in Loop: Header=BB161_86 Depth=3
	s_add_i32 s6, s6, 1
	s_add_i32 s30, s30, 24
	s_cmp_ge_i32 s6, s20
	s_cbranch_scc1 .LBB161_95
.LBB161_86:                             ;   Parent Loop BB161_73 Depth=1
                                        ;     Parent Loop BB161_76 Depth=2
                                        ; =>    This Loop Header: Depth=3
                                        ;         Child Loop BB161_88 Depth 4
                                        ;         Child Loop BB161_94 Depth 4
	s_lshl_b64 s[4:5], s[6:7], 3
	s_waitcnt vmcnt(0)
	v_mov_b32_e32 v1, s5
	v_add_co_u32_e32 v0, vcc, s4, v10
	v_addc_co_u32_e32 v1, vcc, v11, v1, vcc
	global_load_dwordx2 v[0:1], v[0:1], off
	s_and_b64 vcc, exec, s[14:15]
	s_cbranch_vccz .LBB161_90
; %bb.87:                               ;   in Loop: Header=BB161_86 Depth=3
	s_mul_i32 s4, s6, 24
	s_add_i32 s4, s4, s20
	s_mov_b32 s5, s4
	s_waitcnt vmcnt(0)
	v_mov_b32_e32 v4, v0
	v_mov_b32_e32 v5, v0
	;; [unrolled: 1-line block ×6, first 2 shown]
	s_mov_b32 s18, 1
	s_mov_b32 s19, 0
	;; [unrolled: 1-line block ×3, first 2 shown]
.LBB161_88:                             ;   Parent Loop BB161_73 Depth=1
                                        ;     Parent Loop BB161_76 Depth=2
                                        ;       Parent Loop BB161_86 Depth=3
                                        ; =>      This Inner Loop Header: Depth=4
	buffer_load_dword v14, v3, s[0:3], 0 offen
	buffer_load_dword v16, v3, s[0:3], 0 offen offset:4
	buffer_load_dword v15, v3, s[0:3], 0 offen offset:8
	;; [unrolled: 1-line block ×3, first 2 shown]
	s_add_i32 s34, s5, s18
	s_add_i32 s35, s4, s19
	s_lshl_b32 s35, s35, 3
	s_lshl_b32 s34, s34, 3
	v_mov_b32_e32 v13, s35
	v_mov_b32_e32 v20, s34
	ds_read_b64 v[18:19], v13
	ds_read_b64 v[20:21], v20
	s_add_i32 s19, s19, 2
	s_add_i32 s18, s18, 2
	s_add_i32 s31, s31, -2
	s_waitcnt lgkmcnt(1)
	v_mov_b32_e32 v22, v18
	s_waitcnt lgkmcnt(0)
	v_mov_b32_e32 v23, v20
	v_mov_b32_e32 v20, v19
	v_pk_mul_f32 v[18:19], v[20:21], v[6:7]
	v_pk_mul_f32 v[20:21], v[20:21], v[4:5]
	v_pk_fma_f32 v[18:19], v[22:23], v[4:5], v[18:19] neg_lo:[0,0,1] neg_hi:[0,0,1]
	v_pk_fma_f32 v[20:21], v[22:23], v[6:7], v[20:21]
	s_cmp_lg_u32 s31, 0
	s_waitcnt vmcnt(1)
	v_pk_add_f32 v[14:15], v[14:15], v[18:19] neg_lo:[0,1] neg_hi:[0,1]
	s_waitcnt vmcnt(0)
	v_pk_add_f32 v[16:17], v[16:17], v[20:21] neg_lo:[0,1] neg_hi:[0,1]
	buffer_store_dword v14, v3, s[0:3], 0 offen
	buffer_store_dword v16, v3, s[0:3], 0 offen offset:4
	buffer_store_dword v15, v3, s[0:3], 0 offen offset:8
	;; [unrolled: 1-line block ×3, first 2 shown]
	v_add_u32_e32 v3, 16, v3
	s_cbranch_scc1 .LBB161_88
; %bb.89:                               ;   in Loop: Header=BB161_86 Depth=3
	s_mov_b64 s[4:5], s[16:17]
	s_mov_b32 s18, s23
	s_branch .LBB161_92
.LBB161_90:                             ;   in Loop: Header=BB161_86 Depth=3
	s_mov_b64 s[4:5], 0
                                        ; implicit-def: $vgpr2_vgpr3
	s_mov_b32 s18, s23
	s_cbranch_execz .LBB161_92
; %bb.91:                               ;   in Loop: Header=BB161_86 Depth=3
	s_waitcnt vmcnt(0)
	v_mov_b32_e32 v2, v1
	s_mov_b64 s[4:5], -1
	s_mov_b32 s18, 0
.LBB161_92:                             ;   in Loop: Header=BB161_86 Depth=3
	s_andn2_b64 vcc, exec, s[4:5]
	s_cbranch_vccnz .LBB161_85
; %bb.93:                               ;   in Loop: Header=BB161_86 Depth=3
	s_sub_i32 s4, s22, s18
	s_add_i32 s5, s18, s30
	s_lshl_b32 s18, s18, 3
	s_waitcnt vmcnt(0)
	v_mov_b32_e32 v3, v1
	v_mov_b32_e32 v1, v0
	s_lshl_b32 s5, s5, 3
	v_add_u32_e32 v4, s18, v12
.LBB161_94:                             ;   Parent Loop BB161_73 Depth=1
                                        ;     Parent Loop BB161_76 Depth=2
                                        ;       Parent Loop BB161_86 Depth=3
                                        ; =>      This Inner Loop Header: Depth=4
	buffer_load_dword v6, v4, s[0:3], 0 offen
	buffer_load_dword v7, v4, s[0:3], 0 offen offset:4
	v_mov_b32_e32 v5, s5
	ds_read_b64 v[14:15], v5
	s_add_i32 s4, s4, -1
	s_add_i32 s5, s5, 8
	s_cmp_eq_u32 s4, 0
	s_waitcnt lgkmcnt(0)
	v_pk_mul_f32 v[16:17], v[14:15], v[2:3]
	v_pk_fma_f32 v[18:19], v[14:15], v[0:1], v[16:17] op_sel:[0,0,1] op_sel_hi:[1,1,0] neg_lo:[0,0,1] neg_hi:[0,0,1]
	v_pk_fma_f32 v[14:15], v[14:15], v[0:1], v[16:17] op_sel:[0,0,1] op_sel_hi:[1,1,0]
	v_mov_b32_e32 v19, v15
	s_waitcnt vmcnt(0)
	v_pk_add_f32 v[6:7], v[6:7], v[18:19] neg_lo:[0,1] neg_hi:[0,1]
	buffer_store_dword v6, v4, s[0:3], 0 offen
	buffer_store_dword v7, v4, s[0:3], 0 offen offset:4
	v_add_u32_e32 v4, 8, v4
	s_cbranch_scc0 .LBB161_94
	s_branch .LBB161_85
.LBB161_95:                             ;   in Loop: Header=BB161_76 Depth=2
	s_mov_b32 s6, 0
	s_mov_b32 s30, s28
	s_branch .LBB161_97
.LBB161_96:                             ;   in Loop: Header=BB161_97 Depth=3
	s_mul_i32 s5, s4, 0xc8
	v_mov_b32_e32 v2, s5
	ds_read_b64 v[2:3], v2
	s_lshl_b32 s5, s6, 3
	v_add_u32_e32 v6, s5, v12
	s_ashr_i32 s5, s4, 31
	s_lshl_b64 s[4:5], s[4:5], 3
	s_waitcnt vmcnt(0) lgkmcnt(0)
	v_mul_f32_e32 v4, v3, v1
	v_mul_f32_e32 v5, v2, v1
	v_fma_f32 v4, v2, v0, -v4
	v_fmac_f32_e32 v5, v3, v0
	v_mov_b32_e32 v1, s5
	v_add_co_u32_e32 v0, vcc, s4, v10
	s_add_i32 s6, s6, 1
	s_add_i32 s30, s30, 8
	v_addc_co_u32_e32 v1, vcc, v11, v1, vcc
	s_cmp_eq_u32 s6, s22
	buffer_store_dword v4, v6, s[0:3], 0 offen
	buffer_store_dword v5, v6, s[0:3], 0 offen offset:4
	global_store_dwordx2 v[0:1], v[4:5], off
	s_cbranch_scc1 .LBB161_75
.LBB161_97:                             ;   Parent Loop BB161_73 Depth=1
                                        ;     Parent Loop BB161_76 Depth=2
                                        ; =>    This Loop Header: Depth=3
                                        ;         Child Loop BB161_99 Depth 4
	s_cmp_lg_u32 s6, 0
	s_cbranch_scc0 .LBB161_101
; %bb.98:                               ;   in Loop: Header=BB161_97 Depth=3
	s_lshl_b32 s4, s6, 3
	v_add_u32_e32 v2, s4, v12
	buffer_load_dword v0, v2, s[0:3], 0 offen
	buffer_load_dword v1, v2, s[0:3], 0 offen offset:4
	v_mov_b32_e32 v3, 0
	s_mov_b32 s4, 0
	s_mov_b32 s5, s30
.LBB161_99:                             ;   Parent Loop BB161_73 Depth=1
                                        ;     Parent Loop BB161_76 Depth=2
                                        ;       Parent Loop BB161_97 Depth=3
                                        ; =>      This Inner Loop Header: Depth=4
	buffer_load_dword v5, v3, s[0:3], 0 offen offset:4
	buffer_load_dword v4, v3, s[0:3], 0 offen
	v_mov_b32_e32 v6, s5
	ds_read_b64 v[6:7], v6
	s_add_i32 s4, s4, 1
	s_addk_i32 s5, 0xc0
	v_add_u32_e32 v3, 8, v3
	s_cmp_ge_u32 s4, s6
	s_waitcnt vmcnt(1)
	v_mov_b32_e32 v14, v5
	s_waitcnt lgkmcnt(0)
	v_pk_mul_f32 v[14:15], v[6:7], v[14:15] op_sel_hi:[1,0]
	s_waitcnt vmcnt(0)
	v_pk_fma_f32 v[16:17], v[6:7], v[4:5], v[14:15] op_sel:[0,0,1] op_sel_hi:[1,1,0] neg_lo:[0,0,1] neg_hi:[0,0,1]
	v_pk_fma_f32 v[4:5], v[6:7], v[4:5], v[14:15] op_sel:[0,0,1] op_sel_hi:[1,0,0]
	v_mov_b32_e32 v17, v5
	v_pk_add_f32 v[0:1], v[0:1], v[16:17] neg_lo:[0,1] neg_hi:[0,1]
	buffer_store_dword v0, v2, s[0:3], 0 offen
	buffer_store_dword v1, v2, s[0:3], 0 offen offset:4
	s_cbranch_scc0 .LBB161_99
; %bb.100:                              ;   in Loop: Header=BB161_97 Depth=3
	s_add_i32 s4, s6, s20
	s_branch .LBB161_96
.LBB161_101:                            ;   in Loop: Header=BB161_97 Depth=3
                                        ; implicit-def: $vgpr0
                                        ; implicit-def: $sgpr4
	s_cbranch_execz .LBB161_96
; %bb.102:                              ;   in Loop: Header=BB161_97 Depth=3
	buffer_load_dword v0, off, s[0:3], 0
	buffer_load_dword v1, off, s[0:3], 0 offset:4
	s_mov_b32 s4, s20
	s_branch .LBB161_96
.LBB161_103:
	s_endpgm
	.section	.rodata,"a",@progbits
	.p2align	6, 0x0
	.amdhsa_kernel _ZL30rocblas_trsm_small_left_deviceILi24ELi24ELb1E19rocblas_complex_numIfES1_PKS1_PS1_Ev13rocblas_fill_18rocblas_operation_17rocblas_diagonal_iiT3_T4_lilT5_lili
		.amdhsa_group_segment_fixed_size 4608
		.amdhsa_private_segment_fixed_size 208
		.amdhsa_kernarg_size 360
		.amdhsa_user_sgpr_count 8
		.amdhsa_user_sgpr_private_segment_buffer 1
		.amdhsa_user_sgpr_dispatch_ptr 0
		.amdhsa_user_sgpr_queue_ptr 0
		.amdhsa_user_sgpr_kernarg_segment_ptr 1
		.amdhsa_user_sgpr_dispatch_id 0
		.amdhsa_user_sgpr_flat_scratch_init 1
		.amdhsa_user_sgpr_kernarg_preload_length 0
		.amdhsa_user_sgpr_kernarg_preload_offset 0
		.amdhsa_user_sgpr_private_segment_size 0
		.amdhsa_uses_dynamic_stack 0
		.amdhsa_system_sgpr_private_segment_wavefront_offset 1
		.amdhsa_system_sgpr_workgroup_id_x 1
		.amdhsa_system_sgpr_workgroup_id_y 0
		.amdhsa_system_sgpr_workgroup_id_z 1
		.amdhsa_system_sgpr_workgroup_info 0
		.amdhsa_system_vgpr_workitem_id 0
		.amdhsa_next_free_vgpr 26
		.amdhsa_next_free_sgpr 46
		.amdhsa_accum_offset 28
		.amdhsa_reserve_vcc 1
		.amdhsa_reserve_flat_scratch 0
		.amdhsa_float_round_mode_32 0
		.amdhsa_float_round_mode_16_64 0
		.amdhsa_float_denorm_mode_32 3
		.amdhsa_float_denorm_mode_16_64 3
		.amdhsa_dx10_clamp 1
		.amdhsa_ieee_mode 1
		.amdhsa_fp16_overflow 0
		.amdhsa_tg_split 0
		.amdhsa_exception_fp_ieee_invalid_op 0
		.amdhsa_exception_fp_denorm_src 0
		.amdhsa_exception_fp_ieee_div_zero 0
		.amdhsa_exception_fp_ieee_overflow 0
		.amdhsa_exception_fp_ieee_underflow 0
		.amdhsa_exception_fp_ieee_inexact 0
		.amdhsa_exception_int_div_zero 0
	.end_amdhsa_kernel
	.section	.text._ZL30rocblas_trsm_small_left_deviceILi24ELi24ELb1E19rocblas_complex_numIfES1_PKS1_PS1_Ev13rocblas_fill_18rocblas_operation_17rocblas_diagonal_iiT3_T4_lilT5_lili,"axG",@progbits,_ZL30rocblas_trsm_small_left_deviceILi24ELi24ELb1E19rocblas_complex_numIfES1_PKS1_PS1_Ev13rocblas_fill_18rocblas_operation_17rocblas_diagonal_iiT3_T4_lilT5_lili,comdat
.Lfunc_end161:
	.size	_ZL30rocblas_trsm_small_left_deviceILi24ELi24ELb1E19rocblas_complex_numIfES1_PKS1_PS1_Ev13rocblas_fill_18rocblas_operation_17rocblas_diagonal_iiT3_T4_lilT5_lili, .Lfunc_end161-_ZL30rocblas_trsm_small_left_deviceILi24ELi24ELb1E19rocblas_complex_numIfES1_PKS1_PS1_Ev13rocblas_fill_18rocblas_operation_17rocblas_diagonal_iiT3_T4_lilT5_lili
                                        ; -- End function
	.section	.AMDGPU.csdata,"",@progbits
; Kernel info:
; codeLenInByte = 4360
; NumSgprs: 50
; NumVgprs: 26
; NumAgprs: 0
; TotalNumVgprs: 26
; ScratchSize: 208
; MemoryBound: 0
; FloatMode: 240
; IeeeMode: 1
; LDSByteSize: 4608 bytes/workgroup (compile time only)
; SGPRBlocks: 6
; VGPRBlocks: 3
; NumSGPRsForWavesPerEU: 50
; NumVGPRsForWavesPerEU: 26
; AccumOffset: 28
; Occupancy: 4
; WaveLimiterHint : 0
; COMPUTE_PGM_RSRC2:SCRATCH_EN: 1
; COMPUTE_PGM_RSRC2:USER_SGPR: 8
; COMPUTE_PGM_RSRC2:TRAP_HANDLER: 0
; COMPUTE_PGM_RSRC2:TGID_X_EN: 1
; COMPUTE_PGM_RSRC2:TGID_Y_EN: 0
; COMPUTE_PGM_RSRC2:TGID_Z_EN: 1
; COMPUTE_PGM_RSRC2:TIDIG_COMP_CNT: 0
; COMPUTE_PGM_RSRC3_GFX90A:ACCUM_OFFSET: 6
; COMPUTE_PGM_RSRC3_GFX90A:TG_SPLIT: 0
	.section	.text._ZL31rocblas_trsm_small_right_deviceI19rocblas_complex_numIfES1_PKS1_PS1_Li24EEv13rocblas_fill_18rocblas_operation_17rocblas_diagonal_iiT0_T1_lilT2_lili,"axG",@progbits,_ZL31rocblas_trsm_small_right_deviceI19rocblas_complex_numIfES1_PKS1_PS1_Li24EEv13rocblas_fill_18rocblas_operation_17rocblas_diagonal_iiT0_T1_lilT2_lili,comdat
	.globl	_ZL31rocblas_trsm_small_right_deviceI19rocblas_complex_numIfES1_PKS1_PS1_Li24EEv13rocblas_fill_18rocblas_operation_17rocblas_diagonal_iiT0_T1_lilT2_lili ; -- Begin function _ZL31rocblas_trsm_small_right_deviceI19rocblas_complex_numIfES1_PKS1_PS1_Li24EEv13rocblas_fill_18rocblas_operation_17rocblas_diagonal_iiT0_T1_lilT2_lili
	.p2align	8
	.type	_ZL31rocblas_trsm_small_right_deviceI19rocblas_complex_numIfES1_PKS1_PS1_Li24EEv13rocblas_fill_18rocblas_operation_17rocblas_diagonal_iiT0_T1_lilT2_lili,@function
_ZL31rocblas_trsm_small_right_deviceI19rocblas_complex_numIfES1_PKS1_PS1_Li24EEv13rocblas_fill_18rocblas_operation_17rocblas_diagonal_iiT0_T1_lilT2_lili: ; @_ZL31rocblas_trsm_small_right_deviceI19rocblas_complex_numIfES1_PKS1_PS1_Li24EEv13rocblas_fill_18rocblas_operation_17rocblas_diagonal_iiT0_T1_lilT2_lili
; %bb.0:
	s_load_dwordx8 s[12:19], s[4:5], 0x0
	s_load_dwordx4 s[20:23], s[4:5], 0x38
	s_load_dwordx2 s[26:27], s[4:5], 0x48
	s_waitcnt lgkmcnt(0)
	s_load_dword s19, s[4:5], 0x68
	s_mov_b32 s40, 0
	s_min_i32 s33, s16, 24
	s_add_i32 s42, s33, -1
	v_cmp_gt_i32_e32 vcc, s33, v0
	s_and_saveexec_b64 s[24:25], vcc
	s_cbranch_execz .LBB162_29
; %bb.1:
	s_load_dword s28, s[4:5], 0x30
	s_load_dwordx4 s[8:11], s[4:5], 0x20
	s_mul_i32 s0, s7, s21
	s_mul_hi_u32 s1, s7, s20
	s_mul_i32 s20, s7, s20
	s_waitcnt lgkmcnt(0)
	s_ashr_i32 s29, s28, 31
	s_cmpk_lg_i32 s13, 0x71
	s_cselect_b64 s[30:31], -1, 0
	s_add_i32 s21, s1, s0
	v_cndmask_b32_e64 v1, 0, 1, s[30:31]
	s_cmp_lt_u32 s42, 3
	v_cmp_ne_u32_e64 s[0:1], 1, v1
	s_cbranch_scc1 .LBB162_20
; %bb.2:
	s_lshl_b64 s[2:3], s[20:21], 3
	s_add_u32 s34, s8, s2
	s_addc_u32 s35, s9, s3
	s_lshl_b64 s[2:3], s[10:11], 3
	s_add_u32 s2, s34, s2
	s_addc_u32 s3, s35, s3
	v_lshlrev_b32_e32 v1, 3, v0
	v_mov_b32_e32 v3, s3
	v_add_co_u32_e32 v2, vcc, s2, v1
	s_mul_hi_i32 s2, s28, 24
	s_lshl_b64 s[34:35], s[28:29], 5
	s_lshl_b64 s[36:37], s[28:29], 4
	;; [unrolled: 1-line block ×3, first 2 shown]
	v_addc_co_u32_e32 v3, vcc, 0, v3, vcc
	s_and_b32 s40, s33, -4
	s_mul_i32 s41, s28, 24
	s_mov_b32 s43, 0
	v_mov_b32_e32 v8, s39
	v_mov_b32_e32 v9, s37
	;; [unrolled: 1-line block ×4, first 2 shown]
	s_branch .LBB162_4
.LBB162_3:                              ;   in Loop: Header=BB162_4 Depth=1
	global_load_dword v4, v[6:7], off
	s_add_i32 s43, s43, 4
	v_add_co_u32_e32 v2, vcc, s34, v2
	v_addc_co_u32_e32 v3, vcc, v3, v11, vcc
	s_cmp_eq_u32 s40, s43
	s_waitcnt vmcnt(0)
	ds_write_b64 v1, v[4:5] offset:576
	v_add_u32_e32 v1, 0x300, v1
	s_cbranch_scc1 .LBB162_20
.LBB162_4:                              ; =>This Inner Loop Header: Depth=1
	s_and_b64 vcc, exec, s[30:31]
	s_cbranch_vccz .LBB162_6
; %bb.5:                                ;   in Loop: Header=BB162_4 Depth=1
	global_load_dword v5, v[2:3], off offset:4
	s_cbranch_execz .LBB162_7
	s_branch .LBB162_8
.LBB162_6:                              ;   in Loop: Header=BB162_4 Depth=1
                                        ; implicit-def: $vgpr5
.LBB162_7:                              ;   in Loop: Header=BB162_4 Depth=1
	global_load_dword v4, v[2:3], off offset:4
	s_waitcnt vmcnt(0)
	v_xor_b32_e32 v5, 0x80000000, v4
.LBB162_8:                              ;   in Loop: Header=BB162_4 Depth=1
	global_load_dword v4, v[2:3], off
	v_add_co_u32_e64 v6, s[2:3], s38, v2
	s_and_b64 vcc, exec, s[0:1]
	v_addc_co_u32_e64 v7, s[2:3], v3, v8, s[2:3]
	s_waitcnt vmcnt(0)
	ds_write_b64 v1, v[4:5]
	s_cbranch_vccnz .LBB162_10
; %bb.9:                                ;   in Loop: Header=BB162_4 Depth=1
	global_load_dword v5, v[6:7], off offset:4
	s_cbranch_execz .LBB162_11
	s_branch .LBB162_12
.LBB162_10:                             ;   in Loop: Header=BB162_4 Depth=1
                                        ; implicit-def: $vgpr5
.LBB162_11:                             ;   in Loop: Header=BB162_4 Depth=1
	global_load_dword v4, v[6:7], off offset:4
	s_waitcnt vmcnt(0)
	v_xor_b32_e32 v5, 0x80000000, v4
.LBB162_12:                             ;   in Loop: Header=BB162_4 Depth=1
	global_load_dword v4, v[6:7], off
	v_add_co_u32_e64 v6, s[2:3], s36, v2
	s_and_b64 vcc, exec, s[0:1]
	v_addc_co_u32_e64 v7, s[2:3], v3, v9, s[2:3]
	s_waitcnt vmcnt(0)
	ds_write_b64 v1, v[4:5] offset:192
	s_cbranch_vccnz .LBB162_14
; %bb.13:                               ;   in Loop: Header=BB162_4 Depth=1
	global_load_dword v5, v[6:7], off offset:4
	s_cbranch_execz .LBB162_15
	s_branch .LBB162_16
.LBB162_14:                             ;   in Loop: Header=BB162_4 Depth=1
                                        ; implicit-def: $vgpr5
.LBB162_15:                             ;   in Loop: Header=BB162_4 Depth=1
	global_load_dword v4, v[6:7], off offset:4
	s_waitcnt vmcnt(0)
	v_xor_b32_e32 v5, 0x80000000, v4
.LBB162_16:                             ;   in Loop: Header=BB162_4 Depth=1
	global_load_dword v4, v[6:7], off
	v_add_co_u32_e64 v6, s[2:3], s41, v2
	s_and_b64 vcc, exec, s[0:1]
	v_addc_co_u32_e64 v7, s[2:3], v3, v10, s[2:3]
	s_waitcnt vmcnt(0)
	ds_write_b64 v1, v[4:5] offset:384
	s_cbranch_vccnz .LBB162_18
; %bb.17:                               ;   in Loop: Header=BB162_4 Depth=1
	global_load_dword v5, v[6:7], off offset:4
	s_cbranch_execnz .LBB162_3
	s_branch .LBB162_19
.LBB162_18:                             ;   in Loop: Header=BB162_4 Depth=1
                                        ; implicit-def: $vgpr5
.LBB162_19:                             ;   in Loop: Header=BB162_4 Depth=1
	global_load_dword v4, v[6:7], off offset:4
	s_waitcnt vmcnt(0)
	v_xor_b32_e32 v5, 0x80000000, v4
	s_branch .LBB162_3
.LBB162_20:
	s_and_b32 s30, s33, 3
	s_cmp_eq_u32 s30, 0
	s_cbranch_scc1 .LBB162_27
; %bb.21:
	s_mul_i32 s2, s40, 0xc0
	v_lshl_add_u32 v1, v0, 3, s2
	s_lshl_b64 s[2:3], s[20:21], 3
	s_mul_i32 s20, s29, s40
	s_mul_hi_u32 s21, s28, s40
	s_add_i32 s21, s21, s20
	s_mul_i32 s20, s28, s40
	s_lshl_b64 s[20:21], s[20:21], 3
	s_add_u32 s20, s2, s20
	s_addc_u32 s21, s3, s21
	s_lshl_b64 s[2:3], s[10:11], 3
	s_add_u32 s2, s20, s2
	s_addc_u32 s3, s21, s3
	s_add_u32 s2, s8, s2
	v_lshlrev_b32_e32 v2, 3, v0
	s_addc_u32 s3, s9, s3
	v_mov_b32_e32 v3, s3
	v_add_co_u32_e32 v2, vcc, s2, v2
	v_addc_co_u32_e32 v3, vcc, 0, v3, vcc
	v_add_co_u32_e32 v2, vcc, 4, v2
	s_lshl_b64 s[2:3], s[28:29], 3
	v_addc_co_u32_e32 v3, vcc, 0, v3, vcc
	v_mov_b32_e32 v6, s3
	s_branch .LBB162_23
.LBB162_22:                             ;   in Loop: Header=BB162_23 Depth=1
	global_load_dword v4, v[2:3], off offset:-4
	s_add_i32 s30, s30, -1
	v_add_co_u32_e32 v2, vcc, s2, v2
	s_cmp_lg_u32 s30, 0
	v_addc_co_u32_e32 v3, vcc, v3, v6, vcc
	s_waitcnt vmcnt(0)
	ds_write_b64 v1, v[4:5]
	v_add_u32_e32 v1, 0xc0, v1
	s_cbranch_scc0 .LBB162_27
.LBB162_23:                             ; =>This Inner Loop Header: Depth=1
	s_and_b64 vcc, exec, s[0:1]
	s_cbranch_vccnz .LBB162_25
; %bb.24:                               ;   in Loop: Header=BB162_23 Depth=1
	global_load_dword v5, v[2:3], off
	s_cbranch_execnz .LBB162_22
	s_branch .LBB162_26
.LBB162_25:                             ;   in Loop: Header=BB162_23 Depth=1
                                        ; implicit-def: $vgpr5
.LBB162_26:                             ;   in Loop: Header=BB162_23 Depth=1
	global_load_dword v4, v[2:3], off
	s_waitcnt vmcnt(0)
	v_xor_b32_e32 v5, 0x80000000, v4
	s_branch .LBB162_22
.LBB162_27:
	s_cmpk_eq_i32 s14, 0x84
	s_cbranch_scc0 .LBB162_29
; %bb.28:
	v_mul_u32_u24_e32 v1, 25, v0
	v_lshlrev_b32_e32 v1, 3, v1
	v_mov_b32_e32 v2, 1.0
	v_mov_b32_e32 v3, 0
	ds_write_b64 v1, v[2:3]
.LBB162_29:
	s_or_b64 exec, exec, s[24:25]
	s_load_dwordx2 s[0:1], s[4:5], 0x58
	s_load_dword s14, s[4:5], 0x50
	s_mul_i32 s39, s6, 0xc0
	s_mul_hi_i32 s38, s6, 0xc0
	s_waitcnt lgkmcnt(0)
	s_mul_i32 s1, s7, s1
	s_mul_hi_u32 s2, s7, s0
	s_mul_i32 s0, s7, s0
	s_add_i32 s1, s2, s1
	s_lshl_b64 s[24:25], s[0:1], 3
	s_add_u32 s0, s22, s24
	s_addc_u32 s1, s23, s25
	s_lshl_b64 s[20:21], s[26:27], 3
	s_add_u32 s0, s0, s20
	s_mul_i32 s2, s6, 0xffffffe8
	s_addc_u32 s1, s1, s21
	s_add_i32 s19, s19, -1
	s_add_i32 s2, s2, s15
	s_cmp_ge_u32 s6, s19
	s_cselect_b32 s2, s2, 24
	s_add_u32 s40, s0, s39
	s_addc_u32 s41, s1, s38
	s_cmp_gt_i32 s16, 0
	v_cmp_gt_i32_e32 vcc, s2, v0
	s_cselect_b64 s[2:3], -1, 0
	s_mov_b32 s0, 0
	s_and_b64 s[26:27], vcc, s[2:3]
	s_and_saveexec_b64 s[28:29], s[26:27]
	s_cbranch_execz .LBB162_41
; %bb.30:
	s_cmp_lt_u32 s16, 2
	s_cselect_b64 s[4:5], -1, 0
	s_cmp_lg_u32 s14, 1
	s_cselect_b64 s[6:7], -1, 0
	s_or_b64 s[4:5], s[4:5], s[6:7]
	s_mov_b32 s1, 1
	s_mov_b64 s[2:3], -1
	s_and_b64 vcc, exec, s[4:5]
	s_cbranch_vccnz .LBB162_38
; %bb.31:
	s_add_i32 s0, s16, -2
	v_lshlrev_b32_e32 v1, 3, v0
	s_lshr_b32 s15, s0, 1
	v_mov_b32_e32 v2, s41
	v_add_co_u32_e32 v1, vcc, s40, v1
	s_add_i32 s15, s15, 1
	s_mov_b32 s35, 0
	v_addc_co_u32_e32 v2, vcc, 0, v2, vcc
	s_mov_b32 s30, s17
	s_mov_b32 s31, s17
	;; [unrolled: 1-line block ×3, first 2 shown]
	s_cmp_lt_u32 s0, 6
	s_mov_b32 s0, s35
	s_cbranch_scc1 .LBB162_35
; %bb.32:
	s_and_b32 s43, s15, -4
	s_mov_b32 s36, 1
	s_mov_b32 s34, s35
.LBB162_33:                             ; =>This Inner Loop Header: Depth=1
	s_lshl_b64 s[0:1], s[34:35], 3
	s_mov_b32 s37, s35
	s_add_i32 s2, s36, 2
	s_add_i32 s4, s34, 2
	s_mov_b32 s5, s35
	s_mov_b32 s3, s35
	s_add_i32 s6, s36, 4
	s_add_i32 s8, s34, 4
	s_mov_b32 s9, s35
	;; [unrolled: 4-line block ×3, first 2 shown]
	s_mov_b32 s11, s35
	v_mov_b32_e32 v3, s1
	v_add_co_u32_e32 v4, vcc, s0, v1
	s_lshl_b64 s[46:47], s[36:37], 3
	s_lshl_b64 s[4:5], s[4:5], 3
	;; [unrolled: 1-line block ×7, first 2 shown]
	v_addc_co_u32_e32 v5, vcc, v2, v3, vcc
	v_mov_b32_e32 v3, s47
	v_mov_b32_e32 v7, s5
	v_add_co_u32_e32 v6, vcc, s4, v1
	v_mov_b32_e32 v9, s3
	v_add_co_u32_e64 v8, s[0:1], s2, v1
	v_mov_b32_e32 v11, s9
	v_add_co_u32_e64 v10, s[2:3], s8, v1
	;; [unrolled: 2-line block ×5, first 2 shown]
	v_add_co_u32_e64 v18, s[10:11], s46, v1
	v_addc_co_u32_e64 v19, s[10:11], v2, v3, s[10:11]
	v_addc_co_u32_e32 v7, vcc, v2, v7, vcc
	v_addc_co_u32_e64 v9, vcc, v2, v9, s[0:1]
	v_addc_co_u32_e64 v11, vcc, v2, v11, s[2:3]
	;; [unrolled: 1-line block ×5, first 2 shown]
	global_load_dwordx2 v[20:21], v[4:5], off
	global_load_dwordx2 v[22:23], v[18:19], off
	;; [unrolled: 1-line block ×8, first 2 shown]
	s_mul_i32 s0, s36, 24
	s_mul_i32 s1, s34, 24
	s_add_i32 s34, s34, 8
	s_add_i32 s43, s43, -4
	v_add_lshl_u32 v3, s1, v0, 3
	v_add_lshl_u32 v36, s0, v0, 3
	s_add_i32 s2, s0, 48
	s_add_i32 s3, s1, 48
	;; [unrolled: 1-line block ×4, first 2 shown]
	s_addk_i32 s0, 0x90
	s_addk_i32 s1, 0x90
	s_add_i32 s36, s36, 8
	s_cmp_lg_u32 s43, 0
	v_add_lshl_u32 v37, s3, v0, 3
	v_add_lshl_u32 v38, s2, v0, 3
	;; [unrolled: 1-line block ×6, first 2 shown]
	s_waitcnt vmcnt(7)
	v_mov_b32_e32 v4, v20
	s_waitcnt vmcnt(6)
	v_mov_b32_e32 v5, v22
	v_mov_b32_e32 v22, v21
	s_waitcnt vmcnt(4)
	v_mov_b32_e32 v7, v26
	;; [unrolled: 3-line block ×4, first 2 shown]
	v_mov_b32_e32 v34, v33
	v_pk_mul_f32 v[12:13], s[18:19], v[22:23]
	v_pk_mul_f32 v[14:15], s[30:31], v[22:23]
	v_mov_b32_e32 v6, v24
	v_mov_b32_e32 v8, v28
	;; [unrolled: 1-line block ×3, first 2 shown]
	v_pk_mul_f32 v[16:17], s[18:19], v[26:27]
	v_pk_mul_f32 v[18:19], s[30:31], v[26:27]
	;; [unrolled: 1-line block ×6, first 2 shown]
	v_pk_fma_f32 v[12:13], s[30:31], v[4:5], v[12:13] neg_lo:[0,0,1] neg_hi:[0,0,1]
	v_pk_fma_f32 v[4:5], s[18:19], v[4:5], v[14:15]
	v_pk_fma_f32 v[14:15], s[30:31], v[6:7], v[16:17] neg_lo:[0,0,1] neg_hi:[0,0,1]
	v_pk_fma_f32 v[6:7], s[18:19], v[6:7], v[18:19]
	;; [unrolled: 2-line block ×4, first 2 shown]
	v_mov_b32_e32 v20, v12
	v_mov_b32_e32 v21, v4
	;; [unrolled: 1-line block ×12, first 2 shown]
	ds_write_b64 v3, v[20:21] offset:4608
	ds_write_b64 v36, v[4:5] offset:4608
	;; [unrolled: 1-line block ×8, first 2 shown]
	s_cbranch_scc1 .LBB162_33
; %bb.34:
	s_mov_b32 s35, s36
	s_mov_b64 s[0:1], s[34:35]
.LBB162_35:
	s_and_b32 s4, s15, 3
	s_cmp_eq_u32 s4, 0
	s_mov_b32 s3, 0
	s_cbranch_scc1 .LBB162_37
.LBB162_36:                             ; =>This Inner Loop Header: Depth=1
	s_mov_b32 s2, s0
	s_lshl_b64 s[6:7], s[2:3], 3
	s_mov_b32 s2, s1
	v_mov_b32_e32 v3, s7
	v_add_co_u32_e32 v4, vcc, s6, v1
	s_lshl_b64 s[8:9], s[2:3], 3
	v_addc_co_u32_e32 v5, vcc, v2, v3, vcc
	v_mov_b32_e32 v3, s9
	v_add_co_u32_e32 v6, vcc, s8, v1
	v_addc_co_u32_e32 v7, vcc, v2, v3, vcc
	global_load_dwordx2 v[8:9], v[4:5], off
	global_load_dwordx2 v[10:11], v[6:7], off
	s_mul_i32 s2, s1, 24
	s_mul_i32 s5, s0, 24
	s_add_i32 s0, s0, 2
	s_add_i32 s4, s4, -1
	s_add_i32 s1, s1, 2
	v_add_lshl_u32 v3, s5, v0, 3
	s_cmp_lg_u32 s4, 0
	v_add_lshl_u32 v12, s2, v0, 3
	s_waitcnt vmcnt(1)
	v_mov_b32_e32 v4, v8
	s_waitcnt vmcnt(0)
	v_mov_b32_e32 v5, v10
	v_mov_b32_e32 v10, v9
	v_pk_mul_f32 v[6:7], s[18:19], v[10:11]
	v_pk_mul_f32 v[8:9], s[30:31], v[10:11]
	v_pk_fma_f32 v[6:7], s[30:31], v[4:5], v[6:7] neg_lo:[0,0,1] neg_hi:[0,0,1]
	v_pk_fma_f32 v[4:5], s[18:19], v[4:5], v[8:9]
	v_mov_b32_e32 v8, v6
	v_mov_b32_e32 v9, v4
	;; [unrolled: 1-line block ×3, first 2 shown]
	ds_write_b64 v3, v[8:9] offset:4608
	ds_write_b64 v12, v[4:5] offset:4608
	s_cbranch_scc1 .LBB162_36
.LBB162_37:
	s_and_b32 s0, s16, 0x7ffffffe
	s_cmp_lg_u32 s0, s16
	s_cselect_b64 s[2:3], -1, 0
.LBB162_38:
	s_and_b64 vcc, exec, s[2:3]
	s_cbranch_vccz .LBB162_41
; %bb.39:
	s_mul_i32 s1, s0, 0xc0
	s_sub_i32 s2, s16, s0
	v_lshl_add_u32 v1, v0, 3, s1
	s_mul_hi_i32 s1, s14, s0
	s_mul_i32 s0, s14, s0
	s_ashr_i32 s15, s14, 31
	s_lshl_b64 s[0:1], s[0:1], 3
	s_add_u32 s0, s24, s0
	s_addc_u32 s1, s25, s1
	s_add_u32 s0, s0, s39
	s_addc_u32 s1, s1, s38
	;; [unrolled: 2-line block ×3, first 2 shown]
	s_add_u32 s0, s22, s0
	v_lshlrev_b32_e32 v2, 3, v0
	s_addc_u32 s1, s23, s1
	v_mov_b32_e32 v3, s1
	v_add_co_u32_e32 v2, vcc, s0, v2
	v_addc_co_u32_e32 v3, vcc, 0, v3, vcc
	v_add_co_u32_e32 v2, vcc, 4, v2
	s_lshl_b64 s[0:1], s[14:15], 3
	v_add_u32_e32 v1, 0x1200, v1
	v_addc_co_u32_e32 v3, vcc, 0, v3, vcc
	v_mov_b32_e32 v4, s1
.LBB162_40:                             ; =>This Inner Loop Header: Depth=1
	global_load_dwordx2 v[6:7], v[2:3], off offset:-4
	s_add_i32 s2, s2, -1
	v_add_co_u32_e32 v2, vcc, s0, v2
	v_addc_co_u32_e32 v3, vcc, v3, v4, vcc
	s_cmp_lg_u32 s2, 0
	s_waitcnt vmcnt(0)
	v_mul_f32_e32 v5, s18, v7
	v_mul_f32_e32 v9, s17, v7
	v_fma_f32 v8, s17, v6, -v5
	v_fmac_f32_e32 v9, s18, v6
	ds_write_b64 v1, v[8:9]
	v_add_u32_e32 v1, 0xc0, v1
	s_cbranch_scc1 .LBB162_40
.LBB162_41:
	s_or_b64 exec, exec, s[28:29]
	s_cmpk_eq_i32 s13, 0x6f
	s_cselect_b64 s[0:1], -1, 0
	s_cmpk_eq_i32 s12, 0x79
	s_cselect_b64 s[4:5], -1, 0
	s_cmpk_lg_i32 s12, 0x79
	s_cselect_b64 s[2:3], -1, 0
	s_and_b64 s[4:5], s[4:5], s[0:1]
	s_andn2_b64 vcc, exec, s[4:5]
	s_mov_b64 s[4:5], -1
	s_waitcnt lgkmcnt(0)
	; wave barrier
	s_waitcnt lgkmcnt(0)
	s_cbranch_vccz .LBB162_149
; %bb.42:
	s_cmpk_lg_i32 s12, 0x7a
	s_cselect_b64 s[6:7], -1, 0
	s_xor_b64 s[0:1], s[0:1], -1
	s_or_b64 s[6:7], s[6:7], s[0:1]
	s_cmp_gt_i32 s16, 3
	s_cselect_b64 s[0:1], -1, 0
	s_and_b64 vcc, exec, s[6:7]
	s_cbranch_vccz .LBB162_116
; %bb.43:
	s_andn2_b64 vcc, exec, s[2:3]
	s_mov_b64 s[2:3], -1
	s_cbranch_vccnz .LBB162_83
; %bb.44:
	s_andn2_b64 vcc, exec, s[0:1]
	s_mov_b32 s6, 0
	s_cbranch_vccnz .LBB162_67
; %bb.45:
	v_mov_b32_e32 v1, 0x1200
	v_lshl_or_b32 v1, v0, 3, v1
	s_mov_b32 s4, 0
	s_mov_b32 s5, 0
.LBB162_46:                             ; =>This Loop Header: Depth=1
                                        ;     Child Loop BB162_48 Depth 2
	s_mul_i32 s6, s5, 24
	v_add_lshl_u32 v8, s6, v0, 3
	s_add_i32 s7, s6, 24
	s_add_i32 s6, s6, 48
	v_add_lshl_u32 v12, s6, v0, 3
	v_add_u32_e32 v2, 0x1000, v12
	v_add_lshl_u32 v9, s7, v0, 3
	ds_read_b64 v[6:7], v8 offset:4608
	ds_read_b64 v[10:11], v9 offset:4608
	ds_read2_b64 v[2:5], v2 offset0:64 offset1:88
	s_cmp_eq_u32 s5, 0
	s_cbranch_scc1 .LBB162_49
; %bb.47:                               ;   in Loop: Header=BB162_46 Depth=1
	s_mov_b32 s2, 0
	v_mov_b32_e32 v13, v1
	s_mov_b32 s3, s4
.LBB162_48:                             ;   Parent Loop BB162_46 Depth=1
                                        ; =>  This Inner Loop Header: Depth=2
	ds_read2_b64 v[14:17], v13 offset1:24
	v_mov_b32_e32 v30, s3
	ds_read_b128 v[18:21], v30
	ds_read_b128 v[22:25], v30 offset:16
	ds_read_b128 v[26:29], v30 offset:192
	;; [unrolled: 1-line block ×3, first 2 shown]
	s_add_i32 s2, s2, 2
	s_addk_i32 s3, 0x180
	s_waitcnt lgkmcnt(3)
	v_mul_f32_e32 v34, v19, v15
	v_mul_f32_e32 v35, v18, v15
	v_mul_f32_e32 v36, v21, v15
	v_mul_f32_e32 v21, v21, v14
	s_waitcnt lgkmcnt(2)
	v_mul_f32_e32 v37, v23, v15
	v_mul_f32_e32 v23, v23, v14
	v_mul_f32_e32 v38, v25, v15
	v_mul_f32_e32 v25, v25, v14
	;; [unrolled: 5-line block ×4, first 2 shown]
	v_fma_f32 v18, v18, v14, -v34
	v_fmac_f32_e32 v35, v19, v14
	v_fma_f32 v19, v20, v14, -v36
	v_fmac_f32_e32 v21, v20, v15
	;; [unrolled: 2-line block ×8, first 2 shown]
	v_sub_f32_e32 v6, v6, v18
	v_sub_f32_e32 v7, v7, v35
	;; [unrolled: 1-line block ×8, first 2 shown]
	v_add_u32_e32 v13, 0x180, v13
	s_cmp_ge_u32 s2, s5
	v_sub_f32_e32 v6, v6, v15
	v_sub_f32_e32 v7, v7, v40
	;; [unrolled: 1-line block ×8, first 2 shown]
	s_cbranch_scc0 .LBB162_48
.LBB162_49:                             ;   in Loop: Header=BB162_46 Depth=1
	s_mul_i32 s8, s5, 0xc8
	v_add_u32_e32 v16, 0x1200, v8
	v_mov_b32_e32 v8, s8
	v_add_u32_e32 v15, 0x1200, v9
	ds_read_b64 v[8:9], v8
	v_add_u32_e32 v14, 0x1200, v12
	s_waitcnt lgkmcnt(0)
	v_cmp_gt_f32_e32 vcc, 0, v9
	v_cndmask_b32_e64 v12, v9, -v9, vcc
	v_cmp_gt_f32_e32 vcc, 0, v8
	v_cndmask_b32_e64 v13, v8, -v8, vcc
	v_cmp_ngt_f32_e32 vcc, v13, v12
	s_cbranch_vccz .LBB162_51
; %bb.50:                               ;   in Loop: Header=BB162_46 Depth=1
	v_div_scale_f32 v12, s[2:3], v9, v9, v8
	v_rcp_f32_e32 v13, v12
	v_div_scale_f32 v17, vcc, v8, v9, v8
	v_fma_f32 v18, -v12, v13, 1.0
	v_fmac_f32_e32 v13, v18, v13
	v_mul_f32_e32 v18, v17, v13
	v_fma_f32 v19, -v12, v18, v17
	v_fmac_f32_e32 v18, v19, v13
	v_fma_f32 v12, -v12, v18, v17
	v_div_fmas_f32 v12, v12, v13, v18
	v_div_fixup_f32 v13, v12, v9, v8
	v_fma_f32 v12, v8, v13, v9
	v_div_scale_f32 v17, s[2:3], v12, v12, 1.0
	v_rcp_f32_e32 v18, v17
	v_fma_f32 v19, -v17, v18, 1.0
	v_fmac_f32_e32 v18, v19, v18
	v_div_scale_f32 v19, vcc, 1.0, v12, 1.0
	v_mul_f32_e32 v20, v19, v18
	v_fma_f32 v21, -v17, v20, v19
	v_fmac_f32_e32 v20, v21, v18
	v_fma_f32 v17, -v17, v20, v19
	v_div_fmas_f32 v17, v17, v18, v20
	v_div_fixup_f32 v17, v17, v12, 1.0
	v_fma_f32 v12, v6, v13, v7
	v_fma_f32 v13, v7, v13, -v6
	v_mul_f32_e32 v12, v12, v17
	v_mul_f32_e32 v13, v13, v17
	s_cbranch_execz .LBB162_52
	s_branch .LBB162_53
.LBB162_51:                             ;   in Loop: Header=BB162_46 Depth=1
                                        ; implicit-def: $vgpr13
.LBB162_52:                             ;   in Loop: Header=BB162_46 Depth=1
	v_div_scale_f32 v12, s[2:3], v8, v8, v9
	v_rcp_f32_e32 v13, v12
	v_div_scale_f32 v17, vcc, v9, v8, v9
	v_fma_f32 v18, -v12, v13, 1.0
	v_fmac_f32_e32 v13, v18, v13
	v_mul_f32_e32 v18, v17, v13
	v_fma_f32 v19, -v12, v18, v17
	v_fmac_f32_e32 v18, v19, v13
	v_fma_f32 v12, -v12, v18, v17
	v_div_fmas_f32 v12, v12, v13, v18
	v_div_fixup_f32 v13, v12, v8, v9
	v_fmac_f32_e32 v8, v9, v13
	v_div_scale_f32 v9, s[2:3], v8, v8, 1.0
	v_rcp_f32_e32 v12, v9
	v_fma_f32 v17, -v9, v12, 1.0
	v_fmac_f32_e32 v12, v17, v12
	v_div_scale_f32 v17, vcc, 1.0, v8, 1.0
	v_mul_f32_e32 v18, v17, v12
	v_fma_f32 v19, -v9, v18, v17
	v_fmac_f32_e32 v18, v19, v12
	v_fma_f32 v9, -v9, v18, v17
	v_div_fmas_f32 v9, v9, v12, v18
	v_div_fixup_f32 v8, v9, v8, 1.0
	v_fma_f32 v9, v7, v13, v6
	v_fma_f32 v6, -v6, v13, v7
	v_mul_f32_e32 v12, v9, v8
	v_mul_f32_e32 v13, v6, v8
.LBB162_53:                             ;   in Loop: Header=BB162_46 Depth=1
	v_mov_b32_e32 v6, s8
	ds_read2_b64 v[6:9], v6 offset0:1 offset1:25
	ds_write_b64 v16, v[12:13]
	s_waitcnt lgkmcnt(1)
	v_mul_f32_e32 v16, v13, v7
	v_mul_f32_e32 v7, v12, v7
	v_fma_f32 v16, v12, v6, -v16
	v_cmp_gt_f32_e32 vcc, 0, v9
	v_fmac_f32_e32 v7, v13, v6
	v_sub_f32_e32 v6, v10, v16
	v_cndmask_b32_e64 v10, v9, -v9, vcc
	v_cmp_gt_f32_e32 vcc, 0, v8
	v_sub_f32_e32 v7, v11, v7
	v_cndmask_b32_e64 v11, v8, -v8, vcc
	v_cmp_ngt_f32_e32 vcc, v11, v10
	s_cbranch_vccz .LBB162_55
; %bb.54:                               ;   in Loop: Header=BB162_46 Depth=1
	v_div_scale_f32 v10, s[2:3], v9, v9, v8
	v_rcp_f32_e32 v11, v10
	v_div_scale_f32 v16, vcc, v8, v9, v8
	v_fma_f32 v17, -v10, v11, 1.0
	v_fmac_f32_e32 v11, v17, v11
	v_mul_f32_e32 v17, v16, v11
	v_fma_f32 v18, -v10, v17, v16
	v_fmac_f32_e32 v17, v18, v11
	v_fma_f32 v10, -v10, v17, v16
	v_div_fmas_f32 v10, v10, v11, v17
	v_div_fixup_f32 v11, v10, v9, v8
	v_fma_f32 v10, v8, v11, v9
	v_div_scale_f32 v16, s[2:3], v10, v10, 1.0
	v_rcp_f32_e32 v17, v16
	v_fma_f32 v18, -v16, v17, 1.0
	v_fmac_f32_e32 v17, v18, v17
	v_div_scale_f32 v18, vcc, 1.0, v10, 1.0
	v_mul_f32_e32 v19, v18, v17
	v_fma_f32 v20, -v16, v19, v18
	v_fmac_f32_e32 v19, v20, v17
	v_fma_f32 v16, -v16, v19, v18
	v_div_fmas_f32 v16, v16, v17, v19
	v_div_fixup_f32 v16, v16, v10, 1.0
	v_fma_f32 v10, v11, v6, v7
	v_fma_f32 v11, v11, v7, -v6
	v_mul_f32_e32 v10, v10, v16
	v_mul_f32_e32 v11, v11, v16
	s_cbranch_execz .LBB162_56
	s_branch .LBB162_57
.LBB162_55:                             ;   in Loop: Header=BB162_46 Depth=1
                                        ; implicit-def: $vgpr11
.LBB162_56:                             ;   in Loop: Header=BB162_46 Depth=1
	v_div_scale_f32 v10, s[2:3], v8, v8, v9
	v_rcp_f32_e32 v11, v10
	v_div_scale_f32 v16, vcc, v9, v8, v9
	v_fma_f32 v17, -v10, v11, 1.0
	v_fmac_f32_e32 v11, v17, v11
	v_mul_f32_e32 v17, v16, v11
	v_fma_f32 v18, -v10, v17, v16
	v_fmac_f32_e32 v17, v18, v11
	v_fma_f32 v10, -v10, v17, v16
	v_div_fmas_f32 v10, v10, v11, v17
	v_div_fixup_f32 v11, v10, v8, v9
	v_fmac_f32_e32 v8, v9, v11
	v_div_scale_f32 v9, s[2:3], v8, v8, 1.0
	v_rcp_f32_e32 v10, v9
	v_fma_f32 v16, -v9, v10, 1.0
	v_fmac_f32_e32 v10, v16, v10
	v_div_scale_f32 v16, vcc, 1.0, v8, 1.0
	v_mul_f32_e32 v17, v16, v10
	v_fma_f32 v18, -v9, v17, v16
	v_fmac_f32_e32 v17, v18, v10
	v_fma_f32 v9, -v9, v17, v16
	v_div_fmas_f32 v9, v9, v10, v17
	v_div_fixup_f32 v8, v9, v8, 1.0
	v_fma_f32 v9, v11, v7, v6
	v_fma_f32 v6, -v11, v6, v7
	v_mul_f32_e32 v10, v9, v8
	v_mul_f32_e32 v11, v6, v8
.LBB162_57:                             ;   in Loop: Header=BB162_46 Depth=1
	v_mov_b32_e32 v6, s8
	ds_read2_b64 v[6:9], v6 offset0:2 offset1:50
	s_add_i32 s7, s7, s5
	s_lshl_b32 s7, s7, 3
	ds_write_b64 v15, v[10:11]
	v_mov_b32_e32 v15, s7
	s_waitcnt lgkmcnt(1)
	v_mul_f32_e32 v16, v13, v7
	v_fma_f32 v18, v12, v6, -v16
	ds_read_b64 v[16:17], v15 offset:16
	v_mul_f32_e32 v7, v12, v7
	v_fmac_f32_e32 v7, v13, v6
	v_sub_f32_e32 v2, v2, v18
	v_sub_f32_e32 v3, v3, v7
	s_waitcnt lgkmcnt(0)
	v_mul_f32_e32 v6, v11, v17
	v_fma_f32 v6, v10, v16, -v6
	v_mul_f32_e32 v7, v10, v17
	v_cmp_gt_f32_e32 vcc, 0, v9
	v_fmac_f32_e32 v7, v11, v16
	v_sub_f32_e32 v6, v2, v6
	v_cndmask_b32_e64 v2, v9, -v9, vcc
	v_cmp_gt_f32_e32 vcc, 0, v8
	v_sub_f32_e32 v7, v3, v7
	v_cndmask_b32_e64 v3, v8, -v8, vcc
	v_cmp_ngt_f32_e32 vcc, v3, v2
	s_cbranch_vccz .LBB162_59
; %bb.58:                               ;   in Loop: Header=BB162_46 Depth=1
	v_div_scale_f32 v2, s[2:3], v9, v9, v8
	v_rcp_f32_e32 v3, v2
	v_div_scale_f32 v15, vcc, v8, v9, v8
	v_fma_f32 v16, -v2, v3, 1.0
	v_fmac_f32_e32 v3, v16, v3
	v_mul_f32_e32 v16, v15, v3
	v_fma_f32 v17, -v2, v16, v15
	v_fmac_f32_e32 v16, v17, v3
	v_fma_f32 v2, -v2, v16, v15
	v_div_fmas_f32 v2, v2, v3, v16
	v_div_fixup_f32 v3, v2, v9, v8
	v_fma_f32 v2, v8, v3, v9
	v_div_scale_f32 v15, s[2:3], v2, v2, 1.0
	v_rcp_f32_e32 v16, v15
	v_fma_f32 v17, -v15, v16, 1.0
	v_fmac_f32_e32 v16, v17, v16
	v_div_scale_f32 v17, vcc, 1.0, v2, 1.0
	v_mul_f32_e32 v18, v17, v16
	v_fma_f32 v19, -v15, v18, v17
	v_fmac_f32_e32 v18, v19, v16
	v_fma_f32 v15, -v15, v18, v17
	v_div_fmas_f32 v15, v15, v16, v18
	v_div_fixup_f32 v15, v15, v2, 1.0
	v_fma_f32 v2, v3, v6, v7
	v_fma_f32 v3, v3, v7, -v6
	v_mul_f32_e32 v2, v2, v15
	v_mul_f32_e32 v3, v3, v15
	s_cbranch_execz .LBB162_60
	s_branch .LBB162_61
.LBB162_59:                             ;   in Loop: Header=BB162_46 Depth=1
                                        ; implicit-def: $vgpr3
.LBB162_60:                             ;   in Loop: Header=BB162_46 Depth=1
	v_div_scale_f32 v2, s[2:3], v8, v8, v9
	v_rcp_f32_e32 v3, v2
	v_div_scale_f32 v15, vcc, v9, v8, v9
	v_fma_f32 v16, -v2, v3, 1.0
	v_fmac_f32_e32 v3, v16, v3
	v_mul_f32_e32 v16, v15, v3
	v_fma_f32 v17, -v2, v16, v15
	v_fmac_f32_e32 v16, v17, v3
	v_fma_f32 v2, -v2, v16, v15
	v_div_fmas_f32 v2, v2, v3, v16
	v_div_fixup_f32 v3, v2, v8, v9
	v_fmac_f32_e32 v8, v9, v3
	v_div_scale_f32 v2, s[2:3], v8, v8, 1.0
	v_rcp_f32_e32 v9, v2
	v_fma_f32 v15, -v2, v9, 1.0
	v_fmac_f32_e32 v9, v15, v9
	v_div_scale_f32 v15, vcc, 1.0, v8, 1.0
	v_mul_f32_e32 v16, v15, v9
	v_fma_f32 v17, -v2, v16, v15
	v_fmac_f32_e32 v16, v17, v9
	v_fma_f32 v2, -v2, v16, v15
	v_div_fmas_f32 v2, v2, v9, v16
	v_div_fixup_f32 v8, v2, v8, 1.0
	v_fma_f32 v2, v3, v7, v6
	v_fma_f32 v3, -v3, v6, v7
	v_mul_f32_e32 v2, v2, v8
	v_mul_f32_e32 v3, v3, v8
.LBB162_61:                             ;   in Loop: Header=BB162_46 Depth=1
	v_mov_b32_e32 v6, s8
	ds_read2_b64 v[6:9], v6 offset0:3 offset1:75
	s_add_i32 s6, s6, s5
	s_lshl_b32 s2, s6, 3
	ds_write_b64 v14, v[2:3]
	s_waitcnt lgkmcnt(1)
	v_mul_f32_e32 v15, v13, v7
	v_mul_f32_e32 v7, v12, v7
	v_fma_f32 v12, v12, v6, -v15
	v_fmac_f32_e32 v7, v13, v6
	v_sub_f32_e32 v12, v4, v12
	v_mov_b32_e32 v4, s7
	v_sub_f32_e32 v13, v5, v7
	ds_read_b64 v[4:5], v4 offset:24
	v_mov_b32_e32 v6, s2
	ds_read_b64 v[6:7], v6 offset:24
	v_cmp_gt_f32_e32 vcc, 0, v9
	s_waitcnt lgkmcnt(1)
	v_mul_f32_e32 v15, v11, v5
	v_fma_f32 v15, v10, v4, -v15
	v_mul_f32_e32 v5, v10, v5
	s_waitcnt lgkmcnt(0)
	v_mul_f32_e32 v10, v3, v7
	v_fmac_f32_e32 v5, v11, v4
	v_fma_f32 v10, v2, v6, -v10
	v_mul_f32_e32 v2, v2, v7
	v_sub_f32_e32 v5, v13, v5
	v_fmac_f32_e32 v2, v3, v6
	v_sub_f32_e32 v5, v5, v2
	v_cndmask_b32_e64 v2, v9, -v9, vcc
	v_cmp_gt_f32_e32 vcc, 0, v8
	v_cndmask_b32_e64 v3, v8, -v8, vcc
	v_sub_f32_e32 v4, v12, v15
	v_cmp_ngt_f32_e32 vcc, v3, v2
	v_sub_f32_e32 v4, v4, v10
	s_cbranch_vccz .LBB162_63
; %bb.62:                               ;   in Loop: Header=BB162_46 Depth=1
	v_div_scale_f32 v2, s[2:3], v9, v9, v8
	v_rcp_f32_e32 v3, v2
	v_div_scale_f32 v6, vcc, v8, v9, v8
	v_fma_f32 v7, -v2, v3, 1.0
	v_fmac_f32_e32 v3, v7, v3
	v_mul_f32_e32 v7, v6, v3
	v_fma_f32 v10, -v2, v7, v6
	v_fmac_f32_e32 v7, v10, v3
	v_fma_f32 v2, -v2, v7, v6
	v_div_fmas_f32 v2, v2, v3, v7
	v_div_fixup_f32 v3, v2, v9, v8
	v_fma_f32 v2, v8, v3, v9
	v_div_scale_f32 v6, s[2:3], v2, v2, 1.0
	v_rcp_f32_e32 v7, v6
	v_fma_f32 v10, -v6, v7, 1.0
	v_fmac_f32_e32 v7, v10, v7
	v_div_scale_f32 v10, vcc, 1.0, v2, 1.0
	v_mul_f32_e32 v11, v10, v7
	v_fma_f32 v12, -v6, v11, v10
	v_fmac_f32_e32 v11, v12, v7
	v_fma_f32 v6, -v6, v11, v10
	v_div_fmas_f32 v6, v6, v7, v11
	v_div_fixup_f32 v6, v6, v2, 1.0
	v_fma_f32 v2, v3, v4, v5
	v_fma_f32 v3, v3, v5, -v4
	v_mul_f32_e32 v2, v2, v6
	v_mul_f32_e32 v3, v3, v6
	s_cbranch_execz .LBB162_64
	s_branch .LBB162_65
.LBB162_63:                             ;   in Loop: Header=BB162_46 Depth=1
                                        ; implicit-def: $vgpr3
.LBB162_64:                             ;   in Loop: Header=BB162_46 Depth=1
	v_div_scale_f32 v2, s[2:3], v8, v8, v9
	v_rcp_f32_e32 v3, v2
	v_div_scale_f32 v6, vcc, v9, v8, v9
	v_fma_f32 v7, -v2, v3, 1.0
	v_fmac_f32_e32 v3, v7, v3
	v_mul_f32_e32 v7, v6, v3
	v_fma_f32 v10, -v2, v7, v6
	v_fmac_f32_e32 v7, v10, v3
	v_fma_f32 v2, -v2, v7, v6
	v_div_fmas_f32 v2, v2, v3, v7
	v_div_fixup_f32 v3, v2, v8, v9
	v_fmac_f32_e32 v8, v9, v3
	v_div_scale_f32 v2, s[2:3], v8, v8, 1.0
	v_rcp_f32_e32 v6, v2
	v_fma_f32 v7, -v2, v6, 1.0
	v_fmac_f32_e32 v6, v7, v6
	v_div_scale_f32 v7, vcc, 1.0, v8, 1.0
	v_mul_f32_e32 v9, v7, v6
	v_fma_f32 v10, -v2, v9, v7
	v_fmac_f32_e32 v9, v10, v6
	v_fma_f32 v2, -v2, v9, v7
	v_div_fmas_f32 v2, v2, v6, v9
	v_div_fixup_f32 v6, v2, v8, 1.0
	v_fma_f32 v2, v3, v5, v4
	v_fma_f32 v3, -v3, v4, v5
	v_mul_f32_e32 v2, v2, v6
	v_mul_f32_e32 v3, v3, v6
.LBB162_65:                             ;   in Loop: Header=BB162_46 Depth=1
	s_add_i32 s6, s5, 4
	s_add_i32 s2, s5, 7
	;; [unrolled: 1-line block ×3, first 2 shown]
	s_cmp_ge_i32 s2, s33
	ds_write_b64 v14, v[2:3] offset:192
	s_cbranch_scc1 .LBB162_67
; %bb.66:                               ;   in Loop: Header=BB162_46 Depth=1
	s_mov_b32 s5, s6
	s_branch .LBB162_46
.LBB162_67:
	s_cmp_ge_i32 s6, s33
	s_cbranch_scc1 .LBB162_82
; %bb.68:
	v_mov_b32_e32 v1, 0x1200
	s_add_i32 s4, s6, -1
	s_lshl_b32 s5, s6, 3
	v_lshl_or_b32 v1, v0, 3, v1
	s_mov_b32 s7, 0
	s_mov_b32 s8, s6
	s_branch .LBB162_70
.LBB162_69:                             ;   in Loop: Header=BB162_70 Depth=1
	s_add_i32 s6, s6, 1
	s_add_i32 s7, s7, 1
	;; [unrolled: 1-line block ×3, first 2 shown]
	v_add_u16_e64 v2, s8, 1
	s_cmp_ge_i32 s6, s33
	v_readfirstlane_b32 s8, v2
	ds_write_b64 v8, v[6:7]
	s_cbranch_scc1 .LBB162_82
.LBB162_70:                             ; =>This Loop Header: Depth=1
                                        ;     Child Loop BB162_73 Depth 2
                                        ;     Child Loop BB162_77 Depth 2
	s_mul_i32 s2, s6, 24
	v_add_lshl_u32 v4, s2, v0, 3
	ds_read_b64 v[2:3], v4 offset:4608
	s_cmp_eq_u32 s6, 0
	s_cbranch_scc1 .LBB162_78
; %bb.71:                               ;   in Loop: Header=BB162_70 Depth=1
	s_add_i32 s2, s4, s7
	s_cmp_lt_u32 s2, 7
	s_cbranch_scc1 .LBB162_75
; %bb.72:                               ;   in Loop: Header=BB162_70 Depth=1
	s_and_b32 s2, s6, -8
	s_mov_b32 s3, 0
	v_mov_b32_e32 v5, v1
	s_mov_b32 s9, s5
.LBB162_73:                             ;   Parent Loop BB162_70 Depth=1
                                        ; =>  This Inner Loop Header: Depth=2
	ds_read2_b64 v[6:9], v5 offset1:24
	v_mov_b32_e32 v34, s9
	ds_read2_b64 v[10:13], v5 offset0:48 offset1:72
	ds_read2_b64 v[14:17], v5 offset0:96 offset1:120
	;; [unrolled: 1-line block ×3, first 2 shown]
	ds_read2_b64 v[22:25], v34 offset1:24
	ds_read2_b64 v[26:29], v34 offset0:48 offset1:72
	ds_read2_b64 v[30:33], v34 offset0:96 offset1:120
	;; [unrolled: 1-line block ×3, first 2 shown]
	s_add_i32 s3, s3, 8
	s_waitcnt lgkmcnt(3)
	v_pk_mul_f32 v[38:39], v[22:23], v[6:7] op_sel:[0,1]
	v_pk_mul_f32 v[40:41], v[24:25], v[8:9] op_sel:[0,1]
	v_pk_fma_f32 v[54:55], v[22:23], v[6:7], v[38:39] op_sel:[0,0,1] op_sel_hi:[1,0,0]
	v_pk_fma_f32 v[6:7], v[22:23], v[6:7], v[38:39] op_sel:[0,0,1] op_sel_hi:[1,0,0] neg_lo:[0,0,1] neg_hi:[0,0,1]
	s_waitcnt lgkmcnt(2)
	v_pk_mul_f32 v[42:43], v[26:27], v[10:11] op_sel:[0,1]
	v_pk_fma_f32 v[22:23], v[24:25], v[8:9], v[40:41] op_sel:[0,0,1] op_sel_hi:[1,0,0]
	v_pk_fma_f32 v[8:9], v[24:25], v[8:9], v[40:41] op_sel:[0,0,1] op_sel_hi:[1,0,0] neg_lo:[0,0,1] neg_hi:[0,0,1]
	v_mov_b32_e32 v7, v55
	v_pk_mul_f32 v[44:45], v[28:29], v[12:13] op_sel:[0,1]
	v_pk_fma_f32 v[24:25], v[26:27], v[10:11], v[42:43] op_sel:[0,0,1] op_sel_hi:[1,0,0]
	v_pk_fma_f32 v[10:11], v[26:27], v[10:11], v[42:43] op_sel:[0,0,1] op_sel_hi:[1,0,0] neg_lo:[0,0,1] neg_hi:[0,0,1]
	v_mov_b32_e32 v9, v23
	v_pk_add_f32 v[2:3], v[2:3], v[6:7] neg_lo:[0,1] neg_hi:[0,1]
	s_waitcnt lgkmcnt(1)
	v_pk_mul_f32 v[46:47], v[30:31], v[14:15] op_sel:[0,1]
	v_pk_fma_f32 v[26:27], v[28:29], v[12:13], v[44:45] op_sel:[0,0,1] op_sel_hi:[1,0,0]
	v_pk_fma_f32 v[12:13], v[28:29], v[12:13], v[44:45] op_sel:[0,0,1] op_sel_hi:[1,0,0] neg_lo:[0,0,1] neg_hi:[0,0,1]
	v_mov_b32_e32 v11, v25
	v_pk_add_f32 v[2:3], v[2:3], v[8:9] neg_lo:[0,1] neg_hi:[0,1]
	v_pk_mul_f32 v[48:49], v[32:33], v[16:17] op_sel:[0,1]
	v_pk_fma_f32 v[28:29], v[30:31], v[14:15], v[46:47] op_sel:[0,0,1] op_sel_hi:[1,0,0]
	v_pk_fma_f32 v[14:15], v[30:31], v[14:15], v[46:47] op_sel:[0,0,1] op_sel_hi:[1,0,0] neg_lo:[0,0,1] neg_hi:[0,0,1]
	v_mov_b32_e32 v13, v27
	v_pk_add_f32 v[2:3], v[2:3], v[10:11] neg_lo:[0,1] neg_hi:[0,1]
	s_waitcnt lgkmcnt(0)
	v_pk_mul_f32 v[50:51], v[34:35], v[18:19] op_sel:[0,1]
	v_pk_fma_f32 v[30:31], v[32:33], v[16:17], v[48:49] op_sel:[0,0,1] op_sel_hi:[1,0,0]
	v_pk_fma_f32 v[16:17], v[32:33], v[16:17], v[48:49] op_sel:[0,0,1] op_sel_hi:[1,0,0] neg_lo:[0,0,1] neg_hi:[0,0,1]
	v_mov_b32_e32 v15, v29
	v_pk_add_f32 v[2:3], v[2:3], v[12:13] neg_lo:[0,1] neg_hi:[0,1]
	v_pk_mul_f32 v[52:53], v[36:37], v[20:21] op_sel:[0,1]
	v_pk_fma_f32 v[32:33], v[34:35], v[18:19], v[50:51] op_sel:[0,0,1] op_sel_hi:[1,0,0]
	v_pk_fma_f32 v[18:19], v[34:35], v[18:19], v[50:51] op_sel:[0,0,1] op_sel_hi:[1,0,0] neg_lo:[0,0,1] neg_hi:[0,0,1]
	v_mov_b32_e32 v17, v31
	v_pk_add_f32 v[2:3], v[2:3], v[14:15] neg_lo:[0,1] neg_hi:[0,1]
	v_pk_fma_f32 v[34:35], v[36:37], v[20:21], v[52:53] op_sel:[0,0,1] op_sel_hi:[1,0,0]
	v_pk_fma_f32 v[20:21], v[36:37], v[20:21], v[52:53] op_sel:[0,0,1] op_sel_hi:[1,0,0] neg_lo:[0,0,1] neg_hi:[0,0,1]
	v_mov_b32_e32 v19, v33
	v_pk_add_f32 v[2:3], v[2:3], v[16:17] neg_lo:[0,1] neg_hi:[0,1]
	s_addk_i32 s9, 0x600
	v_mov_b32_e32 v21, v35
	v_pk_add_f32 v[2:3], v[2:3], v[18:19] neg_lo:[0,1] neg_hi:[0,1]
	v_add_u32_e32 v5, 0x600, v5
	s_cmp_eq_u32 s2, s3
	v_pk_add_f32 v[2:3], v[2:3], v[20:21] neg_lo:[0,1] neg_hi:[0,1]
	s_cbranch_scc0 .LBB162_73
; %bb.74:                               ;   in Loop: Header=BB162_70 Depth=1
	s_and_b32 s3, s6, 7
	s_cmp_eq_u32 s3, 0
	s_cbranch_scc0 .LBB162_76
	s_branch .LBB162_78
.LBB162_75:                             ;   in Loop: Header=BB162_70 Depth=1
	s_mov_b32 s2, 0
	s_and_b32 s3, s6, 7
	s_cmp_eq_u32 s3, 0
	s_cbranch_scc1 .LBB162_78
.LBB162_76:                             ;   in Loop: Header=BB162_70 Depth=1
	s_and_b32 s3, s8, 7
	s_mulk_i32 s2, 0xc0
.LBB162_77:                             ;   Parent Loop BB162_70 Depth=1
                                        ; =>  This Inner Loop Header: Depth=2
	v_add_u32_e32 v5, s2, v1
	s_add_i32 s9, s5, s2
	ds_read_b64 v[6:7], v5
	v_mov_b32_e32 v5, s9
	ds_read_b64 v[8:9], v5
	s_addk_i32 s2, 0xc0
	s_add_i32 s3, s3, -1
	s_cmp_lg_u32 s3, 0
	s_waitcnt lgkmcnt(0)
	v_pk_mul_f32 v[10:11], v[8:9], v[6:7] op_sel:[0,1]
	v_pk_fma_f32 v[12:13], v[8:9], v[6:7], v[10:11] op_sel:[0,0,1] op_sel_hi:[1,0,0]
	v_pk_fma_f32 v[6:7], v[8:9], v[6:7], v[10:11] op_sel:[0,0,1] op_sel_hi:[1,0,0] neg_lo:[0,0,1] neg_hi:[0,0,1]
	v_mov_b32_e32 v7, v13
	v_pk_add_f32 v[2:3], v[2:3], v[6:7] neg_lo:[0,1] neg_hi:[0,1]
	s_cbranch_scc1 .LBB162_77
.LBB162_78:                             ;   in Loop: Header=BB162_70 Depth=1
	s_mul_i32 s2, s6, 0xc8
	v_add_u32_e32 v8, 0x1200, v4
	v_mov_b32_e32 v4, s2
	ds_read_b64 v[4:5], v4
	s_waitcnt lgkmcnt(0)
	v_cmp_gt_f32_e32 vcc, 0, v5
	v_cndmask_b32_e64 v6, v5, -v5, vcc
	v_cmp_gt_f32_e32 vcc, 0, v4
	v_cndmask_b32_e64 v7, v4, -v4, vcc
	v_cmp_ngt_f32_e32 vcc, v7, v6
	s_cbranch_vccz .LBB162_80
; %bb.79:                               ;   in Loop: Header=BB162_70 Depth=1
	v_div_scale_f32 v6, s[2:3], v5, v5, v4
	v_rcp_f32_e32 v7, v6
	v_div_scale_f32 v9, vcc, v4, v5, v4
	v_fma_f32 v10, -v6, v7, 1.0
	v_fmac_f32_e32 v7, v10, v7
	v_mul_f32_e32 v10, v9, v7
	v_fma_f32 v11, -v6, v10, v9
	v_fmac_f32_e32 v10, v11, v7
	v_fma_f32 v6, -v6, v10, v9
	v_div_fmas_f32 v6, v6, v7, v10
	v_div_fixup_f32 v6, v6, v5, v4
	v_fma_f32 v7, v4, v6, v5
	v_div_scale_f32 v9, s[2:3], v7, v7, 1.0
	v_rcp_f32_e32 v10, v9
	v_fma_f32 v11, -v9, v10, 1.0
	v_fmac_f32_e32 v10, v11, v10
	v_div_scale_f32 v11, vcc, 1.0, v7, 1.0
	v_mul_f32_e32 v12, v11, v10
	v_fma_f32 v13, -v9, v12, v11
	v_fmac_f32_e32 v12, v13, v10
	v_fma_f32 v9, -v9, v12, v11
	v_div_fmas_f32 v9, v9, v10, v12
	v_div_fixup_f32 v10, v9, v7, 1.0
	v_pk_fma_f32 v[12:13], v[2:3], v[6:7], v[2:3] op_sel:[0,0,1] op_sel_hi:[1,0,0] neg_lo:[0,0,1] neg_hi:[0,0,1]
	v_pk_fma_f32 v[6:7], v[2:3], v[6:7], v[2:3] op_sel:[0,0,1] op_sel_hi:[1,0,0]
	v_mov_b32_e32 v7, v13
	v_pk_mul_f32 v[6:7], v[6:7], v[10:11] op_sel_hi:[1,0]
	s_cbranch_execnz .LBB162_69
	s_branch .LBB162_81
.LBB162_80:                             ;   in Loop: Header=BB162_70 Depth=1
                                        ; implicit-def: $vgpr6_vgpr7
.LBB162_81:                             ;   in Loop: Header=BB162_70 Depth=1
	v_div_scale_f32 v6, s[2:3], v4, v4, v5
	v_rcp_f32_e32 v7, v6
	v_div_scale_f32 v9, vcc, v5, v4, v5
	v_fma_f32 v10, -v6, v7, 1.0
	v_fmac_f32_e32 v7, v10, v7
	v_mul_f32_e32 v10, v9, v7
	v_fma_f32 v11, -v6, v10, v9
	v_fmac_f32_e32 v10, v11, v7
	v_fma_f32 v6, -v6, v10, v9
	v_div_fmas_f32 v6, v6, v7, v10
	v_div_fixup_f32 v6, v6, v4, v5
	v_fmac_f32_e32 v4, v5, v6
	v_div_scale_f32 v5, s[2:3], v4, v4, 1.0
	v_rcp_f32_e32 v7, v5
	v_fma_f32 v9, -v5, v7, 1.0
	v_fmac_f32_e32 v7, v9, v7
	v_div_scale_f32 v9, vcc, 1.0, v4, 1.0
	v_mul_f32_e32 v10, v9, v7
	v_fma_f32 v11, -v5, v10, v9
	v_fmac_f32_e32 v10, v11, v7
	v_fma_f32 v5, -v5, v10, v9
	v_div_fmas_f32 v5, v5, v7, v10
	v_pk_mul_f32 v[6:7], v[2:3], v[6:7] op_sel_hi:[1,0]
	v_pk_add_f32 v[10:11], v[2:3], v[6:7] op_sel:[0,1] op_sel_hi:[1,0] neg_lo:[0,1] neg_hi:[0,1]
	v_pk_add_f32 v[2:3], v[2:3], v[6:7] op_sel:[0,1] op_sel_hi:[1,0]
	v_div_fixup_f32 v4, v5, v4, 1.0
	v_mov_b32_e32 v3, v11
	v_pk_mul_f32 v[6:7], v[2:3], v[4:5] op_sel_hi:[1,0]
	s_branch .LBB162_69
.LBB162_82:
	s_mov_b64 s[2:3], 0
.LBB162_83:
	s_and_b64 vcc, exec, s[2:3]
	s_cbranch_vccz .LBB162_115
; %bb.84:
	s_andn2_b64 vcc, exec, s[0:1]
	s_mov_b32 s6, s42
	s_cbranch_vccnz .LBB162_106
; %bb.85:
	s_mul_i32 s2, s33, 0xc0
	v_lshl_add_u32 v1, v0, 3, s2
	s_mul_i32 s2, s33, 0xc8
	v_add_u32_e32 v1, 0x1080, v1
	s_add_i32 s4, s2, 0xfffffe60
	s_mov_b32 s5, s42
.LBB162_86:                             ; =>This Loop Header: Depth=1
                                        ;     Child Loop BB162_87 Depth 2
	s_mul_i32 s8, s5, 24
	s_sub_i32 s6, s8, 48
	v_add_lshl_u32 v12, s6, v0, 3
	v_add_lshl_u32 v6, s8, v0, 3
	s_sub_i32 s7, s8, 24
	v_add_u32_e32 v2, 0x1000, v12
	v_add_lshl_u32 v7, s7, v0, 3
	ds_read_b64 v[10:11], v6 offset:4608
	ds_read_b64 v[8:9], v7 offset:4608
	ds_read2_b64 v[2:5], v2 offset0:40 offset1:64
	s_cmp_le_i32 s42, s5
	s_mov_b32 s2, s4
	v_mov_b32_e32 v13, v1
	s_mov_b32 s3, s42
	s_cbranch_scc1 .LBB162_88
.LBB162_87:                             ;   Parent Loop BB162_86 Depth=1
                                        ; =>  This Inner Loop Header: Depth=2
	ds_read2_b64 v[14:17], v13 offset1:24
	v_mov_b32_e32 v30, s2
	ds_read2_b64 v[18:21], v30 offset0:26 offset1:27
	ds_read2_b64 v[22:25], v30 offset0:24 offset1:25
	;; [unrolled: 1-line block ×3, first 2 shown]
	ds_read2_b64 v[30:33], v30 offset1:1
	s_add_i32 s3, s3, -2
	s_addk_i32 s2, 0xfe80
	s_waitcnt lgkmcnt(3)
	v_mul_f32_e32 v34, v21, v17
	v_mul_f32_e32 v35, v20, v17
	v_mul_f32_e32 v36, v19, v17
	v_mul_f32_e32 v19, v19, v16
	s_waitcnt lgkmcnt(2)
	v_mul_f32_e32 v37, v25, v17
	v_mul_f32_e32 v25, v25, v16
	v_mul_f32_e32 v38, v23, v17
	v_mul_f32_e32 v23, v23, v16
	;; [unrolled: 5-line block ×4, first 2 shown]
	v_fma_f32 v20, v20, v16, -v34
	v_fmac_f32_e32 v35, v21, v16
	v_fma_f32 v21, v18, v16, -v36
	v_fmac_f32_e32 v19, v18, v17
	;; [unrolled: 2-line block ×8, first 2 shown]
	v_sub_f32_e32 v10, v10, v20
	v_sub_f32_e32 v11, v11, v35
	;; [unrolled: 1-line block ×8, first 2 shown]
	v_add_u32_e32 v13, 0xfffffe80, v13
	s_cmp_le_i32 s3, s5
	v_sub_f32_e32 v10, v10, v17
	v_sub_f32_e32 v11, v11, v40
	;; [unrolled: 1-line block ×8, first 2 shown]
	s_cbranch_scc0 .LBB162_87
.LBB162_88:                             ;   in Loop: Header=BB162_86 Depth=1
	s_mul_i32 s9, s5, 0xc8
	v_add_u32_e32 v17, 0x1200, v6
	v_mov_b32_e32 v6, s9
	v_add_u32_e32 v15, 0x1200, v12
	v_add_u32_e32 v14, 0x1140, v12
	ds_read_b64 v[12:13], v6
	v_add_u32_e32 v16, 0x1200, v7
	s_waitcnt lgkmcnt(0)
	v_cmp_gt_f32_e32 vcc, 0, v13
	v_cndmask_b32_e64 v6, v13, -v13, vcc
	v_cmp_gt_f32_e32 vcc, 0, v12
	v_cndmask_b32_e64 v7, v12, -v12, vcc
	v_cmp_ngt_f32_e32 vcc, v7, v6
	s_cbranch_vccz .LBB162_90
; %bb.89:                               ;   in Loop: Header=BB162_86 Depth=1
	v_div_scale_f32 v6, s[2:3], v13, v13, v12
	v_rcp_f32_e32 v7, v6
	v_div_scale_f32 v18, vcc, v12, v13, v12
	v_fma_f32 v19, -v6, v7, 1.0
	v_fmac_f32_e32 v7, v19, v7
	v_mul_f32_e32 v19, v18, v7
	v_fma_f32 v20, -v6, v19, v18
	v_fmac_f32_e32 v19, v20, v7
	v_fma_f32 v6, -v6, v19, v18
	v_div_fmas_f32 v6, v6, v7, v19
	v_div_fixup_f32 v7, v6, v13, v12
	v_fma_f32 v6, v12, v7, v13
	v_div_scale_f32 v18, s[2:3], v6, v6, 1.0
	v_rcp_f32_e32 v19, v18
	v_fma_f32 v20, -v18, v19, 1.0
	v_fmac_f32_e32 v19, v20, v19
	v_div_scale_f32 v20, vcc, 1.0, v6, 1.0
	v_mul_f32_e32 v21, v20, v19
	v_fma_f32 v22, -v18, v21, v20
	v_fmac_f32_e32 v21, v22, v19
	v_fma_f32 v18, -v18, v21, v20
	v_div_fmas_f32 v18, v18, v19, v21
	v_div_fixup_f32 v18, v18, v6, 1.0
	v_fma_f32 v6, v10, v7, v11
	v_fma_f32 v7, v11, v7, -v10
	v_mul_f32_e32 v6, v6, v18
	v_mul_f32_e32 v7, v7, v18
	s_cbranch_execz .LBB162_91
	s_branch .LBB162_92
.LBB162_90:                             ;   in Loop: Header=BB162_86 Depth=1
                                        ; implicit-def: $vgpr7
.LBB162_91:                             ;   in Loop: Header=BB162_86 Depth=1
	v_div_scale_f32 v6, s[2:3], v12, v12, v13
	v_rcp_f32_e32 v7, v6
	v_div_scale_f32 v18, vcc, v13, v12, v13
	v_fma_f32 v19, -v6, v7, 1.0
	v_fmac_f32_e32 v7, v19, v7
	v_mul_f32_e32 v19, v18, v7
	v_fma_f32 v20, -v6, v19, v18
	v_fmac_f32_e32 v19, v20, v7
	v_fma_f32 v6, -v6, v19, v18
	v_div_fmas_f32 v6, v6, v7, v19
	v_div_fixup_f32 v7, v6, v12, v13
	v_fmac_f32_e32 v12, v13, v7
	v_div_scale_f32 v6, s[2:3], v12, v12, 1.0
	v_rcp_f32_e32 v13, v6
	v_fma_f32 v18, -v6, v13, 1.0
	v_fmac_f32_e32 v13, v18, v13
	v_div_scale_f32 v18, vcc, 1.0, v12, 1.0
	v_mul_f32_e32 v19, v18, v13
	v_fma_f32 v20, -v6, v19, v18
	v_fmac_f32_e32 v19, v20, v13
	v_fma_f32 v6, -v6, v19, v18
	v_div_fmas_f32 v6, v6, v13, v19
	v_div_fixup_f32 v12, v6, v12, 1.0
	v_fma_f32 v6, v11, v7, v10
	v_fma_f32 v7, -v10, v7, v11
	v_mul_f32_e32 v6, v6, v12
	v_mul_f32_e32 v7, v7, v12
.LBB162_92:                             ;   in Loop: Header=BB162_86 Depth=1
	s_add_i32 s2, s5, s8
	s_lshl_b32 s2, s2, 3
	s_add_i32 s2, s2, -8
	v_mov_b32_e32 v10, s2
	s_addk_i32 s9, 0xff38
	ds_read_b64 v[12:13], v10
	v_mov_b32_e32 v10, s9
	ds_read_b64 v[10:11], v10
	ds_write_b64 v17, v[6:7]
	s_waitcnt lgkmcnt(2)
	v_mul_f32_e32 v17, v7, v13
	v_fma_f32 v17, v6, v12, -v17
	v_mul_f32_e32 v13, v6, v13
	s_waitcnt lgkmcnt(1)
	v_cmp_gt_f32_e32 vcc, 0, v11
	v_fmac_f32_e32 v13, v7, v12
	v_sub_f32_e32 v12, v8, v17
	v_cndmask_b32_e64 v8, v11, -v11, vcc
	v_cmp_gt_f32_e32 vcc, 0, v10
	v_sub_f32_e32 v13, v9, v13
	v_cndmask_b32_e64 v9, v10, -v10, vcc
	v_cmp_ngt_f32_e32 vcc, v9, v8
	s_cbranch_vccz .LBB162_94
; %bb.93:                               ;   in Loop: Header=BB162_86 Depth=1
	v_div_scale_f32 v8, s[2:3], v11, v11, v10
	v_rcp_f32_e32 v9, v8
	v_div_scale_f32 v17, vcc, v10, v11, v10
	v_fma_f32 v18, -v8, v9, 1.0
	v_fmac_f32_e32 v9, v18, v9
	v_mul_f32_e32 v18, v17, v9
	v_fma_f32 v19, -v8, v18, v17
	v_fmac_f32_e32 v18, v19, v9
	v_fma_f32 v8, -v8, v18, v17
	v_div_fmas_f32 v8, v8, v9, v18
	v_div_fixup_f32 v9, v8, v11, v10
	v_fma_f32 v8, v10, v9, v11
	v_div_scale_f32 v17, s[2:3], v8, v8, 1.0
	v_rcp_f32_e32 v18, v17
	v_fma_f32 v19, -v17, v18, 1.0
	v_fmac_f32_e32 v18, v19, v18
	v_div_scale_f32 v19, vcc, 1.0, v8, 1.0
	v_mul_f32_e32 v20, v19, v18
	v_fma_f32 v21, -v17, v20, v19
	v_fmac_f32_e32 v20, v21, v18
	v_fma_f32 v17, -v17, v20, v19
	v_div_fmas_f32 v17, v17, v18, v20
	v_div_fixup_f32 v17, v17, v8, 1.0
	v_fma_f32 v8, v9, v12, v13
	v_fma_f32 v9, v9, v13, -v12
	v_mul_f32_e32 v8, v8, v17
	v_mul_f32_e32 v9, v9, v17
	s_cbranch_execz .LBB162_95
	s_branch .LBB162_96
.LBB162_94:                             ;   in Loop: Header=BB162_86 Depth=1
                                        ; implicit-def: $vgpr9
.LBB162_95:                             ;   in Loop: Header=BB162_86 Depth=1
	v_div_scale_f32 v8, s[2:3], v10, v10, v11
	v_rcp_f32_e32 v9, v8
	v_div_scale_f32 v17, vcc, v11, v10, v11
	v_fma_f32 v18, -v8, v9, 1.0
	v_fmac_f32_e32 v9, v18, v9
	v_mul_f32_e32 v18, v17, v9
	v_fma_f32 v19, -v8, v18, v17
	v_fmac_f32_e32 v18, v19, v9
	v_fma_f32 v8, -v8, v18, v17
	v_div_fmas_f32 v8, v8, v9, v18
	v_div_fixup_f32 v9, v8, v10, v11
	v_fmac_f32_e32 v10, v11, v9
	v_div_scale_f32 v8, s[2:3], v10, v10, 1.0
	v_rcp_f32_e32 v11, v8
	v_fma_f32 v17, -v8, v11, 1.0
	v_fmac_f32_e32 v11, v17, v11
	v_div_scale_f32 v17, vcc, 1.0, v10, 1.0
	v_mul_f32_e32 v18, v17, v11
	v_fma_f32 v19, -v8, v18, v17
	v_fmac_f32_e32 v18, v19, v11
	v_fma_f32 v8, -v8, v18, v17
	v_div_fmas_f32 v8, v8, v11, v18
	v_div_fixup_f32 v10, v8, v10, 1.0
	v_fma_f32 v8, v9, v13, v12
	v_fma_f32 v9, -v9, v12, v13
	v_mul_f32_e32 v8, v8, v10
	v_mul_f32_e32 v9, v9, v10
.LBB162_96:                             ;   in Loop: Header=BB162_86 Depth=1
	s_add_i32 s2, s5, -2
	s_add_i32 s3, s8, s2
	s_lshl_b32 s3, s3, 3
	v_mov_b32_e32 v10, s3
	s_add_i32 s2, s7, s2
	s_lshl_b32 s2, s2, 3
	ds_read_b64 v[12:13], v10
	s_addk_i32 s9, 0xff38
	ds_write_b64 v16, v[8:9]
	v_mov_b32_e32 v11, s2
	v_mov_b32_e32 v10, s9
	ds_read_b64 v[16:17], v11
	ds_read_b64 v[10:11], v10
	s_waitcnt lgkmcnt(3)
	v_mul_f32_e32 v18, v7, v13
	v_mul_f32_e32 v13, v6, v13
	v_fma_f32 v18, v6, v12, -v18
	v_fmac_f32_e32 v13, v7, v12
	s_waitcnt lgkmcnt(1)
	v_mul_f32_e32 v12, v9, v17
	v_sub_f32_e32 v4, v4, v18
	v_sub_f32_e32 v5, v5, v13
	v_fma_f32 v12, v8, v16, -v12
	v_mul_f32_e32 v13, v8, v17
	s_waitcnt lgkmcnt(0)
	v_cmp_gt_f32_e32 vcc, 0, v11
	v_fmac_f32_e32 v13, v9, v16
	v_sub_f32_e32 v4, v4, v12
	v_cndmask_b32_e64 v12, v11, -v11, vcc
	v_cmp_gt_f32_e32 vcc, 0, v10
	v_sub_f32_e32 v5, v5, v13
	v_cndmask_b32_e64 v13, v10, -v10, vcc
	v_cmp_ngt_f32_e32 vcc, v13, v12
	s_cbranch_vccz .LBB162_98
; %bb.97:                               ;   in Loop: Header=BB162_86 Depth=1
	v_div_scale_f32 v12, s[2:3], v11, v11, v10
	v_rcp_f32_e32 v13, v12
	v_div_scale_f32 v16, vcc, v10, v11, v10
	v_fma_f32 v17, -v12, v13, 1.0
	v_fmac_f32_e32 v13, v17, v13
	v_mul_f32_e32 v17, v16, v13
	v_fma_f32 v18, -v12, v17, v16
	v_fmac_f32_e32 v17, v18, v13
	v_fma_f32 v12, -v12, v17, v16
	v_div_fmas_f32 v12, v12, v13, v17
	v_div_fixup_f32 v13, v12, v11, v10
	v_fma_f32 v12, v10, v13, v11
	v_div_scale_f32 v16, s[2:3], v12, v12, 1.0
	v_rcp_f32_e32 v17, v16
	v_fma_f32 v18, -v16, v17, 1.0
	v_fmac_f32_e32 v17, v18, v17
	v_div_scale_f32 v18, vcc, 1.0, v12, 1.0
	v_mul_f32_e32 v19, v18, v17
	v_fma_f32 v20, -v16, v19, v18
	v_fmac_f32_e32 v19, v20, v17
	v_fma_f32 v16, -v16, v19, v18
	v_div_fmas_f32 v16, v16, v17, v19
	v_div_fixup_f32 v16, v16, v12, 1.0
	v_fma_f32 v12, v13, v4, v5
	v_fma_f32 v13, v13, v5, -v4
	v_mul_f32_e32 v12, v12, v16
	v_mul_f32_e32 v13, v13, v16
	s_cbranch_execz .LBB162_99
	s_branch .LBB162_100
.LBB162_98:                             ;   in Loop: Header=BB162_86 Depth=1
                                        ; implicit-def: $vgpr13
.LBB162_99:                             ;   in Loop: Header=BB162_86 Depth=1
	v_div_scale_f32 v12, s[2:3], v10, v10, v11
	v_rcp_f32_e32 v13, v12
	v_div_scale_f32 v16, vcc, v11, v10, v11
	v_fma_f32 v17, -v12, v13, 1.0
	v_fmac_f32_e32 v13, v17, v13
	v_mul_f32_e32 v17, v16, v13
	v_fma_f32 v18, -v12, v17, v16
	v_fmac_f32_e32 v17, v18, v13
	v_fma_f32 v12, -v12, v17, v16
	v_div_fmas_f32 v12, v12, v13, v17
	v_div_fixup_f32 v13, v12, v10, v11
	v_fmac_f32_e32 v10, v11, v13
	v_div_scale_f32 v11, s[2:3], v10, v10, 1.0
	v_rcp_f32_e32 v12, v11
	v_fma_f32 v16, -v11, v12, 1.0
	v_fmac_f32_e32 v12, v16, v12
	v_div_scale_f32 v16, vcc, 1.0, v10, 1.0
	v_mul_f32_e32 v17, v16, v12
	v_fma_f32 v18, -v11, v17, v16
	v_fmac_f32_e32 v17, v18, v12
	v_fma_f32 v11, -v11, v17, v16
	v_div_fmas_f32 v11, v11, v12, v17
	v_div_fixup_f32 v10, v11, v10, 1.0
	v_fma_f32 v11, v13, v5, v4
	v_fma_f32 v4, -v13, v4, v5
	v_mul_f32_e32 v12, v11, v10
	v_mul_f32_e32 v13, v4, v10
.LBB162_100:                            ;   in Loop: Header=BB162_86 Depth=1
	s_add_i32 s2, s5, -3
	s_add_i32 s8, s8, s2
	s_lshl_b32 s3, s8, 3
	v_mov_b32_e32 v4, s3
	ds_read_b64 v[10:11], v4
	s_add_i32 s6, s6, s2
	s_add_i32 s7, s7, s2
	s_lshl_b32 s2, s6, 3
	ds_write_b64 v15, v[12:13]
	s_lshl_b32 s3, s7, 3
	v_mov_b32_e32 v15, s2
	s_add_i32 s2, s9, 0xffffff38
	v_mov_b32_e32 v5, s3
	v_mov_b32_e32 v4, s2
	ds_read_b64 v[16:17], v5
	ds_read_b64 v[18:19], v15
	;; [unrolled: 1-line block ×3, first 2 shown]
	s_waitcnt lgkmcnt(4)
	v_mul_f32_e32 v15, v7, v11
	v_fma_f32 v15, v6, v10, -v15
	v_mul_f32_e32 v6, v6, v11
	v_fmac_f32_e32 v6, v7, v10
	v_sub_f32_e32 v3, v3, v6
	s_waitcnt lgkmcnt(2)
	v_mul_f32_e32 v6, v9, v17
	v_sub_f32_e32 v2, v2, v15
	v_fma_f32 v6, v8, v16, -v6
	v_mul_f32_e32 v7, v8, v17
	v_fmac_f32_e32 v7, v9, v16
	v_sub_f32_e32 v2, v2, v6
	s_waitcnt lgkmcnt(1)
	v_mul_f32_e32 v6, v13, v19
	v_sub_f32_e32 v3, v3, v7
	v_fma_f32 v6, v12, v18, -v6
	v_mul_f32_e32 v7, v12, v19
	s_waitcnt lgkmcnt(0)
	v_cmp_gt_f32_e32 vcc, 0, v5
	v_fmac_f32_e32 v7, v13, v18
	v_sub_f32_e32 v6, v2, v6
	v_cndmask_b32_e64 v2, v5, -v5, vcc
	v_cmp_gt_f32_e32 vcc, 0, v4
	v_sub_f32_e32 v7, v3, v7
	v_cndmask_b32_e64 v3, v4, -v4, vcc
	v_cmp_ngt_f32_e32 vcc, v3, v2
	s_cbranch_vccz .LBB162_102
; %bb.101:                              ;   in Loop: Header=BB162_86 Depth=1
	v_div_scale_f32 v2, s[2:3], v5, v5, v4
	v_rcp_f32_e32 v3, v2
	v_div_scale_f32 v8, vcc, v4, v5, v4
	v_fma_f32 v9, -v2, v3, 1.0
	v_fmac_f32_e32 v3, v9, v3
	v_mul_f32_e32 v9, v8, v3
	v_fma_f32 v10, -v2, v9, v8
	v_fmac_f32_e32 v9, v10, v3
	v_fma_f32 v2, -v2, v9, v8
	v_div_fmas_f32 v2, v2, v3, v9
	v_div_fixup_f32 v3, v2, v5, v4
	v_fma_f32 v2, v4, v3, v5
	v_div_scale_f32 v8, s[2:3], v2, v2, 1.0
	v_rcp_f32_e32 v9, v8
	v_fma_f32 v10, -v8, v9, 1.0
	v_fmac_f32_e32 v9, v10, v9
	v_div_scale_f32 v10, vcc, 1.0, v2, 1.0
	v_mul_f32_e32 v11, v10, v9
	v_fma_f32 v12, -v8, v11, v10
	v_fmac_f32_e32 v11, v12, v9
	v_fma_f32 v8, -v8, v11, v10
	v_div_fmas_f32 v8, v8, v9, v11
	v_div_fixup_f32 v8, v8, v2, 1.0
	v_fma_f32 v2, v3, v6, v7
	v_fma_f32 v3, v3, v7, -v6
	v_mul_f32_e32 v2, v2, v8
	v_mul_f32_e32 v3, v3, v8
	s_cbranch_execz .LBB162_103
	s_branch .LBB162_104
.LBB162_102:                            ;   in Loop: Header=BB162_86 Depth=1
                                        ; implicit-def: $vgpr3
.LBB162_103:                            ;   in Loop: Header=BB162_86 Depth=1
	v_div_scale_f32 v2, s[2:3], v4, v4, v5
	v_rcp_f32_e32 v3, v2
	v_div_scale_f32 v8, vcc, v5, v4, v5
	v_fma_f32 v9, -v2, v3, 1.0
	v_fmac_f32_e32 v3, v9, v3
	v_mul_f32_e32 v9, v8, v3
	v_fma_f32 v10, -v2, v9, v8
	v_fmac_f32_e32 v9, v10, v3
	v_fma_f32 v2, -v2, v9, v8
	v_div_fmas_f32 v2, v2, v3, v9
	v_div_fixup_f32 v3, v2, v4, v5
	v_fmac_f32_e32 v4, v5, v3
	v_div_scale_f32 v2, s[2:3], v4, v4, 1.0
	v_rcp_f32_e32 v5, v2
	v_fma_f32 v8, -v2, v5, 1.0
	v_fmac_f32_e32 v5, v8, v5
	v_div_scale_f32 v8, vcc, 1.0, v4, 1.0
	v_mul_f32_e32 v9, v8, v5
	v_fma_f32 v10, -v2, v9, v8
	v_fmac_f32_e32 v9, v10, v5
	v_fma_f32 v2, -v2, v9, v8
	v_div_fmas_f32 v2, v2, v5, v9
	v_div_fixup_f32 v4, v2, v4, 1.0
	v_fma_f32 v2, v3, v7, v6
	v_fma_f32 v3, -v3, v6, v7
	v_mul_f32_e32 v2, v2, v4
	v_mul_f32_e32 v3, v3, v4
.LBB162_104:                            ;   in Loop: Header=BB162_86 Depth=1
	s_add_i32 s6, s5, -4
	s_sub_i32 s4, s4, 32
	s_cmp_lt_i32 s5, 7
	ds_write_b64 v14, v[2:3]
	s_cbranch_scc1 .LBB162_106
; %bb.105:                              ;   in Loop: Header=BB162_86 Depth=1
	s_mov_b32 s5, s6
	s_branch .LBB162_86
.LBB162_106:
	s_cmp_lt_i32 s6, 0
	s_cbranch_scc1 .LBB162_115
; %bb.107:
	s_mul_i32 s2, s33, 0xc0
	s_lshl_b32 s3, s6, 3
	s_add_i32 s3, s2, s3
	v_lshl_add_u32 v1, v0, 3, s2
	s_add_i32 s4, s3, 0xffffff40
	v_add_u32_e32 v1, 0x1140, v1
	s_branch .LBB162_109
.LBB162_108:                            ;   in Loop: Header=BB162_109 Depth=1
	s_add_i32 s2, s6, -1
	s_add_i32 s4, s4, -8
	s_cmp_lt_i32 s6, 1
	s_mov_b32 s6, s2
	ds_write_b64 v8, v[6:7]
	s_cbranch_scc1 .LBB162_115
.LBB162_109:                            ; =>This Loop Header: Depth=1
                                        ;     Child Loop BB162_110 Depth 2
	s_mul_i32 s2, s6, 24
	v_add_lshl_u32 v4, s2, v0, 3
	ds_read_b64 v[2:3], v4 offset:4608
	s_cmp_le_i32 s42, s6
	v_mov_b32_e32 v5, v1
	s_mov_b32 s2, s4
	s_mov_b32 s3, s42
	s_cbranch_scc1 .LBB162_111
.LBB162_110:                            ;   Parent Loop BB162_109 Depth=1
                                        ; =>  This Inner Loop Header: Depth=2
	v_mov_b32_e32 v8, s2
	ds_read_b64 v[6:7], v5
	ds_read_b64 v[8:9], v8
	s_add_i32 s3, s3, -1
	s_addk_i32 s2, 0xff40
	v_add_u32_e32 v5, 0xffffff40, v5
	s_cmp_le_i32 s3, s6
	s_waitcnt lgkmcnt(0)
	v_pk_mul_f32 v[10:11], v[8:9], v[6:7] op_sel:[0,1]
	v_pk_fma_f32 v[12:13], v[8:9], v[6:7], v[10:11] op_sel:[0,0,1] op_sel_hi:[1,0,0]
	v_pk_fma_f32 v[6:7], v[8:9], v[6:7], v[10:11] op_sel:[0,0,1] op_sel_hi:[1,0,0] neg_lo:[0,0,1] neg_hi:[0,0,1]
	v_mov_b32_e32 v7, v13
	v_pk_add_f32 v[2:3], v[2:3], v[6:7] neg_lo:[0,1] neg_hi:[0,1]
	s_cbranch_scc0 .LBB162_110
.LBB162_111:                            ;   in Loop: Header=BB162_109 Depth=1
	s_mul_i32 s2, s6, 0xc8
	v_add_u32_e32 v8, 0x1200, v4
	v_mov_b32_e32 v4, s2
	ds_read_b64 v[4:5], v4
	s_waitcnt lgkmcnt(0)
	v_cmp_gt_f32_e32 vcc, 0, v5
	v_cndmask_b32_e64 v6, v5, -v5, vcc
	v_cmp_gt_f32_e32 vcc, 0, v4
	v_cndmask_b32_e64 v7, v4, -v4, vcc
	v_cmp_ngt_f32_e32 vcc, v7, v6
	s_cbranch_vccz .LBB162_113
; %bb.112:                              ;   in Loop: Header=BB162_109 Depth=1
	v_div_scale_f32 v6, s[2:3], v5, v5, v4
	v_rcp_f32_e32 v7, v6
	v_div_scale_f32 v9, vcc, v4, v5, v4
	v_fma_f32 v10, -v6, v7, 1.0
	v_fmac_f32_e32 v7, v10, v7
	v_mul_f32_e32 v10, v9, v7
	v_fma_f32 v11, -v6, v10, v9
	v_fmac_f32_e32 v10, v11, v7
	v_fma_f32 v6, -v6, v10, v9
	v_div_fmas_f32 v6, v6, v7, v10
	v_div_fixup_f32 v6, v6, v5, v4
	v_fma_f32 v7, v4, v6, v5
	v_div_scale_f32 v9, s[2:3], v7, v7, 1.0
	v_rcp_f32_e32 v10, v9
	v_fma_f32 v11, -v9, v10, 1.0
	v_fmac_f32_e32 v10, v11, v10
	v_div_scale_f32 v11, vcc, 1.0, v7, 1.0
	v_mul_f32_e32 v12, v11, v10
	v_fma_f32 v13, -v9, v12, v11
	v_fmac_f32_e32 v12, v13, v10
	v_fma_f32 v9, -v9, v12, v11
	v_div_fmas_f32 v9, v9, v10, v12
	v_div_fixup_f32 v10, v9, v7, 1.0
	v_pk_fma_f32 v[12:13], v[2:3], v[6:7], v[2:3] op_sel:[0,0,1] op_sel_hi:[1,0,0] neg_lo:[0,0,1] neg_hi:[0,0,1]
	v_pk_fma_f32 v[6:7], v[2:3], v[6:7], v[2:3] op_sel:[0,0,1] op_sel_hi:[1,0,0]
	v_mov_b32_e32 v7, v13
	v_pk_mul_f32 v[6:7], v[6:7], v[10:11] op_sel_hi:[1,0]
	s_cbranch_execnz .LBB162_108
	s_branch .LBB162_114
.LBB162_113:                            ;   in Loop: Header=BB162_109 Depth=1
                                        ; implicit-def: $vgpr6_vgpr7
.LBB162_114:                            ;   in Loop: Header=BB162_109 Depth=1
	v_div_scale_f32 v6, s[2:3], v4, v4, v5
	v_rcp_f32_e32 v7, v6
	v_div_scale_f32 v9, vcc, v5, v4, v5
	v_fma_f32 v10, -v6, v7, 1.0
	v_fmac_f32_e32 v7, v10, v7
	v_mul_f32_e32 v10, v9, v7
	v_fma_f32 v11, -v6, v10, v9
	v_fmac_f32_e32 v10, v11, v7
	v_fma_f32 v6, -v6, v10, v9
	v_div_fmas_f32 v6, v6, v7, v10
	v_div_fixup_f32 v6, v6, v4, v5
	v_fmac_f32_e32 v4, v5, v6
	v_div_scale_f32 v5, s[2:3], v4, v4, 1.0
	v_rcp_f32_e32 v7, v5
	v_fma_f32 v9, -v5, v7, 1.0
	v_fmac_f32_e32 v7, v9, v7
	v_div_scale_f32 v9, vcc, 1.0, v4, 1.0
	v_mul_f32_e32 v10, v9, v7
	v_fma_f32 v11, -v5, v10, v9
	v_fmac_f32_e32 v10, v11, v7
	v_fma_f32 v5, -v5, v10, v9
	v_div_fmas_f32 v5, v5, v7, v10
	v_pk_mul_f32 v[6:7], v[2:3], v[6:7] op_sel_hi:[1,0]
	v_pk_add_f32 v[10:11], v[2:3], v[6:7] op_sel:[0,1] op_sel_hi:[1,0] neg_lo:[0,1] neg_hi:[0,1]
	v_pk_add_f32 v[2:3], v[2:3], v[6:7] op_sel:[0,1] op_sel_hi:[1,0]
	v_div_fixup_f32 v4, v5, v4, 1.0
	v_mov_b32_e32 v3, v11
	v_pk_mul_f32 v[6:7], v[2:3], v[4:5] op_sel_hi:[1,0]
	s_branch .LBB162_108
.LBB162_115:
	s_mov_b64 s[4:5], 0
.LBB162_116:
	s_andn2_b64 vcc, exec, s[4:5]
	s_cbranch_vccnz .LBB162_148
; %bb.117:
	s_andn2_b64 vcc, exec, s[0:1]
	s_mul_i32 s2, s33, 0xc0
	s_mov_b32 s5, s42
	s_cbranch_vccnz .LBB162_139
; %bb.118:
	v_lshl_add_u32 v1, v0, 3, s2
	s_mul_i32 s0, s33, 0xc8
	v_add_u32_e32 v1, 0x1080, v1
	s_add_i32 s3, s0, 0xfffffcf0
	s_mov_b32 s4, s42
.LBB162_119:                            ; =>This Loop Header: Depth=1
                                        ;     Child Loop BB162_120 Depth 2
	s_mul_i32 s5, s4, 24
	v_add_lshl_u32 v4, s5, v0, 3
	s_sub_i32 s0, s5, 24
	s_sub_i32 s6, s5, 48
	s_addk_i32 s5, 0xffb8
	v_add_lshl_u32 v5, s0, v0, 3
	v_add_lshl_u32 v10, s6, v0, 3
	v_add_lshl_u32 v11, s5, v0, 3
	ds_read_b64 v[2:3], v4 offset:4608
	ds_read_b64 v[12:13], v5 offset:4608
	;; [unrolled: 1-line block ×4, first 2 shown]
	s_cmp_le_i32 s42, s4
	s_mov_b32 s0, s3
	v_mov_b32_e32 v14, v1
	s_mov_b32 s1, s42
	s_cbranch_scc1 .LBB162_121
.LBB162_120:                            ;   Parent Loop BB162_119 Depth=1
                                        ; =>  This Inner Loop Header: Depth=2
	v_mov_b32_e32 v15, s0
	ds_read2_b64 v[16:19], v14 offset1:24
	ds_read2_b64 v[20:23], v15 offset0:72 offset1:73
	ds_read2_b64 v[24:27], v15 offset0:48 offset1:49
	;; [unrolled: 1-line block ×3, first 2 shown]
	ds_read2_b64 v[32:35], v15 offset1:1
	s_add_i32 s1, s1, -2
	s_add_i32 s0, s0, -16
	v_add_u32_e32 v14, 0xfffffe80, v14
	s_waitcnt lgkmcnt(3)
	v_mul_f32_e32 v15, v23, v19
	v_mul_f32_e32 v36, v22, v19
	s_waitcnt lgkmcnt(2)
	v_mul_f32_e32 v37, v27, v19
	v_mul_f32_e32 v27, v27, v18
	s_waitcnt lgkmcnt(1)
	v_mul_f32_e32 v38, v31, v19
	v_mul_f32_e32 v31, v31, v18
	s_waitcnt lgkmcnt(0)
	v_mul_f32_e32 v39, v35, v19
	v_mul_f32_e32 v35, v35, v18
	v_mul_f32_e32 v40, v21, v17
	v_mul_f32_e32 v41, v20, v17
	;; [unrolled: 1-line block ×8, first 2 shown]
	v_fma_f32 v15, v22, v18, -v15
	v_fmac_f32_e32 v36, v23, v18
	v_fma_f32 v22, v26, v18, -v37
	v_fmac_f32_e32 v27, v26, v19
	;; [unrolled: 2-line block ×8, first 2 shown]
	v_sub_f32_e32 v2, v2, v15
	v_sub_f32_e32 v3, v3, v36
	;; [unrolled: 1-line block ×8, first 2 shown]
	s_cmp_le_i32 s1, s4
	v_sub_f32_e32 v2, v2, v19
	v_sub_f32_e32 v3, v3, v41
	;; [unrolled: 1-line block ×8, first 2 shown]
	s_cbranch_scc0 .LBB162_120
.LBB162_121:                            ;   in Loop: Header=BB162_119 Depth=1
	s_mul_i32 s7, s4, 0xc8
	v_add_u32_e32 v17, 0x1200, v4
	v_mov_b32_e32 v4, s7
	v_add_u32_e32 v16, 0x1200, v5
	ds_read_b64 v[4:5], v4
	v_add_u32_e32 v15, 0x1200, v10
	v_add_u32_e32 v14, 0x1200, v11
	s_waitcnt lgkmcnt(0)
	v_cmp_gt_f32_e32 vcc, 0, v5
	v_cndmask_b32_e64 v10, v5, -v5, vcc
	v_cmp_gt_f32_e32 vcc, 0, v4
	v_cndmask_b32_e64 v11, v4, -v4, vcc
	v_cmp_ngt_f32_e32 vcc, v11, v10
	s_cbranch_vccz .LBB162_123
; %bb.122:                              ;   in Loop: Header=BB162_119 Depth=1
	v_div_scale_f32 v10, s[0:1], v5, v5, v4
	v_rcp_f32_e32 v11, v10
	v_div_scale_f32 v18, vcc, v4, v5, v4
	v_fma_f32 v19, -v10, v11, 1.0
	v_fmac_f32_e32 v11, v19, v11
	v_mul_f32_e32 v19, v18, v11
	v_fma_f32 v20, -v10, v19, v18
	v_fmac_f32_e32 v19, v20, v11
	v_fma_f32 v10, -v10, v19, v18
	v_div_fmas_f32 v10, v10, v11, v19
	v_div_fixup_f32 v11, v10, v5, v4
	v_fma_f32 v10, v4, v11, v5
	v_div_scale_f32 v18, s[0:1], v10, v10, 1.0
	v_rcp_f32_e32 v19, v18
	v_fma_f32 v20, -v18, v19, 1.0
	v_fmac_f32_e32 v19, v20, v19
	v_div_scale_f32 v20, vcc, 1.0, v10, 1.0
	v_mul_f32_e32 v21, v20, v19
	v_fma_f32 v22, -v18, v21, v20
	v_fmac_f32_e32 v21, v22, v19
	v_fma_f32 v18, -v18, v21, v20
	v_div_fmas_f32 v18, v18, v19, v21
	v_div_fixup_f32 v18, v18, v10, 1.0
	v_fma_f32 v10, v2, v11, v3
	v_fma_f32 v11, v3, v11, -v2
	v_mul_f32_e32 v10, v10, v18
	v_mul_f32_e32 v11, v11, v18
	s_cbranch_execz .LBB162_124
	s_branch .LBB162_125
.LBB162_123:                            ;   in Loop: Header=BB162_119 Depth=1
                                        ; implicit-def: $vgpr11
.LBB162_124:                            ;   in Loop: Header=BB162_119 Depth=1
	v_div_scale_f32 v10, s[0:1], v4, v4, v5
	v_rcp_f32_e32 v11, v10
	v_div_scale_f32 v18, vcc, v5, v4, v5
	v_fma_f32 v19, -v10, v11, 1.0
	v_fmac_f32_e32 v11, v19, v11
	v_mul_f32_e32 v19, v18, v11
	v_fma_f32 v20, -v10, v19, v18
	v_fmac_f32_e32 v19, v20, v11
	v_fma_f32 v10, -v10, v19, v18
	v_div_fmas_f32 v10, v10, v11, v19
	v_div_fixup_f32 v11, v10, v4, v5
	v_fmac_f32_e32 v4, v5, v11
	v_div_scale_f32 v5, s[0:1], v4, v4, 1.0
	v_rcp_f32_e32 v10, v5
	v_fma_f32 v18, -v5, v10, 1.0
	v_fmac_f32_e32 v10, v18, v10
	v_div_scale_f32 v18, vcc, 1.0, v4, 1.0
	v_mul_f32_e32 v19, v18, v10
	v_fma_f32 v20, -v5, v19, v18
	v_fmac_f32_e32 v19, v20, v10
	v_fma_f32 v5, -v5, v19, v18
	v_div_fmas_f32 v5, v5, v10, v19
	v_div_fixup_f32 v4, v5, v4, 1.0
	v_fma_f32 v5, v3, v11, v2
	v_fma_f32 v2, -v2, v11, v3
	v_mul_f32_e32 v10, v5, v4
	v_mul_f32_e32 v11, v2, v4
.LBB162_125:                            ;   in Loop: Header=BB162_119 Depth=1
	s_addk_i32 s7, 0xff38
	v_mov_b32_e32 v2, s7
	ds_read2_b64 v[2:5], v2 offset1:1
	ds_write_b64 v17, v[10:11]
	s_waitcnt lgkmcnt(1)
	v_mul_f32_e32 v17, v11, v5
	v_mul_f32_e32 v5, v10, v5
	v_fma_f32 v17, v10, v4, -v17
	v_cmp_gt_f32_e32 vcc, 0, v3
	v_fmac_f32_e32 v5, v11, v4
	v_sub_f32_e32 v4, v12, v17
	v_cndmask_b32_e64 v12, v3, -v3, vcc
	v_cmp_gt_f32_e32 vcc, 0, v2
	v_sub_f32_e32 v5, v13, v5
	v_cndmask_b32_e64 v13, v2, -v2, vcc
	v_cmp_ngt_f32_e32 vcc, v13, v12
	s_cbranch_vccz .LBB162_127
; %bb.126:                              ;   in Loop: Header=BB162_119 Depth=1
	v_div_scale_f32 v12, s[0:1], v3, v3, v2
	v_rcp_f32_e32 v13, v12
	v_div_scale_f32 v17, vcc, v2, v3, v2
	v_fma_f32 v18, -v12, v13, 1.0
	v_fmac_f32_e32 v13, v18, v13
	v_mul_f32_e32 v18, v17, v13
	v_fma_f32 v19, -v12, v18, v17
	v_fmac_f32_e32 v18, v19, v13
	v_fma_f32 v12, -v12, v18, v17
	v_div_fmas_f32 v12, v12, v13, v18
	v_div_fixup_f32 v13, v12, v3, v2
	v_fma_f32 v12, v2, v13, v3
	v_div_scale_f32 v17, s[0:1], v12, v12, 1.0
	v_rcp_f32_e32 v18, v17
	v_fma_f32 v19, -v17, v18, 1.0
	v_fmac_f32_e32 v18, v19, v18
	v_div_scale_f32 v19, vcc, 1.0, v12, 1.0
	v_mul_f32_e32 v20, v19, v18
	v_fma_f32 v21, -v17, v20, v19
	v_fmac_f32_e32 v20, v21, v18
	v_fma_f32 v17, -v17, v20, v19
	v_div_fmas_f32 v17, v17, v18, v20
	v_div_fixup_f32 v17, v17, v12, 1.0
	v_fma_f32 v12, v13, v4, v5
	v_fma_f32 v13, v13, v5, -v4
	v_mul_f32_e32 v12, v12, v17
	v_mul_f32_e32 v13, v13, v17
	s_cbranch_execz .LBB162_128
	s_branch .LBB162_129
.LBB162_127:                            ;   in Loop: Header=BB162_119 Depth=1
                                        ; implicit-def: $vgpr13
.LBB162_128:                            ;   in Loop: Header=BB162_119 Depth=1
	v_div_scale_f32 v12, s[0:1], v2, v2, v3
	v_rcp_f32_e32 v13, v12
	v_div_scale_f32 v17, vcc, v3, v2, v3
	v_fma_f32 v18, -v12, v13, 1.0
	v_fmac_f32_e32 v13, v18, v13
	v_mul_f32_e32 v18, v17, v13
	v_fma_f32 v19, -v12, v18, v17
	v_fmac_f32_e32 v18, v19, v13
	v_fma_f32 v12, -v12, v18, v17
	v_div_fmas_f32 v12, v12, v13, v18
	v_div_fixup_f32 v13, v12, v2, v3
	v_fmac_f32_e32 v2, v3, v13
	v_div_scale_f32 v3, s[0:1], v2, v2, 1.0
	v_rcp_f32_e32 v12, v3
	v_fma_f32 v17, -v3, v12, 1.0
	v_fmac_f32_e32 v12, v17, v12
	v_div_scale_f32 v17, vcc, 1.0, v2, 1.0
	v_mul_f32_e32 v18, v17, v12
	v_fma_f32 v19, -v3, v18, v17
	v_fmac_f32_e32 v18, v19, v12
	v_fma_f32 v3, -v3, v18, v17
	v_div_fmas_f32 v3, v3, v12, v18
	v_div_fixup_f32 v2, v3, v2, 1.0
	v_fma_f32 v3, v13, v5, v4
	v_mul_f32_e32 v12, v3, v2
	v_fma_f32 v3, -v13, v4, v5
	v_mul_f32_e32 v13, v3, v2
.LBB162_129:                            ;   in Loop: Header=BB162_119 Depth=1
	s_add_i32 s6, s6, s4
	s_lshl_b32 s0, s6, 3
	v_mov_b32_e32 v2, s0
	ds_read_b64 v[18:19], v2
	s_add_i32 s6, s7, 0xffffff38
	v_mov_b32_e32 v2, s6
	ds_read2_b64 v[2:5], v2 offset1:1
	ds_write_b64 v16, v[12:13]
	s_waitcnt lgkmcnt(2)
	v_mul_f32_e32 v16, v11, v19
	v_fma_f32 v16, v10, v18, -v16
	v_mul_f32_e32 v17, v10, v19
	v_sub_f32_e32 v8, v8, v16
	s_waitcnt lgkmcnt(1)
	v_mul_f32_e32 v16, v13, v5
	v_fmac_f32_e32 v17, v11, v18
	v_fma_f32 v16, v12, v4, -v16
	v_mul_f32_e32 v5, v12, v5
	v_cmp_gt_f32_e32 vcc, 0, v3
	v_sub_f32_e32 v9, v9, v17
	v_fmac_f32_e32 v5, v13, v4
	v_sub_f32_e32 v4, v8, v16
	v_cndmask_b32_e64 v8, v3, -v3, vcc
	v_cmp_gt_f32_e32 vcc, 0, v2
	v_sub_f32_e32 v5, v9, v5
	v_cndmask_b32_e64 v9, v2, -v2, vcc
	v_cmp_ngt_f32_e32 vcc, v9, v8
	s_cbranch_vccz .LBB162_131
; %bb.130:                              ;   in Loop: Header=BB162_119 Depth=1
	v_div_scale_f32 v8, s[0:1], v3, v3, v2
	v_rcp_f32_e32 v9, v8
	v_div_scale_f32 v16, vcc, v2, v3, v2
	v_fma_f32 v17, -v8, v9, 1.0
	v_fmac_f32_e32 v9, v17, v9
	v_mul_f32_e32 v17, v16, v9
	v_fma_f32 v18, -v8, v17, v16
	v_fmac_f32_e32 v17, v18, v9
	v_fma_f32 v8, -v8, v17, v16
	v_div_fmas_f32 v8, v8, v9, v17
	v_div_fixup_f32 v9, v8, v3, v2
	v_fma_f32 v8, v2, v9, v3
	v_div_scale_f32 v16, s[0:1], v8, v8, 1.0
	v_rcp_f32_e32 v17, v16
	v_fma_f32 v18, -v16, v17, 1.0
	v_fmac_f32_e32 v17, v18, v17
	v_div_scale_f32 v18, vcc, 1.0, v8, 1.0
	v_mul_f32_e32 v19, v18, v17
	v_fma_f32 v20, -v16, v19, v18
	v_fmac_f32_e32 v19, v20, v17
	v_fma_f32 v16, -v16, v19, v18
	v_div_fmas_f32 v16, v16, v17, v19
	v_div_fixup_f32 v16, v16, v8, 1.0
	v_fma_f32 v8, v9, v4, v5
	v_fma_f32 v9, v9, v5, -v4
	v_mul_f32_e32 v8, v8, v16
	v_mul_f32_e32 v9, v9, v16
	s_cbranch_execz .LBB162_132
	s_branch .LBB162_133
.LBB162_131:                            ;   in Loop: Header=BB162_119 Depth=1
                                        ; implicit-def: $vgpr9
.LBB162_132:                            ;   in Loop: Header=BB162_119 Depth=1
	v_div_scale_f32 v8, s[0:1], v2, v2, v3
	v_rcp_f32_e32 v9, v8
	v_div_scale_f32 v16, vcc, v3, v2, v3
	v_fma_f32 v17, -v8, v9, 1.0
	v_fmac_f32_e32 v9, v17, v9
	v_mul_f32_e32 v17, v16, v9
	v_fma_f32 v18, -v8, v17, v16
	v_fmac_f32_e32 v17, v18, v9
	v_fma_f32 v8, -v8, v17, v16
	v_div_fmas_f32 v8, v8, v9, v17
	v_div_fixup_f32 v9, v8, v2, v3
	v_fmac_f32_e32 v2, v3, v9
	v_div_scale_f32 v3, s[0:1], v2, v2, 1.0
	v_rcp_f32_e32 v8, v3
	v_fma_f32 v16, -v3, v8, 1.0
	v_fmac_f32_e32 v8, v16, v8
	v_div_scale_f32 v16, vcc, 1.0, v2, 1.0
	v_mul_f32_e32 v17, v16, v8
	v_fma_f32 v18, -v3, v17, v16
	v_fmac_f32_e32 v17, v18, v8
	v_fma_f32 v3, -v3, v17, v16
	v_div_fmas_f32 v3, v3, v8, v17
	v_div_fixup_f32 v2, v3, v2, 1.0
	v_fma_f32 v3, v9, v5, v4
	v_mul_f32_e32 v8, v3, v2
	v_fma_f32 v3, -v9, v4, v5
	v_mul_f32_e32 v9, v3, v2
.LBB162_133:                            ;   in Loop: Header=BB162_119 Depth=1
	s_add_i32 s0, s4, s5
	s_lshl_b32 s0, s0, 3
	s_add_i32 s0, s0, -8
	v_mov_b32_e32 v2, s0
	ds_read2_b64 v[16:19], v2 offset1:1
	s_add_i32 s0, s6, 0xffffff38
	v_mov_b32_e32 v2, s0
	ds_write_b64 v15, v[8:9]
	ds_read2_b64 v[2:5], v2 offset1:1
	s_waitcnt lgkmcnt(2)
	v_mul_f32_e32 v15, v11, v19
	v_fma_f32 v15, v10, v18, -v15
	v_mul_f32_e32 v10, v10, v19
	v_fmac_f32_e32 v10, v11, v18
	v_sub_f32_e32 v7, v7, v10
	v_mul_f32_e32 v10, v13, v17
	v_sub_f32_e32 v6, v6, v15
	v_fma_f32 v10, v12, v16, -v10
	v_mul_f32_e32 v11, v12, v17
	v_fmac_f32_e32 v11, v13, v16
	v_sub_f32_e32 v6, v6, v10
	s_waitcnt lgkmcnt(0)
	v_mul_f32_e32 v10, v9, v5
	v_mul_f32_e32 v5, v8, v5
	v_cmp_gt_f32_e32 vcc, 0, v3
	v_sub_f32_e32 v7, v7, v11
	v_fma_f32 v10, v8, v4, -v10
	v_fmac_f32_e32 v5, v9, v4
	v_cndmask_b32_e64 v4, v3, -v3, vcc
	v_cmp_gt_f32_e32 vcc, 0, v2
	v_sub_f32_e32 v7, v7, v5
	v_cndmask_b32_e64 v5, v2, -v2, vcc
	v_cmp_ngt_f32_e32 vcc, v5, v4
	v_sub_f32_e32 v6, v6, v10
	s_cbranch_vccz .LBB162_135
; %bb.134:                              ;   in Loop: Header=BB162_119 Depth=1
	v_div_scale_f32 v4, s[0:1], v3, v3, v2
	v_rcp_f32_e32 v5, v4
	v_div_scale_f32 v8, vcc, v2, v3, v2
	v_fma_f32 v9, -v4, v5, 1.0
	v_fmac_f32_e32 v5, v9, v5
	v_mul_f32_e32 v9, v8, v5
	v_fma_f32 v10, -v4, v9, v8
	v_fmac_f32_e32 v9, v10, v5
	v_fma_f32 v4, -v4, v9, v8
	v_div_fmas_f32 v4, v4, v5, v9
	v_div_fixup_f32 v5, v4, v3, v2
	v_fma_f32 v4, v2, v5, v3
	v_div_scale_f32 v8, s[0:1], v4, v4, 1.0
	v_rcp_f32_e32 v9, v8
	v_fma_f32 v10, -v8, v9, 1.0
	v_fmac_f32_e32 v9, v10, v9
	v_div_scale_f32 v10, vcc, 1.0, v4, 1.0
	v_mul_f32_e32 v11, v10, v9
	v_fma_f32 v12, -v8, v11, v10
	v_fmac_f32_e32 v11, v12, v9
	v_fma_f32 v8, -v8, v11, v10
	v_div_fmas_f32 v8, v8, v9, v11
	v_div_fixup_f32 v8, v8, v4, 1.0
	v_fma_f32 v4, v5, v6, v7
	v_fma_f32 v5, v5, v7, -v6
	v_mul_f32_e32 v4, v4, v8
	v_mul_f32_e32 v5, v5, v8
	s_cbranch_execz .LBB162_136
	s_branch .LBB162_137
.LBB162_135:                            ;   in Loop: Header=BB162_119 Depth=1
                                        ; implicit-def: $vgpr5
.LBB162_136:                            ;   in Loop: Header=BB162_119 Depth=1
	v_div_scale_f32 v4, s[0:1], v2, v2, v3
	v_rcp_f32_e32 v5, v4
	v_div_scale_f32 v8, vcc, v3, v2, v3
	v_fma_f32 v9, -v4, v5, 1.0
	v_fmac_f32_e32 v5, v9, v5
	v_mul_f32_e32 v9, v8, v5
	v_fma_f32 v10, -v4, v9, v8
	v_fmac_f32_e32 v9, v10, v5
	v_fma_f32 v4, -v4, v9, v8
	v_div_fmas_f32 v4, v4, v5, v9
	v_div_fixup_f32 v5, v4, v2, v3
	v_fmac_f32_e32 v2, v3, v5
	v_div_scale_f32 v3, s[0:1], v2, v2, 1.0
	v_rcp_f32_e32 v4, v3
	v_fma_f32 v8, -v3, v4, 1.0
	v_fmac_f32_e32 v4, v8, v4
	v_div_scale_f32 v8, vcc, 1.0, v2, 1.0
	v_mul_f32_e32 v9, v8, v4
	v_fma_f32 v10, -v3, v9, v8
	v_fmac_f32_e32 v9, v10, v4
	v_fma_f32 v3, -v3, v9, v8
	v_div_fmas_f32 v3, v3, v4, v9
	v_div_fixup_f32 v2, v3, v2, 1.0
	v_fma_f32 v3, v5, v7, v6
	v_mul_f32_e32 v4, v3, v2
	v_fma_f32 v3, -v5, v6, v7
	v_mul_f32_e32 v5, v3, v2
.LBB162_137:                            ;   in Loop: Header=BB162_119 Depth=1
	s_add_i32 s5, s4, -4
	s_addk_i32 s3, 0xfd00
	s_cmp_lt_i32 s4, 7
	ds_write_b64 v14, v[4:5]
	s_cbranch_scc1 .LBB162_139
; %bb.138:                              ;   in Loop: Header=BB162_119 Depth=1
	s_mov_b32 s4, s5
	s_branch .LBB162_119
.LBB162_139:
	s_cmp_lt_i32 s5, 0
	s_cbranch_scc1 .LBB162_148
; %bb.140:
	s_mul_i32 s0, s5, 0xc0
	s_lshl_b32 s1, s33, 3
	s_add_i32 s0, s0, s1
	v_lshl_add_u32 v1, v0, 3, s2
	s_add_i32 s3, s0, -8
	v_add_u32_e32 v1, 0x1140, v1
	s_branch .LBB162_142
.LBB162_141:                            ;   in Loop: Header=BB162_142 Depth=1
	s_add_i32 s0, s5, -1
	s_addk_i32 s3, 0xff40
	s_cmp_lt_i32 s5, 1
	s_mov_b32 s5, s0
	ds_write_b64 v8, v[6:7]
	s_cbranch_scc1 .LBB162_148
.LBB162_142:                            ; =>This Loop Header: Depth=1
                                        ;     Child Loop BB162_143 Depth 2
	s_mul_i32 s0, s5, 24
	v_add_lshl_u32 v4, s0, v0, 3
	ds_read_b64 v[2:3], v4 offset:4608
	s_cmp_le_i32 s42, s5
	v_mov_b32_e32 v5, v1
	s_mov_b32 s0, s3
	s_mov_b32 s1, s42
	s_cbranch_scc1 .LBB162_144
.LBB162_143:                            ;   Parent Loop BB162_142 Depth=1
                                        ; =>  This Inner Loop Header: Depth=2
	v_mov_b32_e32 v8, s0
	ds_read_b64 v[6:7], v5
	ds_read_b64 v[8:9], v8
	s_add_i32 s1, s1, -1
	s_add_i32 s0, s0, -8
	v_add_u32_e32 v5, 0xffffff40, v5
	s_cmp_le_i32 s1, s5
	s_waitcnt lgkmcnt(0)
	v_pk_mul_f32 v[10:11], v[8:9], v[6:7] op_sel:[0,1]
	v_pk_fma_f32 v[12:13], v[8:9], v[6:7], v[10:11] op_sel:[0,0,1] op_sel_hi:[1,0,0]
	v_pk_fma_f32 v[6:7], v[8:9], v[6:7], v[10:11] op_sel:[0,0,1] op_sel_hi:[1,0,0] neg_lo:[0,0,1] neg_hi:[0,0,1]
	v_mov_b32_e32 v7, v13
	v_pk_add_f32 v[2:3], v[2:3], v[6:7] neg_lo:[0,1] neg_hi:[0,1]
	s_cbranch_scc0 .LBB162_143
.LBB162_144:                            ;   in Loop: Header=BB162_142 Depth=1
	s_mul_i32 s0, s5, 0xc8
	v_add_u32_e32 v8, 0x1200, v4
	v_mov_b32_e32 v4, s0
	ds_read_b64 v[4:5], v4
	s_waitcnt lgkmcnt(0)
	v_cmp_gt_f32_e32 vcc, 0, v5
	v_cndmask_b32_e64 v6, v5, -v5, vcc
	v_cmp_gt_f32_e32 vcc, 0, v4
	v_cndmask_b32_e64 v7, v4, -v4, vcc
	v_cmp_ngt_f32_e32 vcc, v7, v6
	s_cbranch_vccz .LBB162_146
; %bb.145:                              ;   in Loop: Header=BB162_142 Depth=1
	v_div_scale_f32 v6, s[0:1], v5, v5, v4
	v_rcp_f32_e32 v7, v6
	v_div_scale_f32 v9, vcc, v4, v5, v4
	v_fma_f32 v10, -v6, v7, 1.0
	v_fmac_f32_e32 v7, v10, v7
	v_mul_f32_e32 v10, v9, v7
	v_fma_f32 v11, -v6, v10, v9
	v_fmac_f32_e32 v10, v11, v7
	v_fma_f32 v6, -v6, v10, v9
	v_div_fmas_f32 v6, v6, v7, v10
	v_div_fixup_f32 v6, v6, v5, v4
	v_fma_f32 v7, v4, v6, v5
	v_div_scale_f32 v9, s[0:1], v7, v7, 1.0
	v_rcp_f32_e32 v10, v9
	v_fma_f32 v11, -v9, v10, 1.0
	v_fmac_f32_e32 v10, v11, v10
	v_div_scale_f32 v11, vcc, 1.0, v7, 1.0
	v_mul_f32_e32 v12, v11, v10
	v_fma_f32 v13, -v9, v12, v11
	v_fmac_f32_e32 v12, v13, v10
	v_fma_f32 v9, -v9, v12, v11
	v_div_fmas_f32 v9, v9, v10, v12
	v_div_fixup_f32 v10, v9, v7, 1.0
	v_pk_fma_f32 v[12:13], v[2:3], v[6:7], v[2:3] op_sel:[0,0,1] op_sel_hi:[1,0,0] neg_lo:[0,0,1] neg_hi:[0,0,1]
	v_pk_fma_f32 v[6:7], v[2:3], v[6:7], v[2:3] op_sel:[0,0,1] op_sel_hi:[1,0,0]
	v_mov_b32_e32 v7, v13
	v_pk_mul_f32 v[6:7], v[6:7], v[10:11] op_sel_hi:[1,0]
	s_cbranch_execnz .LBB162_141
	s_branch .LBB162_147
.LBB162_146:                            ;   in Loop: Header=BB162_142 Depth=1
                                        ; implicit-def: $vgpr6_vgpr7
.LBB162_147:                            ;   in Loop: Header=BB162_142 Depth=1
	v_div_scale_f32 v6, s[0:1], v4, v4, v5
	v_rcp_f32_e32 v7, v6
	v_div_scale_f32 v9, vcc, v5, v4, v5
	v_fma_f32 v10, -v6, v7, 1.0
	v_fmac_f32_e32 v7, v10, v7
	v_mul_f32_e32 v10, v9, v7
	v_fma_f32 v11, -v6, v10, v9
	v_fmac_f32_e32 v10, v11, v7
	v_fma_f32 v6, -v6, v10, v9
	v_div_fmas_f32 v6, v6, v7, v10
	v_div_fixup_f32 v6, v6, v4, v5
	v_fmac_f32_e32 v4, v5, v6
	v_div_scale_f32 v5, s[0:1], v4, v4, 1.0
	v_rcp_f32_e32 v7, v5
	v_fma_f32 v9, -v5, v7, 1.0
	v_fmac_f32_e32 v7, v9, v7
	v_div_scale_f32 v9, vcc, 1.0, v4, 1.0
	v_mul_f32_e32 v10, v9, v7
	v_fma_f32 v11, -v5, v10, v9
	v_fmac_f32_e32 v10, v11, v7
	v_fma_f32 v5, -v5, v10, v9
	v_div_fmas_f32 v5, v5, v7, v10
	v_pk_mul_f32 v[6:7], v[2:3], v[6:7] op_sel_hi:[1,0]
	v_pk_add_f32 v[10:11], v[2:3], v[6:7] op_sel:[0,1] op_sel_hi:[1,0] neg_lo:[0,1] neg_hi:[0,1]
	v_pk_add_f32 v[2:3], v[2:3], v[6:7] op_sel:[0,1] op_sel_hi:[1,0]
	v_div_fixup_f32 v4, v5, v4, 1.0
	v_mov_b32_e32 v3, v11
	v_pk_mul_f32 v[6:7], v[2:3], v[4:5] op_sel_hi:[1,0]
	s_branch .LBB162_141
.LBB162_148:
	s_mov_b64 s[4:5], 0
.LBB162_149:
	s_andn2_b64 vcc, exec, s[4:5]
	s_cbranch_vccnz .LBB162_188
; %bb.150:
	s_cmp_lt_i32 s16, 4
	s_mov_b32 s4, 0
	s_cbranch_scc1 .LBB162_173
; %bb.151:
	v_mov_b32_e32 v1, 0x1200
	v_lshl_or_b32 v1, v0, 3, v1
	s_mov_b32 s2, 0
	s_mov_b32 s3, 0
.LBB162_152:                            ; =>This Loop Header: Depth=1
                                        ;     Child Loop BB162_154 Depth 2
	s_mul_i32 s4, s3, 24
	v_add_lshl_u32 v4, s4, v0, 3
	s_add_i32 s6, s4, 24
	s_add_i32 s5, s4, 48
	s_addk_i32 s4, 0x48
	v_add_lshl_u32 v5, s6, v0, 3
	v_add_lshl_u32 v12, s5, v0, 3
	;; [unrolled: 1-line block ×3, first 2 shown]
	ds_read_b64 v[2:3], v4 offset:4608
	ds_read_b64 v[10:11], v5 offset:4608
	;; [unrolled: 1-line block ×4, first 2 shown]
	s_cmp_eq_u32 s3, 0
	s_cbranch_scc1 .LBB162_155
; %bb.153:                              ;   in Loop: Header=BB162_152 Depth=1
	s_mov_b32 s0, 0
	v_mov_b32_e32 v14, v1
	s_mov_b32 s1, s2
.LBB162_154:                            ;   Parent Loop BB162_152 Depth=1
                                        ; =>  This Inner Loop Header: Depth=2
	v_mov_b32_e32 v15, s1
	ds_read2_b64 v[16:19], v14 offset1:24
	ds_read_b128 v[20:23], v15
	ds_read_b128 v[24:27], v15 offset:192
	ds_read_b128 v[28:31], v15 offset:384
	ds_read_b128 v[32:35], v15 offset:576
	s_add_i32 s0, s0, 2
	s_add_i32 s1, s1, 16
	v_add_u32_e32 v14, 0x180, v14
	s_waitcnt lgkmcnt(3)
	v_mul_f32_e32 v15, v21, v17
	v_mul_f32_e32 v36, v20, v17
	s_waitcnt lgkmcnt(2)
	v_mul_f32_e32 v37, v25, v17
	v_mul_f32_e32 v25, v25, v16
	;; [unrolled: 3-line block ×4, first 2 shown]
	v_mul_f32_e32 v40, v23, v19
	v_mul_f32_e32 v41, v22, v19
	;; [unrolled: 1-line block ×8, first 2 shown]
	v_fma_f32 v15, v20, v16, -v15
	v_fmac_f32_e32 v36, v21, v16
	v_fma_f32 v20, v24, v16, -v37
	v_fmac_f32_e32 v25, v24, v17
	;; [unrolled: 2-line block ×8, first 2 shown]
	v_sub_f32_e32 v2, v2, v15
	v_sub_f32_e32 v3, v3, v36
	;; [unrolled: 1-line block ×8, first 2 shown]
	s_cmp_ge_u32 s0, s3
	v_sub_f32_e32 v2, v2, v17
	v_sub_f32_e32 v3, v3, v41
	;; [unrolled: 1-line block ×8, first 2 shown]
	s_cbranch_scc0 .LBB162_154
.LBB162_155:                            ;   in Loop: Header=BB162_152 Depth=1
	s_mul_i32 s7, s3, 0xc8
	v_add_u32_e32 v17, 0x1200, v4
	v_mov_b32_e32 v4, s7
	v_add_u32_e32 v16, 0x1200, v5
	ds_read_b64 v[4:5], v4
	v_add_u32_e32 v15, 0x1200, v12
	v_add_u32_e32 v14, 0x1200, v13
	s_waitcnt lgkmcnt(0)
	v_cmp_gt_f32_e32 vcc, 0, v5
	v_cndmask_b32_e64 v12, v5, -v5, vcc
	v_cmp_gt_f32_e32 vcc, 0, v4
	v_cndmask_b32_e64 v13, v4, -v4, vcc
	v_cmp_ngt_f32_e32 vcc, v13, v12
	s_cbranch_vccz .LBB162_157
; %bb.156:                              ;   in Loop: Header=BB162_152 Depth=1
	v_div_scale_f32 v12, s[0:1], v5, v5, v4
	v_rcp_f32_e32 v13, v12
	v_div_scale_f32 v18, vcc, v4, v5, v4
	v_fma_f32 v19, -v12, v13, 1.0
	v_fmac_f32_e32 v13, v19, v13
	v_mul_f32_e32 v19, v18, v13
	v_fma_f32 v20, -v12, v19, v18
	v_fmac_f32_e32 v19, v20, v13
	v_fma_f32 v12, -v12, v19, v18
	v_div_fmas_f32 v12, v12, v13, v19
	v_div_fixup_f32 v13, v12, v5, v4
	v_fma_f32 v12, v4, v13, v5
	v_div_scale_f32 v18, s[0:1], v12, v12, 1.0
	v_rcp_f32_e32 v19, v18
	v_fma_f32 v20, -v18, v19, 1.0
	v_fmac_f32_e32 v19, v20, v19
	v_div_scale_f32 v20, vcc, 1.0, v12, 1.0
	v_mul_f32_e32 v21, v20, v19
	v_fma_f32 v22, -v18, v21, v20
	v_fmac_f32_e32 v21, v22, v19
	v_fma_f32 v18, -v18, v21, v20
	v_div_fmas_f32 v18, v18, v19, v21
	v_div_fixup_f32 v18, v18, v12, 1.0
	v_fma_f32 v12, v2, v13, v3
	v_fma_f32 v13, v3, v13, -v2
	v_mul_f32_e32 v12, v12, v18
	v_mul_f32_e32 v13, v13, v18
	s_cbranch_execz .LBB162_158
	s_branch .LBB162_159
.LBB162_157:                            ;   in Loop: Header=BB162_152 Depth=1
                                        ; implicit-def: $vgpr13
.LBB162_158:                            ;   in Loop: Header=BB162_152 Depth=1
	v_div_scale_f32 v12, s[0:1], v4, v4, v5
	v_rcp_f32_e32 v13, v12
	v_div_scale_f32 v18, vcc, v5, v4, v5
	v_fma_f32 v19, -v12, v13, 1.0
	v_fmac_f32_e32 v13, v19, v13
	v_mul_f32_e32 v19, v18, v13
	v_fma_f32 v20, -v12, v19, v18
	v_fmac_f32_e32 v19, v20, v13
	v_fma_f32 v12, -v12, v19, v18
	v_div_fmas_f32 v12, v12, v13, v19
	v_div_fixup_f32 v13, v12, v4, v5
	v_fmac_f32_e32 v4, v5, v13
	v_div_scale_f32 v5, s[0:1], v4, v4, 1.0
	v_rcp_f32_e32 v12, v5
	v_fma_f32 v18, -v5, v12, 1.0
	v_fmac_f32_e32 v12, v18, v12
	v_div_scale_f32 v18, vcc, 1.0, v4, 1.0
	v_mul_f32_e32 v19, v18, v12
	v_fma_f32 v20, -v5, v19, v18
	v_fmac_f32_e32 v19, v20, v12
	v_fma_f32 v5, -v5, v19, v18
	v_div_fmas_f32 v5, v5, v12, v19
	v_div_fixup_f32 v4, v5, v4, 1.0
	v_fma_f32 v5, v3, v13, v2
	v_fma_f32 v2, -v2, v13, v3
	v_mul_f32_e32 v12, v5, v4
	v_mul_f32_e32 v13, v2, v4
.LBB162_159:                            ;   in Loop: Header=BB162_152 Depth=1
	s_add_i32 s6, s6, s3
	s_lshl_b32 s0, s6, 3
	v_mov_b32_e32 v2, s0
	ds_read_b128 v[2:5], v2
	ds_write_b64 v17, v[12:13]
	s_waitcnt lgkmcnt(1)
	v_mul_f32_e32 v17, v13, v3
	v_mul_f32_e32 v3, v12, v3
	v_fma_f32 v17, v12, v2, -v17
	v_cmp_gt_f32_e32 vcc, 0, v5
	v_fmac_f32_e32 v3, v13, v2
	v_sub_f32_e32 v2, v10, v17
	v_cndmask_b32_e64 v10, v5, -v5, vcc
	v_cmp_gt_f32_e32 vcc, 0, v4
	v_sub_f32_e32 v3, v11, v3
	v_cndmask_b32_e64 v11, v4, -v4, vcc
	v_cmp_ngt_f32_e32 vcc, v11, v10
	s_cbranch_vccz .LBB162_161
; %bb.160:                              ;   in Loop: Header=BB162_152 Depth=1
	v_div_scale_f32 v10, s[0:1], v5, v5, v4
	v_rcp_f32_e32 v11, v10
	v_div_scale_f32 v17, vcc, v4, v5, v4
	v_fma_f32 v18, -v10, v11, 1.0
	v_fmac_f32_e32 v11, v18, v11
	v_mul_f32_e32 v18, v17, v11
	v_fma_f32 v19, -v10, v18, v17
	v_fmac_f32_e32 v18, v19, v11
	v_fma_f32 v10, -v10, v18, v17
	v_div_fmas_f32 v10, v10, v11, v18
	v_div_fixup_f32 v11, v10, v5, v4
	v_fma_f32 v10, v4, v11, v5
	v_div_scale_f32 v17, s[0:1], v10, v10, 1.0
	v_rcp_f32_e32 v18, v17
	v_fma_f32 v19, -v17, v18, 1.0
	v_fmac_f32_e32 v18, v19, v18
	v_div_scale_f32 v19, vcc, 1.0, v10, 1.0
	v_mul_f32_e32 v20, v19, v18
	v_fma_f32 v21, -v17, v20, v19
	v_fmac_f32_e32 v20, v21, v18
	v_fma_f32 v17, -v17, v20, v19
	v_div_fmas_f32 v17, v17, v18, v20
	v_div_fixup_f32 v17, v17, v10, 1.0
	v_fma_f32 v10, v11, v2, v3
	v_fma_f32 v11, v11, v3, -v2
	v_mul_f32_e32 v10, v10, v17
	v_mul_f32_e32 v11, v11, v17
	s_cbranch_execz .LBB162_162
	s_branch .LBB162_163
.LBB162_161:                            ;   in Loop: Header=BB162_152 Depth=1
                                        ; implicit-def: $vgpr11
.LBB162_162:                            ;   in Loop: Header=BB162_152 Depth=1
	v_div_scale_f32 v10, s[0:1], v4, v4, v5
	v_rcp_f32_e32 v11, v10
	v_div_scale_f32 v17, vcc, v5, v4, v5
	v_fma_f32 v18, -v10, v11, 1.0
	v_fmac_f32_e32 v11, v18, v11
	v_mul_f32_e32 v18, v17, v11
	v_fma_f32 v19, -v10, v18, v17
	v_fmac_f32_e32 v18, v19, v11
	v_fma_f32 v10, -v10, v18, v17
	v_div_fmas_f32 v10, v10, v11, v18
	v_div_fixup_f32 v11, v10, v4, v5
	v_fmac_f32_e32 v4, v5, v11
	v_div_scale_f32 v5, s[0:1], v4, v4, 1.0
	v_rcp_f32_e32 v10, v5
	v_fma_f32 v17, -v5, v10, 1.0
	v_fmac_f32_e32 v10, v17, v10
	v_div_scale_f32 v17, vcc, 1.0, v4, 1.0
	v_mul_f32_e32 v18, v17, v10
	v_fma_f32 v19, -v5, v18, v17
	v_fmac_f32_e32 v18, v19, v10
	v_fma_f32 v5, -v5, v18, v17
	v_div_fmas_f32 v5, v5, v10, v18
	v_div_fixup_f32 v4, v5, v4, 1.0
	v_fma_f32 v5, v11, v3, v2
	v_fma_f32 v2, -v11, v2, v3
	v_mul_f32_e32 v10, v5, v4
	v_mul_f32_e32 v11, v2, v4
.LBB162_163:                            ;   in Loop: Header=BB162_152 Depth=1
	s_add_i32 s5, s5, s3
	s_lshl_b32 s0, s5, 3
	v_mov_b32_e32 v2, s0
	ds_read_b128 v[18:21], v2
	v_mov_b32_e32 v2, s7
	ds_read_b64 v[2:3], v2 offset:400
	ds_write_b64 v16, v[10:11]
	s_waitcnt lgkmcnt(2)
	v_mul_f32_e32 v4, v13, v19
	v_mul_f32_e32 v5, v12, v19
	v_fma_f32 v4, v12, v18, -v4
	v_fmac_f32_e32 v5, v13, v18
	v_sub_f32_e32 v4, v8, v4
	v_mul_f32_e32 v8, v11, v21
	v_sub_f32_e32 v5, v9, v5
	v_fma_f32 v8, v10, v20, -v8
	v_mul_f32_e32 v9, v10, v21
	s_waitcnt lgkmcnt(1)
	v_cmp_gt_f32_e32 vcc, 0, v3
	v_fmac_f32_e32 v9, v11, v20
	v_sub_f32_e32 v4, v4, v8
	v_cndmask_b32_e64 v8, v3, -v3, vcc
	v_cmp_gt_f32_e32 vcc, 0, v2
	v_sub_f32_e32 v5, v5, v9
	v_cndmask_b32_e64 v9, v2, -v2, vcc
	v_cmp_ngt_f32_e32 vcc, v9, v8
	s_cbranch_vccz .LBB162_165
; %bb.164:                              ;   in Loop: Header=BB162_152 Depth=1
	v_div_scale_f32 v8, s[0:1], v3, v3, v2
	v_rcp_f32_e32 v9, v8
	v_div_scale_f32 v16, vcc, v2, v3, v2
	v_fma_f32 v17, -v8, v9, 1.0
	v_fmac_f32_e32 v9, v17, v9
	v_mul_f32_e32 v17, v16, v9
	v_fma_f32 v18, -v8, v17, v16
	v_fmac_f32_e32 v17, v18, v9
	v_fma_f32 v8, -v8, v17, v16
	v_div_fmas_f32 v8, v8, v9, v17
	v_div_fixup_f32 v9, v8, v3, v2
	v_fma_f32 v8, v2, v9, v3
	v_div_scale_f32 v16, s[0:1], v8, v8, 1.0
	v_rcp_f32_e32 v17, v16
	v_fma_f32 v18, -v16, v17, 1.0
	v_fmac_f32_e32 v17, v18, v17
	v_div_scale_f32 v18, vcc, 1.0, v8, 1.0
	v_mul_f32_e32 v19, v18, v17
	v_fma_f32 v20, -v16, v19, v18
	v_fmac_f32_e32 v19, v20, v17
	v_fma_f32 v16, -v16, v19, v18
	v_div_fmas_f32 v16, v16, v17, v19
	v_div_fixup_f32 v16, v16, v8, 1.0
	v_fma_f32 v8, v9, v4, v5
	v_fma_f32 v9, v9, v5, -v4
	v_mul_f32_e32 v8, v8, v16
	v_mul_f32_e32 v9, v9, v16
	s_cbranch_execz .LBB162_166
	s_branch .LBB162_167
.LBB162_165:                            ;   in Loop: Header=BB162_152 Depth=1
                                        ; implicit-def: $vgpr9
.LBB162_166:                            ;   in Loop: Header=BB162_152 Depth=1
	v_div_scale_f32 v8, s[0:1], v2, v2, v3
	v_rcp_f32_e32 v9, v8
	v_div_scale_f32 v16, vcc, v3, v2, v3
	v_fma_f32 v17, -v8, v9, 1.0
	v_fmac_f32_e32 v9, v17, v9
	v_mul_f32_e32 v17, v16, v9
	v_fma_f32 v18, -v8, v17, v16
	v_fmac_f32_e32 v17, v18, v9
	v_fma_f32 v8, -v8, v17, v16
	v_div_fmas_f32 v8, v8, v9, v17
	v_div_fixup_f32 v9, v8, v2, v3
	v_fmac_f32_e32 v2, v3, v9
	v_div_scale_f32 v3, s[0:1], v2, v2, 1.0
	v_rcp_f32_e32 v8, v3
	v_fma_f32 v16, -v3, v8, 1.0
	v_fmac_f32_e32 v8, v16, v8
	v_div_scale_f32 v16, vcc, 1.0, v2, 1.0
	v_mul_f32_e32 v17, v16, v8
	v_fma_f32 v18, -v3, v17, v16
	v_fmac_f32_e32 v17, v18, v8
	v_fma_f32 v3, -v3, v17, v16
	v_div_fmas_f32 v3, v3, v8, v17
	v_div_fixup_f32 v2, v3, v2, 1.0
	v_fma_f32 v3, v9, v5, v4
	v_mul_f32_e32 v8, v3, v2
	v_fma_f32 v3, -v9, v4, v5
	v_mul_f32_e32 v9, v3, v2
.LBB162_167:                            ;   in Loop: Header=BB162_152 Depth=1
	s_add_i32 s4, s4, s3
	s_lshl_b32 s0, s4, 3
	v_mov_b32_e32 v2, s0
	ds_read_b128 v[16:19], v2
	ds_write_b64 v15, v[8:9]
	ds_read_b128 v[2:5], v2 offset:16
	s_waitcnt lgkmcnt(2)
	v_mul_f32_e32 v15, v13, v17
	v_mul_f32_e32 v17, v12, v17
	v_fma_f32 v12, v12, v16, -v15
	v_sub_f32_e32 v6, v6, v12
	v_mul_f32_e32 v12, v11, v19
	v_fmac_f32_e32 v17, v13, v16
	v_fma_f32 v12, v10, v18, -v12
	v_mul_f32_e32 v10, v10, v19
	v_sub_f32_e32 v7, v7, v17
	v_fmac_f32_e32 v10, v11, v18
	v_sub_f32_e32 v7, v7, v10
	s_waitcnt lgkmcnt(0)
	v_mul_f32_e32 v10, v9, v3
	v_mul_f32_e32 v3, v8, v3
	v_cmp_gt_f32_e32 vcc, 0, v5
	v_fma_f32 v10, v8, v2, -v10
	v_fmac_f32_e32 v3, v9, v2
	v_cndmask_b32_e64 v2, v5, -v5, vcc
	v_cmp_gt_f32_e32 vcc, 0, v4
	v_sub_f32_e32 v7, v7, v3
	v_cndmask_b32_e64 v3, v4, -v4, vcc
	v_sub_f32_e32 v6, v6, v12
	v_cmp_ngt_f32_e32 vcc, v3, v2
	v_sub_f32_e32 v6, v6, v10
	s_cbranch_vccz .LBB162_169
; %bb.168:                              ;   in Loop: Header=BB162_152 Depth=1
	v_div_scale_f32 v2, s[0:1], v5, v5, v4
	v_rcp_f32_e32 v3, v2
	v_div_scale_f32 v8, vcc, v4, v5, v4
	v_fma_f32 v9, -v2, v3, 1.0
	v_fmac_f32_e32 v3, v9, v3
	v_mul_f32_e32 v9, v8, v3
	v_fma_f32 v10, -v2, v9, v8
	v_fmac_f32_e32 v9, v10, v3
	v_fma_f32 v2, -v2, v9, v8
	v_div_fmas_f32 v2, v2, v3, v9
	v_div_fixup_f32 v3, v2, v5, v4
	v_fma_f32 v2, v4, v3, v5
	v_div_scale_f32 v8, s[0:1], v2, v2, 1.0
	v_rcp_f32_e32 v9, v8
	v_fma_f32 v10, -v8, v9, 1.0
	v_fmac_f32_e32 v9, v10, v9
	v_div_scale_f32 v10, vcc, 1.0, v2, 1.0
	v_mul_f32_e32 v11, v10, v9
	v_fma_f32 v12, -v8, v11, v10
	v_fmac_f32_e32 v11, v12, v9
	v_fma_f32 v8, -v8, v11, v10
	v_div_fmas_f32 v8, v8, v9, v11
	v_div_fixup_f32 v8, v8, v2, 1.0
	v_fma_f32 v2, v3, v6, v7
	v_fma_f32 v3, v3, v7, -v6
	v_mul_f32_e32 v2, v2, v8
	v_mul_f32_e32 v3, v3, v8
	s_cbranch_execz .LBB162_170
	s_branch .LBB162_171
.LBB162_169:                            ;   in Loop: Header=BB162_152 Depth=1
                                        ; implicit-def: $vgpr3
.LBB162_170:                            ;   in Loop: Header=BB162_152 Depth=1
	v_div_scale_f32 v2, s[0:1], v4, v4, v5
	v_rcp_f32_e32 v3, v2
	v_div_scale_f32 v8, vcc, v5, v4, v5
	v_fma_f32 v9, -v2, v3, 1.0
	v_fmac_f32_e32 v3, v9, v3
	v_mul_f32_e32 v9, v8, v3
	v_fma_f32 v10, -v2, v9, v8
	v_fmac_f32_e32 v9, v10, v3
	v_fma_f32 v2, -v2, v9, v8
	v_div_fmas_f32 v2, v2, v3, v9
	v_div_fixup_f32 v3, v2, v4, v5
	v_fmac_f32_e32 v4, v5, v3
	v_div_scale_f32 v2, s[0:1], v4, v4, 1.0
	v_rcp_f32_e32 v5, v2
	v_fma_f32 v8, -v2, v5, 1.0
	v_fmac_f32_e32 v5, v8, v5
	v_div_scale_f32 v8, vcc, 1.0, v4, 1.0
	v_mul_f32_e32 v9, v8, v5
	v_fma_f32 v10, -v2, v9, v8
	v_fmac_f32_e32 v9, v10, v5
	v_fma_f32 v2, -v2, v9, v8
	v_div_fmas_f32 v2, v2, v5, v9
	v_div_fixup_f32 v4, v2, v4, 1.0
	v_fma_f32 v2, v3, v7, v6
	v_fma_f32 v3, -v3, v6, v7
	v_mul_f32_e32 v2, v2, v4
	v_mul_f32_e32 v3, v3, v4
.LBB162_171:                            ;   in Loop: Header=BB162_152 Depth=1
	s_add_i32 s4, s3, 4
	s_add_i32 s0, s3, 7
	s_addk_i32 s2, 0x300
	s_cmp_ge_i32 s0, s33
	ds_write_b64 v14, v[2:3]
	s_cbranch_scc1 .LBB162_173
; %bb.172:                              ;   in Loop: Header=BB162_152 Depth=1
	s_mov_b32 s3, s4
	s_branch .LBB162_152
.LBB162_173:
	s_cmp_ge_i32 s4, s33
	s_cbranch_scc1 .LBB162_188
; %bb.174:
	v_mov_b32_e32 v1, 0x1200
	s_add_i32 s2, s4, -1
	s_mul_i32 s3, s4, 0xc0
	v_lshl_or_b32 v1, v0, 3, v1
	s_mov_b32 s5, 0
	s_mov_b32 s6, s4
	s_branch .LBB162_176
.LBB162_175:                            ;   in Loop: Header=BB162_176 Depth=1
	s_add_i32 s4, s4, 1
	s_add_i32 s5, s5, 1
	s_addk_i32 s3, 0xc0
	v_add_u16_e64 v2, s6, 1
	s_cmp_ge_i32 s4, s33
	v_readfirstlane_b32 s6, v2
	ds_write_b64 v8, v[6:7]
	s_cbranch_scc1 .LBB162_188
.LBB162_176:                            ; =>This Loop Header: Depth=1
                                        ;     Child Loop BB162_179 Depth 2
                                        ;     Child Loop BB162_183 Depth 2
	s_mul_i32 s0, s4, 24
	v_add_lshl_u32 v4, s0, v0, 3
	ds_read_b64 v[2:3], v4 offset:4608
	s_cmp_eq_u32 s4, 0
	s_cbranch_scc1 .LBB162_184
; %bb.177:                              ;   in Loop: Header=BB162_176 Depth=1
	s_add_i32 s0, s2, s5
	s_cmp_lt_u32 s0, 7
	s_cbranch_scc1 .LBB162_181
; %bb.178:                              ;   in Loop: Header=BB162_176 Depth=1
	s_and_b32 s0, s4, -8
	s_mov_b32 s1, 0
	v_mov_b32_e32 v5, v1
	s_mov_b32 s7, s3
.LBB162_179:                            ;   Parent Loop BB162_176 Depth=1
                                        ; =>  This Inner Loop Header: Depth=2
	ds_read2_b64 v[6:9], v5 offset1:24
	v_mov_b32_e32 v34, s7
	ds_read2_b64 v[10:13], v5 offset0:48 offset1:72
	ds_read2_b64 v[14:17], v5 offset0:96 offset1:120
	;; [unrolled: 1-line block ×3, first 2 shown]
	ds_read_b128 v[22:25], v34
	ds_read_b128 v[26:29], v34 offset:16
	ds_read_b128 v[30:33], v34 offset:32
	ds_read_b128 v[34:37], v34 offset:48
	s_add_i32 s1, s1, 8
	s_waitcnt lgkmcnt(3)
	v_pk_mul_f32 v[38:39], v[22:23], v[6:7] op_sel:[0,1]
	v_pk_mul_f32 v[40:41], v[24:25], v[8:9] op_sel:[0,1]
	v_pk_fma_f32 v[54:55], v[22:23], v[6:7], v[38:39] op_sel:[0,0,1] op_sel_hi:[1,0,0]
	v_pk_fma_f32 v[6:7], v[22:23], v[6:7], v[38:39] op_sel:[0,0,1] op_sel_hi:[1,0,0] neg_lo:[0,0,1] neg_hi:[0,0,1]
	s_waitcnt lgkmcnt(2)
	v_pk_mul_f32 v[42:43], v[26:27], v[10:11] op_sel:[0,1]
	v_pk_fma_f32 v[22:23], v[24:25], v[8:9], v[40:41] op_sel:[0,0,1] op_sel_hi:[1,0,0]
	v_pk_fma_f32 v[8:9], v[24:25], v[8:9], v[40:41] op_sel:[0,0,1] op_sel_hi:[1,0,0] neg_lo:[0,0,1] neg_hi:[0,0,1]
	v_mov_b32_e32 v7, v55
	v_pk_mul_f32 v[44:45], v[28:29], v[12:13] op_sel:[0,1]
	v_pk_fma_f32 v[24:25], v[26:27], v[10:11], v[42:43] op_sel:[0,0,1] op_sel_hi:[1,0,0]
	v_pk_fma_f32 v[10:11], v[26:27], v[10:11], v[42:43] op_sel:[0,0,1] op_sel_hi:[1,0,0] neg_lo:[0,0,1] neg_hi:[0,0,1]
	v_mov_b32_e32 v9, v23
	v_pk_add_f32 v[2:3], v[2:3], v[6:7] neg_lo:[0,1] neg_hi:[0,1]
	s_waitcnt lgkmcnt(1)
	v_pk_mul_f32 v[46:47], v[30:31], v[14:15] op_sel:[0,1]
	v_pk_fma_f32 v[26:27], v[28:29], v[12:13], v[44:45] op_sel:[0,0,1] op_sel_hi:[1,0,0]
	v_pk_fma_f32 v[12:13], v[28:29], v[12:13], v[44:45] op_sel:[0,0,1] op_sel_hi:[1,0,0] neg_lo:[0,0,1] neg_hi:[0,0,1]
	v_mov_b32_e32 v11, v25
	v_pk_add_f32 v[2:3], v[2:3], v[8:9] neg_lo:[0,1] neg_hi:[0,1]
	v_pk_mul_f32 v[48:49], v[32:33], v[16:17] op_sel:[0,1]
	v_pk_fma_f32 v[28:29], v[30:31], v[14:15], v[46:47] op_sel:[0,0,1] op_sel_hi:[1,0,0]
	v_pk_fma_f32 v[14:15], v[30:31], v[14:15], v[46:47] op_sel:[0,0,1] op_sel_hi:[1,0,0] neg_lo:[0,0,1] neg_hi:[0,0,1]
	v_mov_b32_e32 v13, v27
	v_pk_add_f32 v[2:3], v[2:3], v[10:11] neg_lo:[0,1] neg_hi:[0,1]
	s_waitcnt lgkmcnt(0)
	v_pk_mul_f32 v[50:51], v[34:35], v[18:19] op_sel:[0,1]
	v_pk_fma_f32 v[30:31], v[32:33], v[16:17], v[48:49] op_sel:[0,0,1] op_sel_hi:[1,0,0]
	v_pk_fma_f32 v[16:17], v[32:33], v[16:17], v[48:49] op_sel:[0,0,1] op_sel_hi:[1,0,0] neg_lo:[0,0,1] neg_hi:[0,0,1]
	v_mov_b32_e32 v15, v29
	v_pk_add_f32 v[2:3], v[2:3], v[12:13] neg_lo:[0,1] neg_hi:[0,1]
	v_pk_mul_f32 v[52:53], v[36:37], v[20:21] op_sel:[0,1]
	v_pk_fma_f32 v[32:33], v[34:35], v[18:19], v[50:51] op_sel:[0,0,1] op_sel_hi:[1,0,0]
	v_pk_fma_f32 v[18:19], v[34:35], v[18:19], v[50:51] op_sel:[0,0,1] op_sel_hi:[1,0,0] neg_lo:[0,0,1] neg_hi:[0,0,1]
	v_mov_b32_e32 v17, v31
	v_pk_add_f32 v[2:3], v[2:3], v[14:15] neg_lo:[0,1] neg_hi:[0,1]
	v_pk_fma_f32 v[34:35], v[36:37], v[20:21], v[52:53] op_sel:[0,0,1] op_sel_hi:[1,0,0]
	v_pk_fma_f32 v[20:21], v[36:37], v[20:21], v[52:53] op_sel:[0,0,1] op_sel_hi:[1,0,0] neg_lo:[0,0,1] neg_hi:[0,0,1]
	v_mov_b32_e32 v19, v33
	v_pk_add_f32 v[2:3], v[2:3], v[16:17] neg_lo:[0,1] neg_hi:[0,1]
	s_add_i32 s7, s7, 64
	v_mov_b32_e32 v21, v35
	v_pk_add_f32 v[2:3], v[2:3], v[18:19] neg_lo:[0,1] neg_hi:[0,1]
	v_add_u32_e32 v5, 0x600, v5
	s_cmp_eq_u32 s0, s1
	v_pk_add_f32 v[2:3], v[2:3], v[20:21] neg_lo:[0,1] neg_hi:[0,1]
	s_cbranch_scc0 .LBB162_179
; %bb.180:                              ;   in Loop: Header=BB162_176 Depth=1
	s_and_b32 s1, s4, 7
	s_cmp_eq_u32 s1, 0
	s_cbranch_scc0 .LBB162_182
	s_branch .LBB162_184
.LBB162_181:                            ;   in Loop: Header=BB162_176 Depth=1
	s_mov_b32 s0, 0
	s_and_b32 s1, s4, 7
	s_cmp_eq_u32 s1, 0
	s_cbranch_scc1 .LBB162_184
.LBB162_182:                            ;   in Loop: Header=BB162_176 Depth=1
	s_lshl_b32 s7, s0, 3
	s_mulk_i32 s0, 0xc0
	s_and_b32 s1, s6, 7
	v_add_u32_e32 v5, s0, v1
.LBB162_183:                            ;   Parent Loop BB162_176 Depth=1
                                        ; =>  This Inner Loop Header: Depth=2
	s_add_i32 s0, s3, s7
	v_mov_b32_e32 v8, s0
	ds_read_b64 v[6:7], v5
	ds_read_b64 v[8:9], v8
	s_add_i32 s7, s7, 8
	s_add_i32 s1, s1, -1
	v_add_u32_e32 v5, 0xc0, v5
	s_cmp_lg_u32 s1, 0
	s_waitcnt lgkmcnt(0)
	v_pk_mul_f32 v[10:11], v[8:9], v[6:7] op_sel:[0,1]
	v_pk_fma_f32 v[12:13], v[8:9], v[6:7], v[10:11] op_sel:[0,0,1] op_sel_hi:[1,0,0]
	v_pk_fma_f32 v[6:7], v[8:9], v[6:7], v[10:11] op_sel:[0,0,1] op_sel_hi:[1,0,0] neg_lo:[0,0,1] neg_hi:[0,0,1]
	v_mov_b32_e32 v7, v13
	v_pk_add_f32 v[2:3], v[2:3], v[6:7] neg_lo:[0,1] neg_hi:[0,1]
	s_cbranch_scc1 .LBB162_183
.LBB162_184:                            ;   in Loop: Header=BB162_176 Depth=1
	s_mul_i32 s0, s4, 0xc8
	v_add_u32_e32 v8, 0x1200, v4
	v_mov_b32_e32 v4, s0
	ds_read_b64 v[4:5], v4
	s_waitcnt lgkmcnt(0)
	v_cmp_gt_f32_e32 vcc, 0, v5
	v_cndmask_b32_e64 v6, v5, -v5, vcc
	v_cmp_gt_f32_e32 vcc, 0, v4
	v_cndmask_b32_e64 v7, v4, -v4, vcc
	v_cmp_ngt_f32_e32 vcc, v7, v6
	s_cbranch_vccz .LBB162_186
; %bb.185:                              ;   in Loop: Header=BB162_176 Depth=1
	v_div_scale_f32 v6, s[0:1], v5, v5, v4
	v_rcp_f32_e32 v7, v6
	v_div_scale_f32 v9, vcc, v4, v5, v4
	v_fma_f32 v10, -v6, v7, 1.0
	v_fmac_f32_e32 v7, v10, v7
	v_mul_f32_e32 v10, v9, v7
	v_fma_f32 v11, -v6, v10, v9
	v_fmac_f32_e32 v10, v11, v7
	v_fma_f32 v6, -v6, v10, v9
	v_div_fmas_f32 v6, v6, v7, v10
	v_div_fixup_f32 v6, v6, v5, v4
	v_fma_f32 v7, v4, v6, v5
	v_div_scale_f32 v9, s[0:1], v7, v7, 1.0
	v_rcp_f32_e32 v10, v9
	v_fma_f32 v11, -v9, v10, 1.0
	v_fmac_f32_e32 v10, v11, v10
	v_div_scale_f32 v11, vcc, 1.0, v7, 1.0
	v_mul_f32_e32 v12, v11, v10
	v_fma_f32 v13, -v9, v12, v11
	v_fmac_f32_e32 v12, v13, v10
	v_fma_f32 v9, -v9, v12, v11
	v_div_fmas_f32 v9, v9, v10, v12
	v_div_fixup_f32 v10, v9, v7, 1.0
	v_pk_fma_f32 v[12:13], v[2:3], v[6:7], v[2:3] op_sel:[0,0,1] op_sel_hi:[1,0,0] neg_lo:[0,0,1] neg_hi:[0,0,1]
	v_pk_fma_f32 v[6:7], v[2:3], v[6:7], v[2:3] op_sel:[0,0,1] op_sel_hi:[1,0,0]
	v_mov_b32_e32 v7, v13
	v_pk_mul_f32 v[6:7], v[6:7], v[10:11] op_sel_hi:[1,0]
	s_cbranch_execnz .LBB162_175
	s_branch .LBB162_187
.LBB162_186:                            ;   in Loop: Header=BB162_176 Depth=1
                                        ; implicit-def: $vgpr6_vgpr7
.LBB162_187:                            ;   in Loop: Header=BB162_176 Depth=1
	v_div_scale_f32 v6, s[0:1], v4, v4, v5
	v_rcp_f32_e32 v7, v6
	v_div_scale_f32 v9, vcc, v5, v4, v5
	v_fma_f32 v10, -v6, v7, 1.0
	v_fmac_f32_e32 v7, v10, v7
	v_mul_f32_e32 v10, v9, v7
	v_fma_f32 v11, -v6, v10, v9
	v_fmac_f32_e32 v10, v11, v7
	v_fma_f32 v6, -v6, v10, v9
	v_div_fmas_f32 v6, v6, v7, v10
	v_div_fixup_f32 v6, v6, v4, v5
	v_fmac_f32_e32 v4, v5, v6
	v_div_scale_f32 v5, s[0:1], v4, v4, 1.0
	v_rcp_f32_e32 v7, v5
	v_fma_f32 v9, -v5, v7, 1.0
	v_fmac_f32_e32 v7, v9, v7
	v_div_scale_f32 v9, vcc, 1.0, v4, 1.0
	v_mul_f32_e32 v10, v9, v7
	v_fma_f32 v11, -v5, v10, v9
	v_fmac_f32_e32 v10, v11, v7
	v_fma_f32 v5, -v5, v10, v9
	v_div_fmas_f32 v5, v5, v7, v10
	v_pk_mul_f32 v[6:7], v[2:3], v[6:7] op_sel_hi:[1,0]
	v_pk_add_f32 v[10:11], v[2:3], v[6:7] op_sel:[0,1] op_sel_hi:[1,0] neg_lo:[0,1] neg_hi:[0,1]
	v_pk_add_f32 v[2:3], v[2:3], v[6:7] op_sel:[0,1] op_sel_hi:[1,0]
	v_div_fixup_f32 v4, v5, v4, 1.0
	v_mov_b32_e32 v3, v11
	v_pk_mul_f32 v[6:7], v[2:3], v[4:5] op_sel_hi:[1,0]
	s_branch .LBB162_175
.LBB162_188:
	s_and_saveexec_b64 s[0:1], s[26:27]
	s_cbranch_execz .LBB162_195
; %bb.189:
	s_ashr_i32 s15, s14, 31
	s_mov_b32 s6, 0
	s_cmp_lt_u32 s16, 4
	v_lshlrev_b32_e32 v1, 3, v0
	s_cbranch_scc1 .LBB162_192
; %bb.190:
	v_mov_b32_e32 v3, s41
	v_add_co_u32_e32 v2, vcc, s40, v1
	s_mul_hi_i32 s9, s14, 24
	s_lshl_b64 s[0:1], s[14:15], 5
	s_lshl_b64 s[2:3], s[14:15], 4
	;; [unrolled: 1-line block ×3, first 2 shown]
	v_mov_b32_e32 v4, 0x1200
	v_addc_co_u32_e32 v3, vcc, 0, v3, vcc
	s_and_b32 s6, s16, 0x7ffffffc
	s_mul_i32 s7, s14, 24
	v_lshl_or_b32 v4, v0, 3, v4
	s_mov_b32 s8, 0
	v_mov_b32_e32 v5, s5
	v_mov_b32_e32 v6, s3
	;; [unrolled: 1-line block ×4, first 2 shown]
.LBB162_191:                            ; =>This Inner Loop Header: Depth=1
	v_add_co_u32_e32 v18, vcc, s4, v2
	ds_read2_b64 v[10:13], v4 offset1:24
	v_addc_co_u32_e32 v19, vcc, v3, v5, vcc
	v_add_co_u32_e32 v20, vcc, s2, v2
	v_addc_co_u32_e32 v21, vcc, v3, v6, vcc
	ds_read2_b64 v[14:17], v4 offset0:48 offset1:72
	v_add_co_u32_e32 v22, vcc, s7, v2
	v_addc_co_u32_e32 v23, vcc, v3, v7, vcc
	s_add_i32 s8, s8, 4
	s_waitcnt lgkmcnt(1)
	global_store_dwordx2 v[2:3], v[10:11], off
	global_store_dwordx2 v[18:19], v[12:13], off
	s_waitcnt lgkmcnt(0)
	global_store_dwordx2 v[20:21], v[14:15], off
	global_store_dwordx2 v[22:23], v[16:17], off
	v_add_co_u32_e32 v2, vcc, s0, v2
	v_add_u32_e32 v4, 0x300, v4
	s_cmp_lg_u32 s6, s8
	v_addc_co_u32_e32 v3, vcc, v3, v8, vcc
	s_cbranch_scc1 .LBB162_191
.LBB162_192:
	s_and_b32 s2, s16, 3
	s_cmp_eq_u32 s2, 0
	s_cbranch_scc1 .LBB162_195
; %bb.193:
	s_mul_hi_i32 s1, s14, s6
	s_mul_i32 s0, s14, s6
	s_lshl_b64 s[0:1], s[0:1], 3
	s_add_u32 s0, s24, s0
	s_addc_u32 s1, s25, s1
	s_add_u32 s0, s0, s39
	s_addc_u32 s1, s1, s38
	;; [unrolled: 2-line block ×4, first 2 shown]
	s_mul_i32 s3, s6, 0xc0
	v_mov_b32_e32 v3, s1
	v_add_co_u32_e32 v2, vcc, s0, v1
	s_lshl_b64 s[0:1], s[14:15], 3
	v_lshl_add_u32 v0, v0, 3, s3
	v_addc_co_u32_e32 v3, vcc, 0, v3, vcc
	v_add_u32_e32 v0, 0x1200, v0
	v_mov_b32_e32 v1, s1
.LBB162_194:                            ; =>This Inner Loop Header: Depth=1
	ds_read_b64 v[4:5], v0
	s_add_i32 s2, s2, -1
	v_add_u32_e32 v0, 0xc0, v0
	s_cmp_lg_u32 s2, 0
	s_waitcnt lgkmcnt(0)
	global_store_dwordx2 v[2:3], v[4:5], off
	v_add_co_u32_e32 v2, vcc, s0, v2
	v_addc_co_u32_e32 v3, vcc, v3, v1, vcc
	s_cbranch_scc1 .LBB162_194
.LBB162_195:
	s_endpgm
	.section	.rodata,"a",@progbits
	.p2align	6, 0x0
	.amdhsa_kernel _ZL31rocblas_trsm_small_right_deviceI19rocblas_complex_numIfES1_PKS1_PS1_Li24EEv13rocblas_fill_18rocblas_operation_17rocblas_diagonal_iiT0_T1_lilT2_lili
		.amdhsa_group_segment_fixed_size 9216
		.amdhsa_private_segment_fixed_size 0
		.amdhsa_kernarg_size 360
		.amdhsa_user_sgpr_count 6
		.amdhsa_user_sgpr_private_segment_buffer 1
		.amdhsa_user_sgpr_dispatch_ptr 0
		.amdhsa_user_sgpr_queue_ptr 0
		.amdhsa_user_sgpr_kernarg_segment_ptr 1
		.amdhsa_user_sgpr_dispatch_id 0
		.amdhsa_user_sgpr_flat_scratch_init 0
		.amdhsa_user_sgpr_kernarg_preload_length 0
		.amdhsa_user_sgpr_kernarg_preload_offset 0
		.amdhsa_user_sgpr_private_segment_size 0
		.amdhsa_uses_dynamic_stack 0
		.amdhsa_system_sgpr_private_segment_wavefront_offset 0
		.amdhsa_system_sgpr_workgroup_id_x 1
		.amdhsa_system_sgpr_workgroup_id_y 0
		.amdhsa_system_sgpr_workgroup_id_z 1
		.amdhsa_system_sgpr_workgroup_info 0
		.amdhsa_system_vgpr_workitem_id 0
		.amdhsa_next_free_vgpr 56
		.amdhsa_next_free_sgpr 48
		.amdhsa_accum_offset 56
		.amdhsa_reserve_vcc 1
		.amdhsa_reserve_flat_scratch 0
		.amdhsa_float_round_mode_32 0
		.amdhsa_float_round_mode_16_64 0
		.amdhsa_float_denorm_mode_32 3
		.amdhsa_float_denorm_mode_16_64 3
		.amdhsa_dx10_clamp 1
		.amdhsa_ieee_mode 1
		.amdhsa_fp16_overflow 0
		.amdhsa_tg_split 0
		.amdhsa_exception_fp_ieee_invalid_op 0
		.amdhsa_exception_fp_denorm_src 0
		.amdhsa_exception_fp_ieee_div_zero 0
		.amdhsa_exception_fp_ieee_overflow 0
		.amdhsa_exception_fp_ieee_underflow 0
		.amdhsa_exception_fp_ieee_inexact 0
		.amdhsa_exception_int_div_zero 0
	.end_amdhsa_kernel
	.section	.text._ZL31rocblas_trsm_small_right_deviceI19rocblas_complex_numIfES1_PKS1_PS1_Li24EEv13rocblas_fill_18rocblas_operation_17rocblas_diagonal_iiT0_T1_lilT2_lili,"axG",@progbits,_ZL31rocblas_trsm_small_right_deviceI19rocblas_complex_numIfES1_PKS1_PS1_Li24EEv13rocblas_fill_18rocblas_operation_17rocblas_diagonal_iiT0_T1_lilT2_lili,comdat
.Lfunc_end162:
	.size	_ZL31rocblas_trsm_small_right_deviceI19rocblas_complex_numIfES1_PKS1_PS1_Li24EEv13rocblas_fill_18rocblas_operation_17rocblas_diagonal_iiT0_T1_lilT2_lili, .Lfunc_end162-_ZL31rocblas_trsm_small_right_deviceI19rocblas_complex_numIfES1_PKS1_PS1_Li24EEv13rocblas_fill_18rocblas_operation_17rocblas_diagonal_iiT0_T1_lilT2_lili
                                        ; -- End function
	.section	.AMDGPU.csdata,"",@progbits
; Kernel info:
; codeLenInByte = 15840
; NumSgprs: 52
; NumVgprs: 56
; NumAgprs: 0
; TotalNumVgprs: 56
; ScratchSize: 0
; MemoryBound: 0
; FloatMode: 240
; IeeeMode: 1
; LDSByteSize: 9216 bytes/workgroup (compile time only)
; SGPRBlocks: 6
; VGPRBlocks: 6
; NumSGPRsForWavesPerEU: 52
; NumVGPRsForWavesPerEU: 56
; AccumOffset: 56
; Occupancy: 2
; WaveLimiterHint : 0
; COMPUTE_PGM_RSRC2:SCRATCH_EN: 0
; COMPUTE_PGM_RSRC2:USER_SGPR: 6
; COMPUTE_PGM_RSRC2:TRAP_HANDLER: 0
; COMPUTE_PGM_RSRC2:TGID_X_EN: 1
; COMPUTE_PGM_RSRC2:TGID_Y_EN: 0
; COMPUTE_PGM_RSRC2:TGID_Z_EN: 1
; COMPUTE_PGM_RSRC2:TIDIG_COMP_CNT: 0
; COMPUTE_PGM_RSRC3_GFX90A:ACCUM_OFFSET: 13
; COMPUTE_PGM_RSRC3_GFX90A:TG_SPLIT: 0
	.section	.text._ZL38rocblas_trsm_small_left_device_sharedBILi28ELi28ELb0E19rocblas_complex_numIfES1_PKS1_PS1_Ev13rocblas_fill_18rocblas_operation_17rocblas_diagonal_iiT3_T4_lilT5_lili,"axG",@progbits,_ZL38rocblas_trsm_small_left_device_sharedBILi28ELi28ELb0E19rocblas_complex_numIfES1_PKS1_PS1_Ev13rocblas_fill_18rocblas_operation_17rocblas_diagonal_iiT3_T4_lilT5_lili,comdat
	.globl	_ZL38rocblas_trsm_small_left_device_sharedBILi28ELi28ELb0E19rocblas_complex_numIfES1_PKS1_PS1_Ev13rocblas_fill_18rocblas_operation_17rocblas_diagonal_iiT3_T4_lilT5_lili ; -- Begin function _ZL38rocblas_trsm_small_left_device_sharedBILi28ELi28ELb0E19rocblas_complex_numIfES1_PKS1_PS1_Ev13rocblas_fill_18rocblas_operation_17rocblas_diagonal_iiT3_T4_lilT5_lili
	.p2align	8
	.type	_ZL38rocblas_trsm_small_left_device_sharedBILi28ELi28ELb0E19rocblas_complex_numIfES1_PKS1_PS1_Ev13rocblas_fill_18rocblas_operation_17rocblas_diagonal_iiT3_T4_lilT5_lili,@function
_ZL38rocblas_trsm_small_left_device_sharedBILi28ELi28ELb0E19rocblas_complex_numIfES1_PKS1_PS1_Ev13rocblas_fill_18rocblas_operation_17rocblas_diagonal_iiT3_T4_lilT5_lili: ; @_ZL38rocblas_trsm_small_left_device_sharedBILi28ELi28ELb0E19rocblas_complex_numIfES1_PKS1_PS1_Ev13rocblas_fill_18rocblas_operation_17rocblas_diagonal_iiT3_T4_lilT5_lili
; %bb.0:
	s_add_u32 s0, s0, s10
	s_load_dwordx4 s[20:23], s[4:5], 0x4
	s_load_dwordx2 s[30:31], s[4:5], 0x14
	s_load_dwordx4 s[16:19], s[4:5], 0x38
	s_load_dwordx2 s[24:25], s[4:5], 0x48
	s_load_dword s42, s[4:5], 0x68
	s_addc_u32 s1, s1, 0
	s_waitcnt lgkmcnt(0)
	s_min_i32 s33, s22, 28
	s_mov_b32 s43, 0
	s_add_i32 s44, s33, -1
	v_cmp_gt_i32_e32 vcc, s33, v0
	s_and_saveexec_b64 s[26:27], vcc
	s_cbranch_execz .LBB163_35
; %bb.1:
	s_load_dword s28, s[4:5], 0x30
	s_load_dwordx4 s[12:15], s[4:5], 0x20
	s_mul_i32 s6, s9, s17
	s_mul_hi_u32 s7, s9, s16
	s_mul_i32 s16, s9, s16
	s_waitcnt lgkmcnt(0)
	s_ashr_i32 s29, s28, 31
	s_cmpk_lg_i32 s20, 0x71
	s_cselect_b64 s[34:35], -1, 0
	s_add_i32 s17, s7, s6
	v_cndmask_b32_e64 v1, 0, 1, s[34:35]
	s_cmp_lt_u32 s44, 3
	v_cmp_ne_u32_e64 s[6:7], 1, v1
	s_cbranch_scc1 .LBB163_20
; %bb.2:
	s_lshl_b64 s[10:11], s[16:17], 3
	s_add_u32 s36, s12, s10
	s_addc_u32 s37, s13, s11
	s_lshl_b64 s[10:11], s[14:15], 3
	s_add_u32 s10, s36, s10
	s_addc_u32 s11, s37, s11
	v_lshlrev_b32_e32 v1, 3, v0
	v_mov_b32_e32 v3, s11
	v_add_co_u32_e32 v2, vcc, s10, v1
	s_mul_hi_i32 s10, s28, 24
	s_lshl_b64 s[36:37], s[28:29], 5
	s_lshl_b64 s[38:39], s[28:29], 4
	;; [unrolled: 1-line block ×3, first 2 shown]
	v_addc_co_u32_e32 v3, vcc, 0, v3, vcc
	s_and_b32 s43, s33, -4
	s_mul_i32 s45, s28, 24
	s_mov_b32 s46, 0
	v_mov_b32_e32 v8, s41
	v_mov_b32_e32 v9, s39
	;; [unrolled: 1-line block ×4, first 2 shown]
	s_branch .LBB163_4
.LBB163_3:                              ;   in Loop: Header=BB163_4 Depth=1
	global_load_dword v4, v[6:7], off
	s_add_i32 s46, s46, 4
	v_add_co_u32_e32 v2, vcc, s36, v2
	v_addc_co_u32_e32 v3, vcc, v3, v11, vcc
	s_cmp_eq_u32 s43, s46
	s_waitcnt vmcnt(0)
	ds_write_b64 v1, v[4:5] offset:672
	v_add_u32_e32 v1, 0x380, v1
	s_cbranch_scc1 .LBB163_20
.LBB163_4:                              ; =>This Inner Loop Header: Depth=1
	s_and_b64 vcc, exec, s[34:35]
	s_cbranch_vccz .LBB163_6
; %bb.5:                                ;   in Loop: Header=BB163_4 Depth=1
	global_load_dword v5, v[2:3], off offset:4
	s_cbranch_execz .LBB163_7
	s_branch .LBB163_8
.LBB163_6:                              ;   in Loop: Header=BB163_4 Depth=1
                                        ; implicit-def: $vgpr5
.LBB163_7:                              ;   in Loop: Header=BB163_4 Depth=1
	global_load_dword v4, v[2:3], off offset:4
	s_waitcnt vmcnt(0)
	v_xor_b32_e32 v5, 0x80000000, v4
.LBB163_8:                              ;   in Loop: Header=BB163_4 Depth=1
	global_load_dword v4, v[2:3], off
	v_add_co_u32_e64 v6, s[10:11], s40, v2
	s_and_b64 vcc, exec, s[6:7]
	v_addc_co_u32_e64 v7, s[10:11], v3, v8, s[10:11]
	s_waitcnt vmcnt(0)
	ds_write_b64 v1, v[4:5]
	s_cbranch_vccnz .LBB163_10
; %bb.9:                                ;   in Loop: Header=BB163_4 Depth=1
	global_load_dword v5, v[6:7], off offset:4
	s_cbranch_execz .LBB163_11
	s_branch .LBB163_12
.LBB163_10:                             ;   in Loop: Header=BB163_4 Depth=1
                                        ; implicit-def: $vgpr5
.LBB163_11:                             ;   in Loop: Header=BB163_4 Depth=1
	global_load_dword v4, v[6:7], off offset:4
	s_waitcnt vmcnt(0)
	v_xor_b32_e32 v5, 0x80000000, v4
.LBB163_12:                             ;   in Loop: Header=BB163_4 Depth=1
	global_load_dword v4, v[6:7], off
	v_add_co_u32_e64 v6, s[10:11], s38, v2
	s_and_b64 vcc, exec, s[6:7]
	v_addc_co_u32_e64 v7, s[10:11], v3, v9, s[10:11]
	s_waitcnt vmcnt(0)
	ds_write_b64 v1, v[4:5] offset:224
	s_cbranch_vccnz .LBB163_14
; %bb.13:                               ;   in Loop: Header=BB163_4 Depth=1
	global_load_dword v5, v[6:7], off offset:4
	s_cbranch_execz .LBB163_15
	s_branch .LBB163_16
.LBB163_14:                             ;   in Loop: Header=BB163_4 Depth=1
                                        ; implicit-def: $vgpr5
.LBB163_15:                             ;   in Loop: Header=BB163_4 Depth=1
	global_load_dword v4, v[6:7], off offset:4
	s_waitcnt vmcnt(0)
	v_xor_b32_e32 v5, 0x80000000, v4
.LBB163_16:                             ;   in Loop: Header=BB163_4 Depth=1
	global_load_dword v4, v[6:7], off
	v_add_co_u32_e64 v6, s[10:11], s45, v2
	s_and_b64 vcc, exec, s[6:7]
	v_addc_co_u32_e64 v7, s[10:11], v3, v10, s[10:11]
	s_waitcnt vmcnt(0)
	ds_write_b64 v1, v[4:5] offset:448
	s_cbranch_vccnz .LBB163_18
; %bb.17:                               ;   in Loop: Header=BB163_4 Depth=1
	global_load_dword v5, v[6:7], off offset:4
	s_cbranch_execnz .LBB163_3
	s_branch .LBB163_19
.LBB163_18:                             ;   in Loop: Header=BB163_4 Depth=1
                                        ; implicit-def: $vgpr5
.LBB163_19:                             ;   in Loop: Header=BB163_4 Depth=1
	global_load_dword v4, v[6:7], off offset:4
	s_waitcnt vmcnt(0)
	v_xor_b32_e32 v5, 0x80000000, v4
	s_branch .LBB163_3
.LBB163_20:
	s_and_b32 s34, s33, 3
	s_cmp_eq_u32 s34, 0
	s_cbranch_scc1 .LBB163_27
; %bb.21:
	s_mul_i32 s10, s43, 0xe0
	v_lshl_add_u32 v1, v0, 3, s10
	s_lshl_b64 s[10:11], s[16:17], 3
	s_mul_i32 s16, s29, s43
	s_mul_hi_u32 s17, s28, s43
	s_add_i32 s17, s17, s16
	s_mul_i32 s16, s28, s43
	s_lshl_b64 s[16:17], s[16:17], 3
	s_add_u32 s16, s10, s16
	s_addc_u32 s17, s11, s17
	s_lshl_b64 s[10:11], s[14:15], 3
	s_add_u32 s10, s16, s10
	s_addc_u32 s11, s17, s11
	s_add_u32 s10, s12, s10
	v_lshlrev_b32_e32 v2, 3, v0
	s_addc_u32 s11, s13, s11
	v_mov_b32_e32 v3, s11
	v_add_co_u32_e32 v2, vcc, s10, v2
	v_addc_co_u32_e32 v3, vcc, 0, v3, vcc
	v_add_co_u32_e32 v2, vcc, 4, v2
	s_lshl_b64 s[10:11], s[28:29], 3
	v_addc_co_u32_e32 v3, vcc, 0, v3, vcc
	v_mov_b32_e32 v6, s11
	s_branch .LBB163_23
.LBB163_22:                             ;   in Loop: Header=BB163_23 Depth=1
	global_load_dword v4, v[2:3], off offset:-4
	s_add_i32 s34, s34, -1
	v_add_co_u32_e32 v2, vcc, s10, v2
	s_cmp_lg_u32 s34, 0
	v_addc_co_u32_e32 v3, vcc, v3, v6, vcc
	s_waitcnt vmcnt(0)
	ds_write_b64 v1, v[4:5]
	v_add_u32_e32 v1, 0xe0, v1
	s_cbranch_scc0 .LBB163_27
.LBB163_23:                             ; =>This Inner Loop Header: Depth=1
	s_and_b64 vcc, exec, s[6:7]
	s_cbranch_vccnz .LBB163_25
; %bb.24:                               ;   in Loop: Header=BB163_23 Depth=1
	global_load_dword v5, v[2:3], off
	s_cbranch_execnz .LBB163_22
	s_branch .LBB163_26
.LBB163_25:                             ;   in Loop: Header=BB163_23 Depth=1
                                        ; implicit-def: $vgpr5
.LBB163_26:                             ;   in Loop: Header=BB163_23 Depth=1
	global_load_dword v4, v[2:3], off
	s_waitcnt vmcnt(0)
	v_xor_b32_e32 v5, 0x80000000, v4
	s_branch .LBB163_22
.LBB163_27:
	v_mul_u32_u24_e32 v1, 29, v0
	s_cmpk_lg_i32 s21, 0x84
	v_lshlrev_b32_e32 v1, 3, v1
	s_mov_b64 s[6:7], -1
	s_cbranch_scc0 .LBB163_33
; %bb.28:
	ds_read_b64 v[2:3], v1
	s_mov_b32 s6, 0
	s_waitcnt lgkmcnt(0)
	v_cmp_gt_f32_e32 vcc, 0, v3
	v_cndmask_b32_e64 v4, v3, -v3, vcc
	v_cmp_gt_f32_e32 vcc, 0, v2
	v_cndmask_b32_e64 v5, v2, -v2, vcc
	v_cmp_ngt_f32_e32 vcc, v5, v4
                                        ; implicit-def: $vgpr4_vgpr5
	s_and_saveexec_b64 s[10:11], vcc
	s_xor_b64 s[10:11], exec, s[10:11]
	s_cbranch_execz .LBB163_30
; %bb.29:
	v_div_scale_f32 v4, s[12:13], v3, v3, v2
	v_rcp_f32_e32 v5, v4
	v_div_scale_f32 v6, vcc, v2, v3, v2
	s_mov_b32 s7, -1.0
	v_fma_f32 v7, -v4, v5, 1.0
	v_fmac_f32_e32 v5, v7, v5
	v_mul_f32_e32 v7, v6, v5
	v_fma_f32 v8, -v4, v7, v6
	v_fmac_f32_e32 v7, v8, v5
	v_fma_f32 v4, -v4, v7, v6
	v_div_fmas_f32 v4, v4, v5, v7
	v_div_fixup_f32 v4, v4, v3, v2
	v_fmac_f32_e32 v3, v2, v4
	v_div_scale_f32 v2, s[12:13], v3, v3, 1.0
	v_rcp_f32_e32 v5, v2
	v_fma_f32 v6, -v2, v5, 1.0
	v_fmac_f32_e32 v5, v6, v5
	v_div_scale_f32 v6, vcc, 1.0, v3, 1.0
	v_mul_f32_e32 v7, v6, v5
	v_fma_f32 v8, -v2, v7, v6
	v_fmac_f32_e32 v7, v8, v5
	v_fma_f32 v2, -v2, v7, v6
	v_div_fmas_f32 v2, v2, v5, v7
	v_mul_f32_e32 v5, 0, v4
	v_div_fixup_f32 v2, v2, v3, 1.0
	v_pk_add_f32 v[4:5], v[4:5], s[6:7]
	v_pk_mul_f32 v[4:5], v[4:5], v[2:3] op_sel_hi:[1,0]
                                        ; implicit-def: $vgpr2_vgpr3
.LBB163_30:
	s_andn2_saveexec_b64 s[6:7], s[10:11]
	s_cbranch_execz .LBB163_32
; %bb.31:
	v_div_scale_f32 v4, s[10:11], v2, v2, v3
	v_rcp_f32_e32 v5, v4
	v_div_scale_f32 v6, vcc, v3, v2, v3
	v_fma_f32 v7, -v4, v5, 1.0
	v_fmac_f32_e32 v5, v7, v5
	v_mul_f32_e32 v7, v6, v5
	v_fma_f32 v8, -v4, v7, v6
	v_fmac_f32_e32 v7, v8, v5
	v_fma_f32 v4, -v4, v7, v6
	v_div_fmas_f32 v4, v4, v5, v7
	v_div_fixup_f32 v5, v4, v2, v3
	v_fmac_f32_e32 v2, v3, v5
	v_div_scale_f32 v3, s[10:11], v2, v2, 1.0
	v_rcp_f32_e32 v4, v3
	s_mov_b32 s10, 1.0
	s_mov_b32 s11, 0
	v_fma_f32 v6, -v3, v4, 1.0
	v_fmac_f32_e32 v4, v6, v4
	v_div_scale_f32 v6, vcc, 1.0, v2, 1.0
	v_mul_f32_e32 v7, v6, v4
	v_fma_f32 v8, -v3, v7, v6
	v_fmac_f32_e32 v7, v8, v4
	v_fma_f32 v3, -v3, v7, v6
	v_div_fmas_f32 v3, v3, v4, v7
	v_mul_f32_e32 v4, 0, v5
	v_pk_add_f32 v[6:7], v[4:5], s[10:11]
	v_pk_add_f32 v[4:5], v[4:5], s[10:11] neg_lo:[1,0] neg_hi:[1,0]
	v_div_fixup_f32 v2, v3, v2, 1.0
	v_mov_b32_e32 v7, v5
	v_pk_mul_f32 v[4:5], v[6:7], v[2:3] op_sel_hi:[1,0]
.LBB163_32:
	s_or_b64 exec, exec, s[6:7]
	s_mov_b64 s[6:7], 0
	ds_write_b64 v1, v[4:5]
.LBB163_33:
	s_and_b64 vcc, exec, s[6:7]
	s_cbranch_vccz .LBB163_35
; %bb.34:
	v_mov_b32_e32 v2, 1.0
	v_mov_b32_e32 v3, 0
	ds_write_b64 v1, v[2:3]
.LBB163_35:
	s_or_b64 exec, exec, s[26:27]
	s_load_dword s21, s[4:5], 0x50
	s_load_dwordx2 s[6:7], s[4:5], 0x58
	s_mul_i32 s26, s8, 28
	s_waitcnt lgkmcnt(0)
	s_ashr_i32 s45, s21, 31
	s_mul_i32 s5, s9, s7
	s_mul_hi_u32 s7, s9, s6
	s_mul_i32 s4, s9, s6
	s_add_i32 s5, s7, s5
	s_lshl_b64 s[16:17], s[4:5], 3
	s_add_u32 s4, s18, s16
	s_addc_u32 s5, s19, s17
	s_lshl_b64 s[24:25], s[24:25], 3
	s_add_u32 s6, s4, s24
	s_mul_i32 s4, s8, 0xffffffe4
	s_addc_u32 s7, s5, s25
	s_add_i32 s42, s42, -1
	s_add_i32 s4, s4, s23
	s_cmp_ge_u32 s8, s42
	s_cselect_b32 s9, s4, 28
	s_mul_hi_i32 s5, s21, s26
	s_mul_i32 s4, s21, s26
	s_ashr_i32 s27, s26, 31
	s_lshl_b64 s[4:5], s[4:5], 3
	s_add_u32 s23, s6, s4
	s_addc_u32 s46, s7, s5
	s_cmp_gt_i32 s22, 0
	v_cmp_gt_i32_e32 vcc, s9, v0
	s_cselect_b64 s[4:5], -1, 0
	s_mov_b32 s6, 0
	s_and_b64 s[28:29], vcc, s[4:5]
	s_and_saveexec_b64 s[34:35], s[28:29]
	s_cbranch_execz .LBB163_48
; %bb.36:
	s_cmp_lt_i32 s22, 2
	s_mov_b64 s[4:5], -1
	s_cbranch_scc1 .LBB163_45
; %bb.37:
	v_mad_i64_i32 v[2:3], s[4:5], s21, v0, 0
	s_add_i32 s5, s33, -2
	v_lshlrev_b64 v[2:3], 3, v[2:3]
	s_lshr_b32 s47, s5, 1
	v_mov_b32_e32 v4, s46
	v_add_co_u32_e32 v1, vcc, s23, v2
	s_mov_b32 s40, 1
	s_add_i32 s47, s47, 1
	s_mov_b32 s43, 0
	v_addc_co_u32_e32 v2, vcc, v4, v3, vcc
	s_mov_b32 s36, s30
	s_mov_b32 s37, s30
	;; [unrolled: 1-line block ×5, first 2 shown]
	s_cmp_lt_u32 s5, 6
	s_mov_b32 s5, s40
	s_cbranch_scc1 .LBB163_41
; %bb.38:
	s_and_b32 s48, s47, -4
	s_mov_b32 s42, s43
.LBB163_39:                             ; =>This Inner Loop Header: Depth=1
	s_lshl_b64 s[4:5], s[42:43], 3
	s_mov_b32 s41, s43
	s_add_i32 s6, s40, 2
	s_add_i32 s8, s42, 2
	s_mov_b32 s9, s43
	s_mov_b32 s7, s43
	s_add_i32 s10, s40, 4
	s_add_i32 s12, s42, 4
	s_mov_b32 s13, s43
	s_mov_b32 s11, s43
	s_add_i32 s14, s40, 6
	s_add_i32 s50, s42, 6
	s_mov_b32 s51, s43
	s_mov_b32 s15, s43
	v_mov_b32_e32 v3, s5
	v_add_co_u32_e32 v4, vcc, s4, v1
	s_lshl_b64 s[52:53], s[40:41], 3
	s_lshl_b64 s[8:9], s[8:9], 3
	;; [unrolled: 1-line block ×7, first 2 shown]
	v_addc_co_u32_e32 v5, vcc, v2, v3, vcc
	v_mov_b32_e32 v3, s53
	v_mov_b32_e32 v7, s9
	v_add_co_u32_e32 v6, vcc, s8, v1
	v_mov_b32_e32 v9, s7
	v_add_co_u32_e64 v8, s[4:5], s6, v1
	v_mov_b32_e32 v11, s13
	v_add_co_u32_e64 v10, s[6:7], s12, v1
	;; [unrolled: 2-line block ×5, first 2 shown]
	v_add_co_u32_e64 v18, s[14:15], s52, v1
	v_addc_co_u32_e64 v19, s[14:15], v2, v3, s[14:15]
	v_addc_co_u32_e32 v7, vcc, v2, v7, vcc
	v_addc_co_u32_e64 v9, vcc, v2, v9, s[4:5]
	v_addc_co_u32_e64 v11, vcc, v2, v11, s[6:7]
	;; [unrolled: 1-line block ×5, first 2 shown]
	global_load_dwordx2 v[20:21], v[4:5], off
	global_load_dwordx2 v[22:23], v[18:19], off
	;; [unrolled: 1-line block ×8, first 2 shown]
	s_mul_i32 s4, s40, 28
	s_mul_i32 s5, s42, 28
	s_add_i32 s42, s42, 8
	s_add_i32 s48, s48, -4
	v_add_lshl_u32 v3, s5, v0, 3
	v_add_lshl_u32 v36, s4, v0, 3
	s_add_i32 s6, s4, 56
	s_add_i32 s7, s5, 56
	;; [unrolled: 1-line block ×4, first 2 shown]
	s_addk_i32 s4, 0xa8
	s_addk_i32 s5, 0xa8
	s_add_i32 s40, s40, 8
	s_cmp_lg_u32 s48, 0
	v_add_lshl_u32 v37, s7, v0, 3
	v_add_lshl_u32 v38, s6, v0, 3
	;; [unrolled: 1-line block ×6, first 2 shown]
	s_waitcnt vmcnt(7)
	v_mov_b32_e32 v4, v20
	s_waitcnt vmcnt(6)
	v_mov_b32_e32 v5, v22
	v_mov_b32_e32 v22, v21
	s_waitcnt vmcnt(4)
	v_mov_b32_e32 v7, v26
	;; [unrolled: 3-line block ×4, first 2 shown]
	v_mov_b32_e32 v34, v33
	v_pk_mul_f32 v[12:13], s[38:39], v[22:23]
	v_pk_mul_f32 v[14:15], s[36:37], v[22:23]
	v_mov_b32_e32 v6, v24
	v_mov_b32_e32 v8, v28
	;; [unrolled: 1-line block ×3, first 2 shown]
	v_pk_mul_f32 v[16:17], s[38:39], v[26:27]
	v_pk_mul_f32 v[18:19], s[36:37], v[26:27]
	;; [unrolled: 1-line block ×6, first 2 shown]
	v_pk_fma_f32 v[12:13], s[36:37], v[4:5], v[12:13] neg_lo:[0,0,1] neg_hi:[0,0,1]
	v_pk_fma_f32 v[4:5], s[38:39], v[4:5], v[14:15]
	v_pk_fma_f32 v[14:15], s[36:37], v[6:7], v[16:17] neg_lo:[0,0,1] neg_hi:[0,0,1]
	v_pk_fma_f32 v[6:7], s[38:39], v[6:7], v[18:19]
	;; [unrolled: 2-line block ×4, first 2 shown]
	v_mov_b32_e32 v20, v12
	v_mov_b32_e32 v21, v4
	;; [unrolled: 1-line block ×12, first 2 shown]
	ds_write_b64 v3, v[20:21] offset:6272
	ds_write_b64 v36, v[4:5] offset:6272
	;; [unrolled: 1-line block ×8, first 2 shown]
	s_cbranch_scc1 .LBB163_39
; %bb.40:
	s_mov_b32 s43, s40
	s_mov_b64 s[4:5], s[42:43]
.LBB163_41:
	s_and_b32 s6, s47, 3
	s_cmp_eq_u32 s6, 0
	s_mov_b32 s7, 0
	s_cbranch_scc1 .LBB163_44
; %bb.42:
	s_sub_i32 s6, 0, s6
	v_mov_b32_e32 v3, s6
.LBB163_43:                             ; =>This Inner Loop Header: Depth=1
	s_mov_b32 s6, s4
	s_lshl_b64 s[8:9], s[6:7], 3
	s_mov_b32 s6, s5
	v_mov_b32_e32 v5, s9
	v_add_co_u32_e32 v4, vcc, s8, v1
	s_lshl_b64 s[10:11], s[6:7], 3
	v_addc_co_u32_e32 v5, vcc, v2, v5, vcc
	v_mov_b32_e32 v7, s11
	v_add_co_u32_e32 v6, vcc, s10, v1
	v_addc_co_u32_e32 v7, vcc, v2, v7, vcc
	global_load_dwordx2 v[8:9], v[4:5], off
	global_load_dwordx2 v[10:11], v[6:7], off
	s_mul_i32 s8, s4, 28
	v_add_co_u32_e32 v3, vcc, 1, v3
	s_mul_i32 s6, s5, 28
	s_add_i32 s4, s4, 2
	v_add_lshl_u32 v12, s8, v0, 3
	s_add_i32 s5, s5, 2
	s_andn2_b64 vcc, exec, vcc
	v_add_lshl_u32 v13, s6, v0, 3
	s_waitcnt vmcnt(1)
	v_mov_b32_e32 v4, v8
	s_waitcnt vmcnt(0)
	v_mov_b32_e32 v5, v10
	v_mov_b32_e32 v10, v9
	v_pk_mul_f32 v[6:7], s[38:39], v[10:11]
	v_pk_mul_f32 v[8:9], s[36:37], v[10:11]
	v_pk_fma_f32 v[6:7], s[36:37], v[4:5], v[6:7] neg_lo:[0,0,1] neg_hi:[0,0,1]
	v_pk_fma_f32 v[4:5], s[38:39], v[4:5], v[8:9]
	v_mov_b32_e32 v8, v6
	v_mov_b32_e32 v9, v4
	;; [unrolled: 1-line block ×3, first 2 shown]
	ds_write_b64 v12, v[8:9] offset:6272
	ds_write_b64 v13, v[4:5] offset:6272
	s_cbranch_vccnz .LBB163_43
.LBB163_44:
	s_and_b32 s6, s33, 30
	s_cmp_lg_u32 s33, s6
	s_cselect_b64 s[4:5], -1, 0
.LBB163_45:
	s_and_b64 vcc, exec, s[4:5]
	s_cbranch_vccz .LBB163_48
; %bb.46:
	s_mul_i32 s5, s6, 0xe0
	s_sub_i32 s4, s33, s6
	v_lshl_add_u32 v1, v0, 3, s5
	s_lshl_b64 s[8:9], s[26:27], 3
	s_lshl_b32 s5, s6, 3
	s_add_u32 s5, s18, s5
	s_addc_u32 s6, s19, 0
	s_add_u32 s5, s5, s24
	s_addc_u32 s7, s6, s25
	v_lshlrev_b32_e32 v2, 3, v0
	s_add_u32 s6, s5, s16
	v_mov_b32_e32 v3, s9
	v_add_co_u32_e32 v4, vcc, s8, v2
	s_addc_u32 s7, s7, s17
	v_addc_co_u32_e32 v5, vcc, 0, v3, vcc
	v_pk_mov_b32 v[2:3], s[6:7], s[6:7] op_sel:[0,1]
	v_mad_u64_u32 v[2:3], s[6:7], v4, s21, v[2:3]
	v_mul_lo_u32 v4, v4, s45
	v_mul_lo_u32 v5, v5, s21
	v_add3_u32 v3, v5, v3, v4
	v_add_co_u32_e32 v2, vcc, 4, v2
	v_add_u32_e32 v1, 0x1880, v1
	v_addc_co_u32_e32 v3, vcc, 0, v3, vcc
.LBB163_47:                             ; =>This Inner Loop Header: Depth=1
	global_load_dwordx2 v[4:5], v[2:3], off offset:-4
	s_add_i32 s4, s4, -1
	v_add_co_u32_e32 v2, vcc, 8, v2
	v_addc_co_u32_e32 v3, vcc, 0, v3, vcc
	s_cmp_lg_u32 s4, 0
	s_waitcnt vmcnt(0)
	v_mul_f32_e32 v6, s31, v5
	v_mul_f32_e32 v7, s30, v5
	v_fma_f32 v6, s30, v4, -v6
	v_fmac_f32_e32 v7, s31, v4
	ds_write_b64 v1, v[6:7]
	v_add_u32_e32 v1, 0xe0, v1
	s_cbranch_scc1 .LBB163_47
.LBB163_48:
	s_or_b64 exec, exec, s[34:35]
	s_cmpk_eq_i32 s20, 0x6f
	s_mov_b64 s[4:5], -1
	s_waitcnt lgkmcnt(0)
	; wave barrier
	s_waitcnt lgkmcnt(0)
	s_cbranch_scc1 .LBB163_77
; %bb.49:
	v_mov_b32_e32 v1, 0x1880
	s_mov_b32 s5, 0
	v_lshl_add_u32 v1, v0, 3, v1
	v_mov_b32_e32 v10, 0
	s_mov_b32 s4, s5
	s_mov_b32 s14, s5
	s_branch .LBB163_51
.LBB163_50:                             ;   in Loop: Header=BB163_51 Depth=1
	s_cmp_ge_i32 s14, s33
	s_cselect_b64 s[6:7], -1, 0
	s_add_i32 s4, s4, 1
	s_cmp_eq_u32 s4, 3
	s_cselect_b64 s[8:9], -1, 0
	s_or_b64 s[6:7], s[6:7], s[8:9]
	s_andn2_b64 vcc, exec, s[6:7]
	s_cbranch_vccz .LBB163_76
.LBB163_51:                             ; =>This Loop Header: Depth=1
                                        ;     Child Loop BB163_54 Depth 2
                                        ;       Child Loop BB163_55 Depth 3
                                        ;       Child Loop BB163_59 Depth 3
                                        ;         Child Loop BB163_61 Depth 4
                                        ;         Child Loop BB163_67 Depth 4
                                        ;       Child Loop BB163_70 Depth 3
                                        ;         Child Loop BB163_72 Depth 4
	s_lshl_b64 s[6:7], s[4:5], 2
	s_getpc_b64 s[8:9]
	s_add_u32 s8, s8, __const._ZL38rocblas_trsm_small_left_device_sharedBILi28ELi28ELb0E19rocblas_complex_numIfES1_PKS1_PS1_Ev13rocblas_fill_18rocblas_operation_17rocblas_diagonal_iiT3_T4_lilT5_lili.step_sizes@rel32@lo+4
	s_addc_u32 s9, s9, __const._ZL38rocblas_trsm_small_left_device_sharedBILi28ELi28ELb0E19rocblas_complex_numIfES1_PKS1_PS1_Ev13rocblas_fill_18rocblas_operation_17rocblas_diagonal_iiT3_T4_lilT5_lili.step_sizes@rel32@hi+12
	s_add_u32 s6, s6, s8
	s_addc_u32 s7, s7, s9
	s_load_dword s15, s[6:7], 0x0
	s_waitcnt lgkmcnt(0)
	s_add_i32 s20, s15, -1
	s_add_i32 s6, s20, s14
	s_cmp_ge_i32 s6, s33
	s_cbranch_scc1 .LBB163_50
; %bb.52:                               ;   in Loop: Header=BB163_51 Depth=1
	s_max_i32 s30, s15, 1
	s_cmp_lg_u32 s4, 2
	s_cselect_b64 s[6:7], -1, 0
	s_and_b32 s31, s30, 0x7ffffffe
	s_cmp_lg_u32 s30, s31
	s_mul_i32 s10, s14, 0xe0
	s_cselect_b64 s[8:9], -1, 0
	v_add_u32_e32 v11, s10, v1
	s_mul_i32 s34, s15, 0xe0
	s_mul_i32 s35, s14, 0xe8
	;; [unrolled: 1-line block ×3, first 2 shown]
	s_branch .LBB163_54
.LBB163_53:                             ;   in Loop: Header=BB163_54 Depth=2
	s_add_i32 s14, s14, s15
	s_add_i32 s10, s20, s14
	;; [unrolled: 1-line block ×3, first 2 shown]
	s_cmp_ge_i32 s10, s33
	v_add_u32_e32 v11, s34, v11
	s_cbranch_scc1 .LBB163_50
.LBB163_54:                             ;   Parent Loop BB163_51 Depth=1
                                        ; =>  This Loop Header: Depth=2
                                        ;       Child Loop BB163_55 Depth 3
                                        ;       Child Loop BB163_59 Depth 3
                                        ;         Child Loop BB163_61 Depth 4
                                        ;         Child Loop BB163_67 Depth 4
                                        ;       Child Loop BB163_70 Depth 3
                                        ;         Child Loop BB163_72 Depth 4
	v_mov_b32_e32 v2, 0
	v_mov_b32_e32 v3, v11
	s_mov_b32 s10, s30
.LBB163_55:                             ;   Parent Loop BB163_51 Depth=1
                                        ;     Parent Loop BB163_54 Depth=2
                                        ; =>    This Inner Loop Header: Depth=3
	ds_read_b64 v[4:5], v3
	s_add_i32 s10, s10, -1
	v_add_u32_e32 v3, 0xe0, v3
	s_cmp_eq_u32 s10, 0
	s_waitcnt lgkmcnt(0)
	buffer_store_dword v5, v2, s[0:3], 0 offen offset:4
	buffer_store_dword v4, v2, s[0:3], 0 offen
	v_add_u32_e32 v2, 8, v2
	s_cbranch_scc0 .LBB163_55
; %bb.56:                               ;   in Loop: Header=BB163_54 Depth=2
	s_cmp_lt_i32 s14, 1
	s_cbranch_scc1 .LBB163_68
; %bb.57:                               ;   in Loop: Header=BB163_54 Depth=2
	s_mov_b32 s37, s14
	s_mov_b32 s38, 0
	;; [unrolled: 1-line block ×3, first 2 shown]
	s_branch .LBB163_59
.LBB163_58:                             ;   in Loop: Header=BB163_59 Depth=3
	s_add_i32 s39, s39, 1
	s_add_i32 s38, s38, 8
	s_cmp_ge_i32 s39, s14
	s_cbranch_scc1 .LBB163_68
.LBB163_59:                             ;   Parent Loop BB163_51 Depth=1
                                        ;     Parent Loop BB163_54 Depth=2
                                        ; =>    This Loop Header: Depth=3
                                        ;         Child Loop BB163_61 Depth 4
                                        ;         Child Loop BB163_67 Depth 4
	s_mul_i32 s10, s39, 28
	s_waitcnt lgkmcnt(0)
	v_add_lshl_u32 v2, s10, v0, 3
	ds_read_b64 v[2:3], v2 offset:6272
	s_and_b64 vcc, exec, s[6:7]
	s_cbranch_vccz .LBB163_63
; %bb.60:                               ;   in Loop: Header=BB163_59 Depth=3
	s_mov_b32 s10, s39
	s_waitcnt lgkmcnt(0)
	v_mov_b32_e32 v6, v2
	v_mov_b32_e32 v7, v2
	;; [unrolled: 1-line block ×6, first 2 shown]
	s_mov_b32 s11, 1
	s_mov_b32 s12, 0
	;; [unrolled: 1-line block ×3, first 2 shown]
.LBB163_61:                             ;   Parent Loop BB163_51 Depth=1
                                        ;     Parent Loop BB163_54 Depth=2
                                        ;       Parent Loop BB163_59 Depth=3
                                        ; =>      This Inner Loop Header: Depth=4
	buffer_load_dword v12, v5, s[0:3], 0 offen
	buffer_load_dword v14, v5, s[0:3], 0 offen offset:4
	buffer_load_dword v13, v5, s[0:3], 0 offen offset:8
	;; [unrolled: 1-line block ×3, first 2 shown]
	s_add_i32 s40, s11, s37
	s_add_i32 s41, s12, s14
	s_mul_i32 s41, s41, 28
	s_mul_i32 s40, s40, 28
	s_add_i32 s40, s40, s10
	s_add_i32 s41, s41, s39
	s_lshl_b32 s41, s41, 3
	s_lshl_b32 s40, s40, 3
	v_mov_b32_e32 v16, s41
	v_mov_b32_e32 v18, s40
	ds_read_b64 v[16:17], v16
	ds_read_b64 v[18:19], v18
	s_add_i32 s12, s12, 2
	s_add_i32 s11, s11, 2
	s_add_i32 s13, s13, -2
	s_waitcnt lgkmcnt(1)
	v_mov_b32_e32 v20, v16
	s_waitcnt lgkmcnt(0)
	v_mov_b32_e32 v21, v18
	v_mov_b32_e32 v18, v17
	v_pk_mul_f32 v[16:17], v[18:19], v[8:9]
	v_pk_mul_f32 v[18:19], v[18:19], v[6:7]
	v_pk_fma_f32 v[16:17], v[20:21], v[6:7], v[16:17] neg_lo:[0,0,1] neg_hi:[0,0,1]
	v_pk_fma_f32 v[18:19], v[20:21], v[8:9], v[18:19]
	s_cmp_lg_u32 s13, 0
	s_waitcnt vmcnt(1)
	v_pk_add_f32 v[12:13], v[12:13], v[16:17] neg_lo:[0,1] neg_hi:[0,1]
	s_waitcnt vmcnt(0)
	v_pk_add_f32 v[14:15], v[14:15], v[18:19] neg_lo:[0,1] neg_hi:[0,1]
	buffer_store_dword v12, v5, s[0:3], 0 offen
	buffer_store_dword v14, v5, s[0:3], 0 offen offset:4
	buffer_store_dword v13, v5, s[0:3], 0 offen offset:8
	;; [unrolled: 1-line block ×3, first 2 shown]
	v_add_u32_e32 v5, 16, v5
	s_cbranch_scc1 .LBB163_61
; %bb.62:                               ;   in Loop: Header=BB163_59 Depth=3
	s_mov_b64 s[10:11], s[8:9]
	s_mov_b32 s12, s31
	s_branch .LBB163_65
.LBB163_63:                             ;   in Loop: Header=BB163_59 Depth=3
	s_mov_b64 s[10:11], 0
                                        ; implicit-def: $vgpr4_vgpr5
	s_mov_b32 s12, s31
	s_cbranch_execz .LBB163_65
; %bb.64:                               ;   in Loop: Header=BB163_59 Depth=3
	s_waitcnt lgkmcnt(0)
	v_mov_b32_e32 v4, v3
	s_mov_b64 s[10:11], -1
	s_mov_b32 s12, 0
.LBB163_65:                             ;   in Loop: Header=BB163_59 Depth=3
	s_andn2_b64 vcc, exec, s[10:11]
	s_cbranch_vccnz .LBB163_58
; %bb.66:                               ;   in Loop: Header=BB163_59 Depth=3
	s_add_i32 s11, s14, s12
	s_sub_i32 s10, s30, s12
	s_mulk_i32 s11, 0xe0
	s_lshl_b32 s12, s12, 3
	s_waitcnt lgkmcnt(0)
	v_mov_b32_e32 v5, v3
	v_mov_b32_e32 v3, v2
	s_add_i32 s11, s38, s11
	v_add_u32_e32 v6, s12, v10
.LBB163_67:                             ;   Parent Loop BB163_51 Depth=1
                                        ;     Parent Loop BB163_54 Depth=2
                                        ;       Parent Loop BB163_59 Depth=3
                                        ; =>      This Inner Loop Header: Depth=4
	buffer_load_dword v8, v6, s[0:3], 0 offen
	buffer_load_dword v9, v6, s[0:3], 0 offen offset:4
	v_mov_b32_e32 v7, s11
	ds_read_b64 v[12:13], v7
	s_add_i32 s10, s10, -1
	s_addk_i32 s11, 0xe0
	s_cmp_eq_u32 s10, 0
	s_waitcnt lgkmcnt(0)
	v_pk_mul_f32 v[14:15], v[12:13], v[4:5]
	v_pk_fma_f32 v[16:17], v[12:13], v[2:3], v[14:15] op_sel:[0,0,1] op_sel_hi:[1,1,0] neg_lo:[0,0,1] neg_hi:[0,0,1]
	v_pk_fma_f32 v[12:13], v[12:13], v[2:3], v[14:15] op_sel:[0,0,1] op_sel_hi:[1,1,0]
	v_mov_b32_e32 v17, v13
	s_waitcnt vmcnt(0)
	v_pk_add_f32 v[8:9], v[8:9], v[16:17] neg_lo:[0,1] neg_hi:[0,1]
	buffer_store_dword v8, v6, s[0:3], 0 offen
	buffer_store_dword v9, v6, s[0:3], 0 offen offset:4
	v_add_u32_e32 v6, 8, v6
	s_cbranch_scc0 .LBB163_67
	s_branch .LBB163_58
.LBB163_68:                             ;   in Loop: Header=BB163_54 Depth=2
	s_mul_i32 s12, s14, 28
	s_mov_b32 s13, 0
	s_mov_b32 s37, s35
	s_branch .LBB163_70
.LBB163_69:                             ;   in Loop: Header=BB163_70 Depth=3
	s_mul_i32 s10, s39, 0xe8
	v_mov_b32_e32 v4, s10
	ds_read_b64 v[4:5], v4
	s_lshl_b32 s10, s13, 3
	s_add_i32 s13, s13, 1
	s_addk_i32 s37, 0xe0
	v_add_u32_e32 v8, s10, v10
	s_waitcnt vmcnt(0) lgkmcnt(0)
	v_mul_f32_e32 v6, v5, v3
	v_mul_f32_e32 v7, v4, v3
	v_fma_f32 v6, v4, v2, -v6
	v_fmac_f32_e32 v7, v5, v2
	v_add_lshl_u32 v2, s38, v0, 3
	s_cmp_eq_u32 s13, s30
	buffer_store_dword v6, v8, s[0:3], 0 offen
	buffer_store_dword v7, v8, s[0:3], 0 offen offset:4
	ds_write_b64 v2, v[6:7] offset:6272
	s_cbranch_scc1 .LBB163_53
.LBB163_70:                             ;   Parent Loop BB163_51 Depth=1
                                        ;     Parent Loop BB163_54 Depth=2
                                        ; =>    This Loop Header: Depth=3
                                        ;         Child Loop BB163_72 Depth 4
	s_cmp_lg_u32 s13, 0
	s_cbranch_scc0 .LBB163_74
; %bb.71:                               ;   in Loop: Header=BB163_70 Depth=3
	s_lshl_b32 s10, s13, 3
	v_add_u32_e32 v4, s10, v10
	s_waitcnt lgkmcnt(0)
	buffer_load_dword v2, v4, s[0:3], 0 offen
	buffer_load_dword v3, v4, s[0:3], 0 offen offset:4
	v_mov_b32_e32 v5, 0
	s_mov_b32 s10, 0
	s_mov_b32 s11, s37
.LBB163_72:                             ;   Parent Loop BB163_51 Depth=1
                                        ;     Parent Loop BB163_54 Depth=2
                                        ;       Parent Loop BB163_70 Depth=3
                                        ; =>      This Inner Loop Header: Depth=4
	buffer_load_dword v7, v5, s[0:3], 0 offen offset:4
	buffer_load_dword v6, v5, s[0:3], 0 offen
	v_mov_b32_e32 v8, s11
	ds_read_b64 v[8:9], v8
	s_add_i32 s10, s10, 1
	s_add_i32 s11, s11, 8
	v_add_u32_e32 v5, 8, v5
	s_cmp_ge_u32 s10, s13
	s_waitcnt vmcnt(1)
	v_mov_b32_e32 v12, v7
	s_waitcnt lgkmcnt(0)
	v_pk_mul_f32 v[12:13], v[8:9], v[12:13] op_sel_hi:[1,0]
	s_waitcnt vmcnt(0)
	v_pk_fma_f32 v[14:15], v[8:9], v[6:7], v[12:13] op_sel:[0,0,1] op_sel_hi:[1,1,0] neg_lo:[0,0,1] neg_hi:[0,0,1]
	v_pk_fma_f32 v[6:7], v[8:9], v[6:7], v[12:13] op_sel:[0,0,1] op_sel_hi:[1,0,0]
	v_mov_b32_e32 v15, v7
	v_pk_add_f32 v[2:3], v[2:3], v[14:15] neg_lo:[0,1] neg_hi:[0,1]
	buffer_store_dword v2, v4, s[0:3], 0 offen
	buffer_store_dword v3, v4, s[0:3], 0 offen offset:4
	s_cbranch_scc0 .LBB163_72
; %bb.73:                               ;   in Loop: Header=BB163_70 Depth=3
	s_add_i32 s39, s13, s14
	s_mul_i32 s38, s39, 28
	s_branch .LBB163_69
.LBB163_74:                             ;   in Loop: Header=BB163_70 Depth=3
                                        ; implicit-def: $vgpr2
                                        ; implicit-def: $sgpr39
                                        ; implicit-def: $sgpr38
	s_cbranch_execz .LBB163_69
; %bb.75:                               ;   in Loop: Header=BB163_70 Depth=3
	s_waitcnt lgkmcnt(0)
	buffer_load_dword v2, off, s[0:3], 0
	buffer_load_dword v3, off, s[0:3], 0 offset:4
	s_mov_b32 s38, s12
	s_mov_b32 s39, s14
	s_branch .LBB163_69
.LBB163_76:
	s_mov_b64 s[4:5], 0
.LBB163_77:
	s_and_b64 vcc, exec, s[4:5]
	s_cbranch_vccz .LBB163_104
; %bb.78:
	v_mov_b32_e32 v1, 0x1880
	s_mul_i32 s14, s33, 0xe0
	s_mov_b32 s5, 0
	v_lshl_add_u32 v1, v0, 3, v1
	s_addk_i32 s14, 0xff20
	v_mov_b32_e32 v10, 0
	s_mov_b32 s4, s5
	s_mov_b32 s15, s44
	s_branch .LBB163_80
.LBB163_79:                             ;   in Loop: Header=BB163_80 Depth=1
	s_cmp_lt_i32 s15, 0
	s_cselect_b64 s[6:7], -1, 0
	s_add_i32 s4, s4, 1
	s_cmp_eq_u32 s4, 3
	s_cselect_b64 s[8:9], -1, 0
	s_or_b64 s[6:7], s[6:7], s[8:9]
	s_and_b64 vcc, exec, s[6:7]
	s_cbranch_vccnz .LBB163_104
.LBB163_80:                             ; =>This Loop Header: Depth=1
                                        ;     Child Loop BB163_83 Depth 2
                                        ;       Child Loop BB163_84 Depth 3
                                        ;       Child Loop BB163_95 Depth 3
                                        ;         Child Loop BB163_97 Depth 4
                                        ;         Child Loop BB163_103 Depth 4
                                        ;       Child Loop BB163_88 Depth 3
                                        ;         Child Loop BB163_90 Depth 4
	s_lshl_b64 s[6:7], s[4:5], 2
	s_getpc_b64 s[8:9]
	s_add_u32 s8, s8, __const._ZL38rocblas_trsm_small_left_device_sharedBILi28ELi28ELb0E19rocblas_complex_numIfES1_PKS1_PS1_Ev13rocblas_fill_18rocblas_operation_17rocblas_diagonal_iiT3_T4_lilT5_lili.step_sizes@rel32@lo+4
	s_addc_u32 s9, s9, __const._ZL38rocblas_trsm_small_left_device_sharedBILi28ELi28ELb0E19rocblas_complex_numIfES1_PKS1_PS1_Ev13rocblas_fill_18rocblas_operation_17rocblas_diagonal_iiT3_T4_lilT5_lili.step_sizes@rel32@hi+12
	s_add_u32 s6, s6, s8
	s_addc_u32 s7, s7, s9
	s_load_dword s20, s[6:7], 0x0
	s_waitcnt lgkmcnt(0)
	s_add_i32 s30, s20, -1
	s_cmp_lt_i32 s15, s30
	s_cbranch_scc1 .LBB163_79
; %bb.81:                               ;   in Loop: Header=BB163_80 Depth=1
	s_max_i32 s31, s20, 1
	s_cmp_lg_u32 s4, 2
	s_cselect_b64 s[6:7], -1, 0
	s_and_b32 s34, s31, 0x7ffffffe
	s_cmp_lg_u32 s31, s34
	s_mul_i32 s10, s15, 0xe0
	s_cselect_b64 s[8:9], -1, 0
	v_add_u32_e32 v11, s10, v1
	s_lshl_b32 s10, s15, 3
	s_add_i32 s36, s14, s10
	s_lshl_b32 s10, s20, 3
	s_mul_i32 s35, s20, 0xffffff20
	s_sub_i32 s37, 0, s10
	s_mul_i32 s38, s15, 0xe8
	s_mul_i32 s39, s20, 0xffffff18
	s_branch .LBB163_83
.LBB163_82:                             ;   in Loop: Header=BB163_83 Depth=2
	s_sub_i32 s15, s15, s20
	s_add_i32 s36, s36, s37
	s_add_i32 s38, s38, s39
	s_cmp_lt_i32 s15, s30
	v_add_u32_e32 v11, s35, v11
	s_cbranch_scc1 .LBB163_79
.LBB163_83:                             ;   Parent Loop BB163_80 Depth=1
                                        ; =>  This Loop Header: Depth=2
                                        ;       Child Loop BB163_84 Depth 3
                                        ;       Child Loop BB163_95 Depth 3
                                        ;         Child Loop BB163_97 Depth 4
                                        ;         Child Loop BB163_103 Depth 4
                                        ;       Child Loop BB163_88 Depth 3
                                        ;         Child Loop BB163_90 Depth 4
	v_mov_b32_e32 v2, 0
	v_mov_b32_e32 v3, v11
	s_mov_b32 s10, s31
.LBB163_84:                             ;   Parent Loop BB163_80 Depth=1
                                        ;     Parent Loop BB163_83 Depth=2
                                        ; =>    This Inner Loop Header: Depth=3
	ds_read_b64 v[4:5], v3
	s_add_i32 s10, s10, -1
	v_add_u32_e32 v3, 0xffffff20, v3
	s_cmp_eq_u32 s10, 0
	s_waitcnt lgkmcnt(0)
	buffer_store_dword v5, v2, s[0:3], 0 offen offset:4
	buffer_store_dword v4, v2, s[0:3], 0 offen
	v_add_u32_e32 v2, 8, v2
	s_cbranch_scc0 .LBB163_84
; %bb.85:                               ;   in Loop: Header=BB163_83 Depth=2
	s_cmp_le_i32 s44, s15
	s_mov_b32 s40, s36
	s_mov_b32 s41, s44
	s_cbranch_scc0 .LBB163_95
.LBB163_86:                             ;   in Loop: Header=BB163_83 Depth=2
	s_mov_b32 s12, 0
	s_mov_b32 s13, s38
	s_branch .LBB163_88
.LBB163_87:                             ;   in Loop: Header=BB163_88 Depth=3
	s_mul_i32 s10, s40, 0xe8
	v_mov_b32_e32 v4, s10
	ds_read_b64 v[4:5], v4
	s_mul_i32 s10, s40, 28
	s_lshl_b32 s11, s12, 3
	s_add_i32 s12, s12, 1
	s_add_i32 s13, s13, -8
	s_waitcnt vmcnt(0) lgkmcnt(0)
	v_mul_f32_e32 v6, v5, v3
	v_mul_f32_e32 v7, v4, v3
	v_add_u32_e32 v8, s11, v10
	v_fma_f32 v6, v4, v2, -v6
	v_fmac_f32_e32 v7, v5, v2
	v_add_lshl_u32 v2, s10, v0, 3
	s_cmp_eq_u32 s12, s31
	buffer_store_dword v6, v8, s[0:3], 0 offen
	buffer_store_dword v7, v8, s[0:3], 0 offen offset:4
	ds_write_b64 v2, v[6:7] offset:6272
	s_cbranch_scc1 .LBB163_82
.LBB163_88:                             ;   Parent Loop BB163_80 Depth=1
                                        ;     Parent Loop BB163_83 Depth=2
                                        ; =>    This Loop Header: Depth=3
                                        ;         Child Loop BB163_90 Depth 4
	s_cmp_lg_u32 s12, 0
	s_cbranch_scc0 .LBB163_92
; %bb.89:                               ;   in Loop: Header=BB163_88 Depth=3
	s_lshl_b32 s10, s12, 3
	v_add_u32_e32 v4, s10, v10
	s_waitcnt lgkmcnt(0)
	buffer_load_dword v2, v4, s[0:3], 0 offen
	buffer_load_dword v3, v4, s[0:3], 0 offen offset:4
	v_mov_b32_e32 v5, 0
	s_mov_b32 s10, 0
	s_mov_b32 s11, s13
.LBB163_90:                             ;   Parent Loop BB163_80 Depth=1
                                        ;     Parent Loop BB163_83 Depth=2
                                        ;       Parent Loop BB163_88 Depth=3
                                        ; =>      This Inner Loop Header: Depth=4
	buffer_load_dword v7, v5, s[0:3], 0 offen offset:4
	buffer_load_dword v6, v5, s[0:3], 0 offen
	v_mov_b32_e32 v8, s11
	ds_read_b64 v[8:9], v8
	s_add_i32 s10, s10, 1
	s_addk_i32 s11, 0xff20
	v_add_u32_e32 v5, 8, v5
	s_cmp_ge_u32 s10, s12
	s_waitcnt vmcnt(1)
	v_mov_b32_e32 v12, v7
	s_waitcnt lgkmcnt(0)
	v_pk_mul_f32 v[12:13], v[8:9], v[12:13] op_sel_hi:[1,0]
	s_waitcnt vmcnt(0)
	v_pk_fma_f32 v[14:15], v[8:9], v[6:7], v[12:13] op_sel:[0,0,1] op_sel_hi:[1,1,0] neg_lo:[0,0,1] neg_hi:[0,0,1]
	v_pk_fma_f32 v[6:7], v[8:9], v[6:7], v[12:13] op_sel:[0,0,1] op_sel_hi:[1,0,0]
	v_mov_b32_e32 v15, v7
	v_pk_add_f32 v[2:3], v[2:3], v[14:15] neg_lo:[0,1] neg_hi:[0,1]
	buffer_store_dword v2, v4, s[0:3], 0 offen
	buffer_store_dword v3, v4, s[0:3], 0 offen offset:4
	s_cbranch_scc0 .LBB163_90
; %bb.91:                               ;   in Loop: Header=BB163_88 Depth=3
	s_sub_i32 s40, s15, s12
	s_branch .LBB163_87
.LBB163_92:                             ;   in Loop: Header=BB163_88 Depth=3
                                        ; implicit-def: $vgpr2
                                        ; implicit-def: $sgpr40
	s_cbranch_execz .LBB163_87
; %bb.93:                               ;   in Loop: Header=BB163_88 Depth=3
	s_waitcnt lgkmcnt(0)
	buffer_load_dword v2, off, s[0:3], 0
	buffer_load_dword v3, off, s[0:3], 0 offset:4
	s_mov_b32 s40, s15
	s_branch .LBB163_87
.LBB163_94:                             ;   in Loop: Header=BB163_95 Depth=3
	s_add_i32 s41, s41, -1
	s_addk_i32 s40, 0xff20
	s_cmp_le_i32 s41, s15
	s_cbranch_scc1 .LBB163_86
.LBB163_95:                             ;   Parent Loop BB163_80 Depth=1
                                        ;     Parent Loop BB163_83 Depth=2
                                        ; =>    This Loop Header: Depth=3
                                        ;         Child Loop BB163_97 Depth 4
                                        ;         Child Loop BB163_103 Depth 4
	s_mul_i32 s10, s41, 28
	s_waitcnt lgkmcnt(0)
	v_add_lshl_u32 v2, s10, v0, 3
	ds_read_b64 v[2:3], v2 offset:6272
	s_and_b64 vcc, exec, s[6:7]
	s_cbranch_vccz .LBB163_99
; %bb.96:                               ;   in Loop: Header=BB163_95 Depth=3
	s_add_i32 s10, s10, s15
	s_mov_b32 s11, s10
	s_waitcnt lgkmcnt(0)
	v_mov_b32_e32 v6, v2
	v_mov_b32_e32 v7, v2
	;; [unrolled: 1-line block ×6, first 2 shown]
	s_mov_b32 s12, 1
	s_mov_b32 s13, 0
	;; [unrolled: 1-line block ×3, first 2 shown]
.LBB163_97:                             ;   Parent Loop BB163_80 Depth=1
                                        ;     Parent Loop BB163_83 Depth=2
                                        ;       Parent Loop BB163_95 Depth=3
                                        ; =>      This Inner Loop Header: Depth=4
	buffer_load_dword v12, v5, s[0:3], 0 offen
	buffer_load_dword v14, v5, s[0:3], 0 offen offset:4
	buffer_load_dword v13, v5, s[0:3], 0 offen offset:8
	;; [unrolled: 1-line block ×3, first 2 shown]
	s_sub_i32 s43, s11, s12
	s_sub_i32 s47, s10, s13
	s_lshl_b32 s47, s47, 3
	s_lshl_b32 s43, s43, 3
	v_mov_b32_e32 v16, s47
	v_mov_b32_e32 v18, s43
	ds_read_b64 v[16:17], v16
	ds_read_b64 v[18:19], v18
	s_add_i32 s13, s13, 2
	s_add_i32 s12, s12, 2
	s_add_i32 s42, s42, -2
	s_waitcnt lgkmcnt(1)
	v_mov_b32_e32 v20, v16
	s_waitcnt lgkmcnt(0)
	v_mov_b32_e32 v21, v18
	v_mov_b32_e32 v18, v17
	v_pk_mul_f32 v[16:17], v[18:19], v[8:9]
	v_pk_mul_f32 v[18:19], v[18:19], v[6:7]
	v_pk_fma_f32 v[16:17], v[20:21], v[6:7], v[16:17] neg_lo:[0,0,1] neg_hi:[0,0,1]
	v_pk_fma_f32 v[18:19], v[20:21], v[8:9], v[18:19]
	s_cmp_lg_u32 s42, 0
	s_waitcnt vmcnt(1)
	v_pk_add_f32 v[12:13], v[12:13], v[16:17] neg_lo:[0,1] neg_hi:[0,1]
	s_waitcnt vmcnt(0)
	v_pk_add_f32 v[14:15], v[14:15], v[18:19] neg_lo:[0,1] neg_hi:[0,1]
	buffer_store_dword v12, v5, s[0:3], 0 offen
	buffer_store_dword v14, v5, s[0:3], 0 offen offset:4
	buffer_store_dword v13, v5, s[0:3], 0 offen offset:8
	;; [unrolled: 1-line block ×3, first 2 shown]
	v_add_u32_e32 v5, 16, v5
	s_cbranch_scc1 .LBB163_97
; %bb.98:                               ;   in Loop: Header=BB163_95 Depth=3
	s_mov_b64 s[10:11], s[8:9]
	s_mov_b32 s12, s34
	s_branch .LBB163_101
.LBB163_99:                             ;   in Loop: Header=BB163_95 Depth=3
	s_mov_b64 s[10:11], 0
                                        ; implicit-def: $vgpr4_vgpr5
	s_mov_b32 s12, s34
	s_cbranch_execz .LBB163_101
; %bb.100:                              ;   in Loop: Header=BB163_95 Depth=3
	s_waitcnt lgkmcnt(0)
	v_mov_b32_e32 v4, v3
	s_mov_b64 s[10:11], -1
	s_mov_b32 s12, 0
.LBB163_101:                            ;   in Loop: Header=BB163_95 Depth=3
	s_andn2_b64 vcc, exec, s[10:11]
	s_cbranch_vccnz .LBB163_94
; %bb.102:                              ;   in Loop: Header=BB163_95 Depth=3
	s_lshl_b32 s13, s12, 3
	s_waitcnt lgkmcnt(0)
	v_mov_b32_e32 v5, v3
	v_mov_b32_e32 v3, v2
	s_sub_i32 s10, s40, s13
	s_sub_i32 s11, s31, s12
	v_add_u32_e32 v6, s13, v10
.LBB163_103:                            ;   Parent Loop BB163_80 Depth=1
                                        ;     Parent Loop BB163_83 Depth=2
                                        ;       Parent Loop BB163_95 Depth=3
                                        ; =>      This Inner Loop Header: Depth=4
	buffer_load_dword v8, v6, s[0:3], 0 offen
	buffer_load_dword v9, v6, s[0:3], 0 offen offset:4
	v_mov_b32_e32 v7, s10
	ds_read_b64 v[12:13], v7
	s_add_i32 s10, s10, -8
	s_add_i32 s11, s11, -1
	s_cmp_eq_u32 s11, 0
	s_waitcnt lgkmcnt(0)
	v_pk_mul_f32 v[14:15], v[12:13], v[4:5]
	v_pk_fma_f32 v[16:17], v[12:13], v[2:3], v[14:15] op_sel:[0,0,1] op_sel_hi:[1,1,0] neg_lo:[0,0,1] neg_hi:[0,0,1]
	v_pk_fma_f32 v[12:13], v[12:13], v[2:3], v[14:15] op_sel:[0,0,1] op_sel_hi:[1,1,0]
	v_mov_b32_e32 v17, v13
	s_waitcnt vmcnt(0)
	v_pk_add_f32 v[8:9], v[8:9], v[16:17] neg_lo:[0,1] neg_hi:[0,1]
	buffer_store_dword v8, v6, s[0:3], 0 offen
	buffer_store_dword v9, v6, s[0:3], 0 offen offset:4
	v_add_u32_e32 v6, 8, v6
	s_cbranch_scc0 .LBB163_103
	s_branch .LBB163_94
.LBB163_104:
	s_waitcnt lgkmcnt(0)
	; wave barrier
	s_waitcnt lgkmcnt(0)
	s_and_saveexec_b64 s[4:5], s[28:29]
	s_cbranch_execz .LBB163_111
; %bb.105:
	s_cmp_lt_i32 s22, 8
	s_mov_b32 s4, 0
	s_cbranch_scc1 .LBB163_108
; %bb.106:
	v_mad_i64_i32 v[2:3], s[4:5], s21, v0, 0
	v_lshlrev_b64 v[2:3], 3, v[2:3]
	v_mov_b32_e32 v4, s46
	v_add_co_u32_e32 v1, vcc, s23, v2
	v_addc_co_u32_e32 v2, vcc, v4, v3, vcc
	v_mov_b32_e32 v3, 0x1880
	s_lshl_b32 s4, s33, 3
	v_lshl_add_u32 v3, v0, 3, v3
	s_and_b32 s5, s4, 0xc0
	s_mov_b32 s4, 0
	s_mov_b64 s[6:7], 0
.LBB163_107:                            ; =>This Inner Loop Header: Depth=1
	ds_read2_b64 v[4:7], v3 offset1:28
	ds_read2_b64 v[8:11], v3 offset0:56 offset1:84
	ds_read2_b64 v[12:15], v3 offset0:112 offset1:140
	;; [unrolled: 1-line block ×3, first 2 shown]
	s_add_i32 s4, s4, 8
	v_add_co_u32_e32 v20, vcc, s6, v1
	s_add_u32 s6, s6, 64
	v_mov_b32_e32 v21, s7
	s_addc_u32 s7, s7, 0
	v_add_u32_e32 v3, 0x700, v3
	v_addc_co_u32_e32 v21, vcc, v2, v21, vcc
	s_cmp_lg_u32 s5, s6
	s_waitcnt lgkmcnt(3)
	global_store_dwordx4 v[20:21], v[4:7], off
	s_waitcnt lgkmcnt(2)
	global_store_dwordx4 v[20:21], v[8:11], off offset:16
	s_waitcnt lgkmcnt(1)
	global_store_dwordx4 v[20:21], v[12:15], off offset:32
	;; [unrolled: 2-line block ×3, first 2 shown]
	s_cbranch_scc1 .LBB163_107
.LBB163_108:
	s_and_b32 s6, s33, 7
	s_cmp_eq_u32 s6, 0
	s_mov_b32 s5, 0
	s_cbranch_scc1 .LBB163_111
; %bb.109:
	s_lshl_b64 s[8:9], s[26:27], 3
	v_lshlrev_b32_e32 v1, 3, v0
	v_mov_b32_e32 v2, s9
	v_add_co_u32_e32 v1, vcc, s8, v1
	s_lshl_b64 s[8:9], s[4:5], 3
	s_add_u32 s5, s18, s8
	s_addc_u32 s7, s19, s9
	s_add_u32 s5, s5, s24
	s_addc_u32 s7, s7, s25
	;; [unrolled: 2-line block ×3, first 2 shown]
	v_addc_co_u32_e32 v4, vcc, 0, v2, vcc
	v_pk_mov_b32 v[2:3], s[8:9], s[8:9] op_sel:[0,1]
	s_mulk_i32 s4, 0xe0
	v_mad_u64_u32 v[2:3], s[8:9], v1, s21, v[2:3]
	v_mul_lo_u32 v1, v1, s45
	v_mul_lo_u32 v4, v4, s21
	v_lshl_add_u32 v0, v0, 3, s4
	v_add3_u32 v3, v4, v3, v1
	v_add_u32_e32 v0, 0x1880, v0
.LBB163_110:                            ; =>This Inner Loop Header: Depth=1
	ds_read_b64 v[4:5], v0
	s_add_i32 s6, s6, -1
	v_add_u32_e32 v0, 0xe0, v0
	s_cmp_lg_u32 s6, 0
	s_waitcnt lgkmcnt(0)
	global_store_dwordx2 v[2:3], v[4:5], off
	v_add_co_u32_e32 v2, vcc, 8, v2
	v_addc_co_u32_e32 v3, vcc, 0, v3, vcc
	s_cbranch_scc1 .LBB163_110
.LBB163_111:
	s_endpgm
	.section	.rodata,"a",@progbits
	.p2align	6, 0x0
	.amdhsa_kernel _ZL38rocblas_trsm_small_left_device_sharedBILi28ELi28ELb0E19rocblas_complex_numIfES1_PKS1_PS1_Ev13rocblas_fill_18rocblas_operation_17rocblas_diagonal_iiT3_T4_lilT5_lili
		.amdhsa_group_segment_fixed_size 12544
		.amdhsa_private_segment_fixed_size 240
		.amdhsa_kernarg_size 360
		.amdhsa_user_sgpr_count 8
		.amdhsa_user_sgpr_private_segment_buffer 1
		.amdhsa_user_sgpr_dispatch_ptr 0
		.amdhsa_user_sgpr_queue_ptr 0
		.amdhsa_user_sgpr_kernarg_segment_ptr 1
		.amdhsa_user_sgpr_dispatch_id 0
		.amdhsa_user_sgpr_flat_scratch_init 1
		.amdhsa_user_sgpr_kernarg_preload_length 0
		.amdhsa_user_sgpr_kernarg_preload_offset 0
		.amdhsa_user_sgpr_private_segment_size 0
		.amdhsa_uses_dynamic_stack 0
		.amdhsa_system_sgpr_private_segment_wavefront_offset 1
		.amdhsa_system_sgpr_workgroup_id_x 1
		.amdhsa_system_sgpr_workgroup_id_y 0
		.amdhsa_system_sgpr_workgroup_id_z 1
		.amdhsa_system_sgpr_workgroup_info 0
		.amdhsa_system_vgpr_workitem_id 0
		.amdhsa_next_free_vgpr 43
		.amdhsa_next_free_sgpr 54
		.amdhsa_accum_offset 44
		.amdhsa_reserve_vcc 1
		.amdhsa_reserve_flat_scratch 0
		.amdhsa_float_round_mode_32 0
		.amdhsa_float_round_mode_16_64 0
		.amdhsa_float_denorm_mode_32 3
		.amdhsa_float_denorm_mode_16_64 3
		.amdhsa_dx10_clamp 1
		.amdhsa_ieee_mode 1
		.amdhsa_fp16_overflow 0
		.amdhsa_tg_split 0
		.amdhsa_exception_fp_ieee_invalid_op 0
		.amdhsa_exception_fp_denorm_src 0
		.amdhsa_exception_fp_ieee_div_zero 0
		.amdhsa_exception_fp_ieee_overflow 0
		.amdhsa_exception_fp_ieee_underflow 0
		.amdhsa_exception_fp_ieee_inexact 0
		.amdhsa_exception_int_div_zero 0
	.end_amdhsa_kernel
	.section	.text._ZL38rocblas_trsm_small_left_device_sharedBILi28ELi28ELb0E19rocblas_complex_numIfES1_PKS1_PS1_Ev13rocblas_fill_18rocblas_operation_17rocblas_diagonal_iiT3_T4_lilT5_lili,"axG",@progbits,_ZL38rocblas_trsm_small_left_device_sharedBILi28ELi28ELb0E19rocblas_complex_numIfES1_PKS1_PS1_Ev13rocblas_fill_18rocblas_operation_17rocblas_diagonal_iiT3_T4_lilT5_lili,comdat
.Lfunc_end163:
	.size	_ZL38rocblas_trsm_small_left_device_sharedBILi28ELi28ELb0E19rocblas_complex_numIfES1_PKS1_PS1_Ev13rocblas_fill_18rocblas_operation_17rocblas_diagonal_iiT3_T4_lilT5_lili, .Lfunc_end163-_ZL38rocblas_trsm_small_left_device_sharedBILi28ELi28ELb0E19rocblas_complex_numIfES1_PKS1_PS1_Ev13rocblas_fill_18rocblas_operation_17rocblas_diagonal_iiT3_T4_lilT5_lili
                                        ; -- End function
	.section	.AMDGPU.csdata,"",@progbits
; Kernel info:
; codeLenInByte = 5364
; NumSgprs: 58
; NumVgprs: 43
; NumAgprs: 0
; TotalNumVgprs: 43
; ScratchSize: 240
; MemoryBound: 0
; FloatMode: 240
; IeeeMode: 1
; LDSByteSize: 12544 bytes/workgroup (compile time only)
; SGPRBlocks: 7
; VGPRBlocks: 5
; NumSGPRsForWavesPerEU: 58
; NumVGPRsForWavesPerEU: 43
; AccumOffset: 44
; Occupancy: 2
; WaveLimiterHint : 0
; COMPUTE_PGM_RSRC2:SCRATCH_EN: 1
; COMPUTE_PGM_RSRC2:USER_SGPR: 8
; COMPUTE_PGM_RSRC2:TRAP_HANDLER: 0
; COMPUTE_PGM_RSRC2:TGID_X_EN: 1
; COMPUTE_PGM_RSRC2:TGID_Y_EN: 0
; COMPUTE_PGM_RSRC2:TGID_Z_EN: 1
; COMPUTE_PGM_RSRC2:TIDIG_COMP_CNT: 0
; COMPUTE_PGM_RSRC3_GFX90A:ACCUM_OFFSET: 10
; COMPUTE_PGM_RSRC3_GFX90A:TG_SPLIT: 0
	.section	.text._ZL30rocblas_trsm_small_left_deviceILi28ELi28ELb0E19rocblas_complex_numIfES1_PKS1_PS1_Ev13rocblas_fill_18rocblas_operation_17rocblas_diagonal_iiT3_T4_lilT5_lili,"axG",@progbits,_ZL30rocblas_trsm_small_left_deviceILi28ELi28ELb0E19rocblas_complex_numIfES1_PKS1_PS1_Ev13rocblas_fill_18rocblas_operation_17rocblas_diagonal_iiT3_T4_lilT5_lili,comdat
	.globl	_ZL30rocblas_trsm_small_left_deviceILi28ELi28ELb0E19rocblas_complex_numIfES1_PKS1_PS1_Ev13rocblas_fill_18rocblas_operation_17rocblas_diagonal_iiT3_T4_lilT5_lili ; -- Begin function _ZL30rocblas_trsm_small_left_deviceILi28ELi28ELb0E19rocblas_complex_numIfES1_PKS1_PS1_Ev13rocblas_fill_18rocblas_operation_17rocblas_diagonal_iiT3_T4_lilT5_lili
	.p2align	8
	.type	_ZL30rocblas_trsm_small_left_deviceILi28ELi28ELb0E19rocblas_complex_numIfES1_PKS1_PS1_Ev13rocblas_fill_18rocblas_operation_17rocblas_diagonal_iiT3_T4_lilT5_lili,@function
_ZL30rocblas_trsm_small_left_deviceILi28ELi28ELb0E19rocblas_complex_numIfES1_PKS1_PS1_Ev13rocblas_fill_18rocblas_operation_17rocblas_diagonal_iiT3_T4_lilT5_lili: ; @_ZL30rocblas_trsm_small_left_deviceILi28ELi28ELb0E19rocblas_complex_numIfES1_PKS1_PS1_Ev13rocblas_fill_18rocblas_operation_17rocblas_diagonal_iiT3_T4_lilT5_lili
; %bb.0:
	s_add_u32 s0, s0, s10
	s_load_dwordx4 s[16:19], s[4:5], 0x4
	s_load_dwordx2 s[24:25], s[4:5], 0x14
	s_load_dwordx4 s[12:15], s[4:5], 0x38
	s_load_dwordx2 s[26:27], s[4:5], 0x48
	s_load_dword s43, s[4:5], 0x68
	s_addc_u32 s1, s1, 0
	s_waitcnt lgkmcnt(0)
	s_min_i32 s42, s18, 28
	s_mov_b32 s44, 0
	s_add_i32 s33, s42, -1
	v_cmp_gt_i32_e32 vcc, s42, v0
	s_and_saveexec_b64 s[28:29], vcc
	s_cbranch_execz .LBB164_35
; %bb.1:
	s_load_dword s30, s[4:5], 0x30
	s_load_dwordx4 s[20:23], s[4:5], 0x20
	s_mul_i32 s6, s9, s13
	s_mul_hi_u32 s7, s9, s12
	s_mul_i32 s12, s9, s12
	s_waitcnt lgkmcnt(0)
	s_ashr_i32 s31, s30, 31
	s_cmpk_lg_i32 s16, 0x71
	s_cselect_b64 s[34:35], -1, 0
	s_add_i32 s13, s7, s6
	v_cndmask_b32_e64 v2, 0, 1, s[34:35]
	s_cmp_lt_u32 s33, 3
	v_lshlrev_b32_e32 v1, 3, v0
	v_cmp_ne_u32_e64 s[6:7], 1, v2
	s_cbranch_scc1 .LBB164_20
; %bb.2:
	s_lshl_b64 s[10:11], s[12:13], 3
	s_add_u32 s18, s20, s10
	s_addc_u32 s36, s21, s11
	s_lshl_b64 s[10:11], s[22:23], 3
	s_add_u32 s10, s18, s10
	s_addc_u32 s11, s36, s11
	v_mov_b32_e32 v3, s11
	v_add_co_u32_e32 v2, vcc, s10, v1
	s_mul_hi_i32 s10, s30, 24
	s_lshl_b64 s[36:37], s[30:31], 5
	s_lshl_b64 s[38:39], s[30:31], 4
	;; [unrolled: 1-line block ×3, first 2 shown]
	v_addc_co_u32_e32 v3, vcc, 0, v3, vcc
	s_and_b32 s44, s42, -4
	s_mul_i32 s18, s30, 24
	s_mov_b32 s45, 0
	v_mov_b32_e32 v8, s41
	v_mov_b32_e32 v9, s39
	;; [unrolled: 1-line block ×5, first 2 shown]
	s_branch .LBB164_4
.LBB164_3:                              ;   in Loop: Header=BB164_4 Depth=1
	global_load_dword v4, v[6:7], off
	s_add_i32 s45, s45, 4
	v_add_co_u32_e32 v2, vcc, s36, v2
	v_addc_co_u32_e32 v3, vcc, v3, v11, vcc
	s_cmp_eq_u32 s44, s45
	s_waitcnt vmcnt(0)
	ds_write_b64 v12, v[4:5] offset:672
	v_add_u32_e32 v12, 0x380, v12
	s_cbranch_scc1 .LBB164_20
.LBB164_4:                              ; =>This Inner Loop Header: Depth=1
	s_and_b64 vcc, exec, s[34:35]
	s_cbranch_vccz .LBB164_6
; %bb.5:                                ;   in Loop: Header=BB164_4 Depth=1
	global_load_dword v5, v[2:3], off offset:4
	s_cbranch_execz .LBB164_7
	s_branch .LBB164_8
.LBB164_6:                              ;   in Loop: Header=BB164_4 Depth=1
                                        ; implicit-def: $vgpr5
.LBB164_7:                              ;   in Loop: Header=BB164_4 Depth=1
	global_load_dword v4, v[2:3], off offset:4
	s_waitcnt vmcnt(0)
	v_xor_b32_e32 v5, 0x80000000, v4
.LBB164_8:                              ;   in Loop: Header=BB164_4 Depth=1
	global_load_dword v4, v[2:3], off
	v_add_co_u32_e64 v6, s[10:11], s40, v2
	s_and_b64 vcc, exec, s[6:7]
	v_addc_co_u32_e64 v7, s[10:11], v3, v8, s[10:11]
	s_waitcnt vmcnt(0)
	ds_write_b64 v12, v[4:5]
	s_cbranch_vccnz .LBB164_10
; %bb.9:                                ;   in Loop: Header=BB164_4 Depth=1
	global_load_dword v5, v[6:7], off offset:4
	s_cbranch_execz .LBB164_11
	s_branch .LBB164_12
.LBB164_10:                             ;   in Loop: Header=BB164_4 Depth=1
                                        ; implicit-def: $vgpr5
.LBB164_11:                             ;   in Loop: Header=BB164_4 Depth=1
	global_load_dword v4, v[6:7], off offset:4
	s_waitcnt vmcnt(0)
	v_xor_b32_e32 v5, 0x80000000, v4
.LBB164_12:                             ;   in Loop: Header=BB164_4 Depth=1
	global_load_dword v4, v[6:7], off
	v_add_co_u32_e64 v6, s[10:11], s38, v2
	s_and_b64 vcc, exec, s[6:7]
	v_addc_co_u32_e64 v7, s[10:11], v3, v9, s[10:11]
	s_waitcnt vmcnt(0)
	ds_write_b64 v12, v[4:5] offset:224
	s_cbranch_vccnz .LBB164_14
; %bb.13:                               ;   in Loop: Header=BB164_4 Depth=1
	global_load_dword v5, v[6:7], off offset:4
	s_cbranch_execz .LBB164_15
	s_branch .LBB164_16
.LBB164_14:                             ;   in Loop: Header=BB164_4 Depth=1
                                        ; implicit-def: $vgpr5
.LBB164_15:                             ;   in Loop: Header=BB164_4 Depth=1
	global_load_dword v4, v[6:7], off offset:4
	s_waitcnt vmcnt(0)
	v_xor_b32_e32 v5, 0x80000000, v4
.LBB164_16:                             ;   in Loop: Header=BB164_4 Depth=1
	global_load_dword v4, v[6:7], off
	v_add_co_u32_e64 v6, s[10:11], s18, v2
	s_and_b64 vcc, exec, s[6:7]
	v_addc_co_u32_e64 v7, s[10:11], v3, v10, s[10:11]
	s_waitcnt vmcnt(0)
	ds_write_b64 v12, v[4:5] offset:448
	s_cbranch_vccnz .LBB164_18
; %bb.17:                               ;   in Loop: Header=BB164_4 Depth=1
	global_load_dword v5, v[6:7], off offset:4
	s_cbranch_execnz .LBB164_3
	s_branch .LBB164_19
.LBB164_18:                             ;   in Loop: Header=BB164_4 Depth=1
                                        ; implicit-def: $vgpr5
.LBB164_19:                             ;   in Loop: Header=BB164_4 Depth=1
	global_load_dword v4, v[6:7], off offset:4
	s_waitcnt vmcnt(0)
	v_xor_b32_e32 v5, 0x80000000, v4
	s_branch .LBB164_3
.LBB164_20:
	s_and_b32 s18, s42, 3
	s_cmp_eq_u32 s18, 0
	s_cbranch_scc1 .LBB164_27
; %bb.21:
	s_mul_i32 s10, s44, 0xe0
	v_lshl_add_u32 v6, v0, 3, s10
	s_lshl_b64 s[10:11], s[12:13], 3
	s_mul_i32 s12, s31, s44
	s_mul_hi_u32 s13, s30, s44
	s_add_i32 s13, s13, s12
	s_mul_i32 s12, s30, s44
	s_lshl_b64 s[12:13], s[12:13], 3
	s_add_u32 s12, s10, s12
	s_addc_u32 s13, s11, s13
	s_lshl_b64 s[10:11], s[22:23], 3
	s_add_u32 s10, s12, s10
	s_addc_u32 s11, s13, s11
	s_add_u32 s10, s20, s10
	s_addc_u32 s11, s21, s11
	v_mov_b32_e32 v2, s11
	v_add_co_u32_e32 v1, vcc, s10, v1
	v_addc_co_u32_e32 v3, vcc, 0, v2, vcc
	v_add_co_u32_e32 v2, vcc, 4, v1
	s_lshl_b64 s[10:11], s[30:31], 3
	v_addc_co_u32_e32 v3, vcc, 0, v3, vcc
	v_mov_b32_e32 v1, s11
	s_branch .LBB164_23
.LBB164_22:                             ;   in Loop: Header=BB164_23 Depth=1
	global_load_dword v4, v[2:3], off offset:-4
	s_add_i32 s18, s18, -1
	v_add_co_u32_e32 v2, vcc, s10, v2
	s_cmp_lg_u32 s18, 0
	v_addc_co_u32_e32 v3, vcc, v3, v1, vcc
	s_waitcnt vmcnt(0)
	ds_write_b64 v6, v[4:5]
	v_add_u32_e32 v6, 0xe0, v6
	s_cbranch_scc0 .LBB164_27
.LBB164_23:                             ; =>This Inner Loop Header: Depth=1
	s_and_b64 vcc, exec, s[6:7]
	s_cbranch_vccnz .LBB164_25
; %bb.24:                               ;   in Loop: Header=BB164_23 Depth=1
	global_load_dword v5, v[2:3], off
	s_cbranch_execnz .LBB164_22
	s_branch .LBB164_26
.LBB164_25:                             ;   in Loop: Header=BB164_23 Depth=1
                                        ; implicit-def: $vgpr5
.LBB164_26:                             ;   in Loop: Header=BB164_23 Depth=1
	global_load_dword v4, v[2:3], off
	s_waitcnt vmcnt(0)
	v_xor_b32_e32 v5, 0x80000000, v4
	s_branch .LBB164_22
.LBB164_27:
	v_mul_u32_u24_e32 v1, 29, v0
	s_cmpk_lg_i32 s17, 0x84
	v_lshlrev_b32_e32 v1, 3, v1
	s_mov_b64 s[6:7], -1
	s_cbranch_scc0 .LBB164_33
; %bb.28:
	ds_read_b64 v[2:3], v1
	s_mov_b32 s6, 0
	s_waitcnt lgkmcnt(0)
	v_cmp_gt_f32_e32 vcc, 0, v3
	v_cndmask_b32_e64 v4, v3, -v3, vcc
	v_cmp_gt_f32_e32 vcc, 0, v2
	v_cndmask_b32_e64 v5, v2, -v2, vcc
	v_cmp_ngt_f32_e32 vcc, v5, v4
                                        ; implicit-def: $vgpr4_vgpr5
	s_and_saveexec_b64 s[10:11], vcc
	s_xor_b64 s[10:11], exec, s[10:11]
	s_cbranch_execz .LBB164_30
; %bb.29:
	v_div_scale_f32 v4, s[12:13], v3, v3, v2
	v_rcp_f32_e32 v5, v4
	v_div_scale_f32 v6, vcc, v2, v3, v2
	s_mov_b32 s7, -1.0
	v_fma_f32 v7, -v4, v5, 1.0
	v_fmac_f32_e32 v5, v7, v5
	v_mul_f32_e32 v7, v6, v5
	v_fma_f32 v8, -v4, v7, v6
	v_fmac_f32_e32 v7, v8, v5
	v_fma_f32 v4, -v4, v7, v6
	v_div_fmas_f32 v4, v4, v5, v7
	v_div_fixup_f32 v4, v4, v3, v2
	v_fmac_f32_e32 v3, v2, v4
	v_div_scale_f32 v2, s[12:13], v3, v3, 1.0
	v_rcp_f32_e32 v5, v2
	v_fma_f32 v6, -v2, v5, 1.0
	v_fmac_f32_e32 v5, v6, v5
	v_div_scale_f32 v6, vcc, 1.0, v3, 1.0
	v_mul_f32_e32 v7, v6, v5
	v_fma_f32 v8, -v2, v7, v6
	v_fmac_f32_e32 v7, v8, v5
	v_fma_f32 v2, -v2, v7, v6
	v_div_fmas_f32 v2, v2, v5, v7
	v_mul_f32_e32 v5, 0, v4
	v_div_fixup_f32 v2, v2, v3, 1.0
	v_pk_add_f32 v[4:5], v[4:5], s[6:7]
	v_pk_mul_f32 v[4:5], v[4:5], v[2:3] op_sel_hi:[1,0]
                                        ; implicit-def: $vgpr2_vgpr3
.LBB164_30:
	s_andn2_saveexec_b64 s[6:7], s[10:11]
	s_cbranch_execz .LBB164_32
; %bb.31:
	v_div_scale_f32 v4, s[10:11], v2, v2, v3
	v_rcp_f32_e32 v5, v4
	v_div_scale_f32 v6, vcc, v3, v2, v3
	v_fma_f32 v7, -v4, v5, 1.0
	v_fmac_f32_e32 v5, v7, v5
	v_mul_f32_e32 v7, v6, v5
	v_fma_f32 v8, -v4, v7, v6
	v_fmac_f32_e32 v7, v8, v5
	v_fma_f32 v4, -v4, v7, v6
	v_div_fmas_f32 v4, v4, v5, v7
	v_div_fixup_f32 v5, v4, v2, v3
	v_fmac_f32_e32 v2, v3, v5
	v_div_scale_f32 v3, s[10:11], v2, v2, 1.0
	v_rcp_f32_e32 v4, v3
	s_mov_b32 s10, 1.0
	s_mov_b32 s11, 0
	v_fma_f32 v6, -v3, v4, 1.0
	v_fmac_f32_e32 v4, v6, v4
	v_div_scale_f32 v6, vcc, 1.0, v2, 1.0
	v_mul_f32_e32 v7, v6, v4
	v_fma_f32 v8, -v3, v7, v6
	v_fmac_f32_e32 v7, v8, v4
	v_fma_f32 v3, -v3, v7, v6
	v_div_fmas_f32 v3, v3, v4, v7
	v_mul_f32_e32 v4, 0, v5
	v_pk_add_f32 v[6:7], v[4:5], s[10:11]
	v_pk_add_f32 v[4:5], v[4:5], s[10:11] neg_lo:[1,0] neg_hi:[1,0]
	v_div_fixup_f32 v2, v3, v2, 1.0
	v_mov_b32_e32 v7, v5
	v_pk_mul_f32 v[4:5], v[6:7], v[2:3] op_sel_hi:[1,0]
.LBB164_32:
	s_or_b64 exec, exec, s[6:7]
	s_mov_b64 s[6:7], 0
	ds_write_b64 v1, v[4:5]
.LBB164_33:
	s_and_b64 vcc, exec, s[6:7]
	s_cbranch_vccz .LBB164_35
; %bb.34:
	v_mov_b32_e32 v2, 1.0
	v_mov_b32_e32 v3, 0
	ds_write_b64 v1, v[2:3]
.LBB164_35:
	s_or_b64 exec, exec, s[28:29]
	s_mul_i32 s6, s8, 0xffffffe4
	s_add_i32 s43, s43, -1
	s_add_i32 s6, s6, s19
	s_cmp_ge_u32 s8, s43
	s_cselect_b32 s6, s6, 28
	v_cmp_gt_i32_e32 vcc, s6, v0
	s_waitcnt lgkmcnt(0)
	; wave barrier
	s_waitcnt lgkmcnt(0)
	s_and_saveexec_b64 s[6:7], vcc
	s_cbranch_execz .LBB164_102
; %bb.36:
	s_load_dwordx2 s[6:7], s[4:5], 0x58
	s_load_dword s12, s[4:5], 0x50
	s_waitcnt lgkmcnt(0)
	s_mul_i32 s5, s9, s7
	s_mul_hi_u32 s7, s9, s6
	s_mul_i32 s4, s9, s6
	s_add_i32 s5, s7, s5
	s_lshl_b64 s[6:7], s[4:5], 3
	s_add_u32 s4, s14, s6
	s_addc_u32 s5, s15, s7
	s_lshl_b64 s[10:11], s[26:27], 3
	s_add_u32 s9, s4, s10
	s_addc_u32 s13, s5, s11
	v_mad_u64_u32 v[0:1], s[4:5], s8, 28, v[0:1]
	v_mad_i64_i32 v[0:1], s[4:5], s12, v0, 0
	v_lshlrev_b64 v[0:1], 3, v[0:1]
	v_mov_b32_e32 v2, s13
	v_add_co_u32_e32 v10, vcc, s9, v0
	v_addc_co_u32_e32 v11, vcc, v2, v1, vcc
	s_cmpk_eq_i32 s16, 0x6f
	s_mov_b64 s[4:5], -1
	s_cbranch_scc1 .LBB164_70
; %bb.37:
	s_add_u32 s4, s14, s10
	s_addc_u32 s5, s15, s11
	s_add_u32 s4, s4, s6
	s_addc_u32 s5, s5, s7
	v_mov_b32_e32 v2, s5
	v_add_co_u32_e32 v3, vcc, s4, v0
	v_addc_co_u32_e32 v2, vcc, v2, v1, vcc
	v_add_co_u32_e32 v12, vcc, 4, v3
	s_mov_b32 s17, 0
	s_mov_b32 s8, s24
	;; [unrolled: 1-line block ×5, first 2 shown]
	v_addc_co_u32_e32 v13, vcc, 0, v2, vcc
	v_mov_b32_e32 v14, 0
	s_mov_b32 s16, s17
	s_mov_b32 s28, s17
	s_branch .LBB164_39
.LBB164_38:                             ;   in Loop: Header=BB164_39 Depth=1
	s_cmp_ge_i32 s28, s42
	s_cselect_b64 s[4:5], -1, 0
	s_add_i32 s16, s16, 1
	s_cmp_eq_u32 s16, 3
	s_cselect_b64 s[18:19], -1, 0
	s_or_b64 s[4:5], s[4:5], s[18:19]
	s_andn2_b64 vcc, exec, s[4:5]
	s_cbranch_vccz .LBB164_69
.LBB164_39:                             ; =>This Loop Header: Depth=1
                                        ;     Child Loop BB164_42 Depth 2
                                        ;       Child Loop BB164_44 Depth 3
                                        ;       Child Loop BB164_48 Depth 3
	;; [unrolled: 1-line block ×3, first 2 shown]
                                        ;         Child Loop BB164_54 Depth 4
                                        ;         Child Loop BB164_60 Depth 4
                                        ;       Child Loop BB164_63 Depth 3
                                        ;         Child Loop BB164_65 Depth 4
	s_lshl_b64 s[4:5], s[16:17], 2
	s_getpc_b64 s[18:19]
	s_add_u32 s18, s18, __const._ZL30rocblas_trsm_small_left_deviceILi28ELi28ELb0E19rocblas_complex_numIfES1_PKS1_PS1_Ev13rocblas_fill_18rocblas_operation_17rocblas_diagonal_iiT3_T4_lilT5_lili.step_sizes@rel32@lo+4
	s_addc_u32 s19, s19, __const._ZL30rocblas_trsm_small_left_deviceILi28ELi28ELb0E19rocblas_complex_numIfES1_PKS1_PS1_Ev13rocblas_fill_18rocblas_operation_17rocblas_diagonal_iiT3_T4_lilT5_lili.step_sizes@rel32@hi+12
	s_add_u32 s4, s4, s18
	s_addc_u32 s5, s5, s19
	s_load_dword s29, s[4:5], 0x0
	s_waitcnt lgkmcnt(0)
	s_add_i32 s30, s29, -1
	s_add_i32 s4, s30, s28
	s_cmp_ge_i32 s4, s42
	s_cbranch_scc1 .LBB164_38
; %bb.40:                               ;   in Loop: Header=BB164_39 Depth=1
	s_max_i32 s31, s29, 1
	s_cmp_lg_u32 s16, 2
	s_cselect_b64 s[18:19], -1, 0
	s_and_b32 s34, s31, 0x7ffffffe
	s_cmp_lg_u32 s31, s34
	s_cselect_b64 s[20:21], -1, 0
	s_ashr_i32 s35, s28, 31
	s_ashr_i32 s36, s29, 31
	s_mul_i32 s37, s28, 0xe8
	s_mul_i32 s38, s29, 0xe8
	s_branch .LBB164_42
.LBB164_41:                             ;   in Loop: Header=BB164_42 Depth=2
	s_add_u32 s28, s28, s29
	s_addc_u32 s35, s35, s36
	s_add_i32 s4, s30, s28
	s_add_i32 s37, s37, s38
	s_cmp_ge_i32 s4, s42
	s_cbranch_scc1 .LBB164_38
.LBB164_42:                             ;   Parent Loop BB164_39 Depth=1
                                        ; =>  This Loop Header: Depth=2
                                        ;       Child Loop BB164_44 Depth 3
                                        ;       Child Loop BB164_48 Depth 3
                                        ;       Child Loop BB164_52 Depth 3
                                        ;         Child Loop BB164_54 Depth 4
                                        ;         Child Loop BB164_60 Depth 4
                                        ;       Child Loop BB164_63 Depth 3
                                        ;         Child Loop BB164_65 Depth 4
	s_and_b64 vcc, exec, s[18:19]
	s_cbranch_vccz .LBB164_46
; %bb.43:                               ;   in Loop: Header=BB164_42 Depth=2
	v_mov_b32_e32 v2, 0
	s_mov_b32 s22, s28
	s_mov_b32 s23, s28
	;; [unrolled: 1-line block ×5, first 2 shown]
.LBB164_44:                             ;   Parent Loop BB164_39 Depth=1
                                        ;     Parent Loop BB164_42 Depth=2
                                        ; =>    This Inner Loop Header: Depth=3
	s_add_i32 s4, s27, s22
	s_add_i32 s40, s26, s23
	s_ashr_i32 s5, s4, 31
	s_ashr_i32 s41, s40, 31
	s_lshl_b64 s[4:5], s[4:5], 3
	s_lshl_b64 s[40:41], s[40:41], 3
	v_mov_b32_e32 v3, s5
	v_add_co_u32_e64 v6, s[4:5], s4, v10
	v_mov_b32_e32 v5, s41
	v_add_co_u32_e32 v4, vcc, s40, v10
	v_addc_co_u32_e64 v7, s[4:5], v11, v3, s[4:5]
	v_addc_co_u32_e32 v5, vcc, v11, v5, vcc
	global_load_dwordx2 v[8:9], v[6:7], off
	global_load_dwordx2 v[16:17], v[4:5], off
	s_add_i32 s27, s27, 2
	s_add_i32 s26, s26, 2
	s_add_i32 s39, s39, -2
	s_mov_b32 s40, s34
	s_mov_b64 s[4:5], s[20:21]
	s_cmp_lg_u32 s39, 0
	s_waitcnt vmcnt(1)
	v_mov_b32_e32 v4, v8
	s_waitcnt vmcnt(0)
	v_mov_b32_e32 v5, v16
	v_mov_b32_e32 v16, v9
	v_pk_mul_f32 v[6:7], v[16:17], s[12:13]
	v_pk_mul_f32 v[8:9], v[16:17], s[8:9]
	v_pk_fma_f32 v[6:7], v[4:5], s[8:9], v[6:7] neg_lo:[0,0,1] neg_hi:[0,0,1]
	v_pk_fma_f32 v[4:5], v[4:5], s[12:13], v[8:9]
	buffer_store_dword v4, v2, s[0:3], 0 offen offset:4
	buffer_store_dword v6, v2, s[0:3], 0 offen
	buffer_store_dword v5, v2, s[0:3], 0 offen offset:12
	buffer_store_dword v7, v2, s[0:3], 0 offen offset:8
	v_add_u32_e32 v2, 16, v2
	s_cbranch_scc1 .LBB164_44
; %bb.45:                               ;   in Loop: Header=BB164_42 Depth=2
	s_and_b64 vcc, exec, s[4:5]
	s_cbranch_vccnz .LBB164_47
	s_branch .LBB164_49
.LBB164_46:                             ;   in Loop: Header=BB164_42 Depth=2
	s_mov_b32 s40, 0
	s_cbranch_execz .LBB164_49
.LBB164_47:                             ;   in Loop: Header=BB164_42 Depth=2
	s_sub_i32 s4, s31, s40
	s_add_u32 s22, s28, s40
	s_addc_u32 s23, s35, 0
	s_lshl_b64 s[22:23], s[22:23], 3
	v_mov_b32_e32 v3, s23
	v_add_co_u32_e32 v2, vcc, s22, v12
	s_lshl_b32 s5, s40, 3
	v_addc_co_u32_e32 v3, vcc, v13, v3, vcc
	v_add_u32_e32 v4, s5, v14
.LBB164_48:                             ;   Parent Loop BB164_39 Depth=1
                                        ;     Parent Loop BB164_42 Depth=2
                                        ; =>    This Inner Loop Header: Depth=3
	global_load_dwordx2 v[6:7], v[2:3], off offset:-4
	s_add_i32 s4, s4, -1
	v_add_co_u32_e32 v2, vcc, 8, v2
	v_addc_co_u32_e32 v3, vcc, 0, v3, vcc
	s_cmp_eq_u32 s4, 0
	s_waitcnt vmcnt(0)
	v_mul_f32_e32 v5, s25, v7
	v_mul_f32_e32 v7, s24, v7
	v_fma_f32 v5, v6, s24, -v5
	v_fmac_f32_e32 v7, s25, v6
	buffer_store_dword v5, v4, s[0:3], 0 offen
	buffer_store_dword v7, v4, s[0:3], 0 offen offset:4
	v_add_u32_e32 v4, 8, v4
	s_cbranch_scc0 .LBB164_48
.LBB164_49:                             ;   in Loop: Header=BB164_42 Depth=2
	s_cmp_lt_i32 s28, 1
	s_cbranch_scc1 .LBB164_61
; %bb.50:                               ;   in Loop: Header=BB164_42 Depth=2
	s_mov_b32 s39, s28
	s_mov_b32 s40, s28
	;; [unrolled: 1-line block ×4, first 2 shown]
	s_branch .LBB164_52
.LBB164_51:                             ;   in Loop: Header=BB164_52 Depth=3
	s_add_i32 s4, s4, 1
	s_add_i32 s41, s41, 8
	s_cmp_ge_i32 s4, s28
	s_cbranch_scc1 .LBB164_61
.LBB164_52:                             ;   Parent Loop BB164_39 Depth=1
                                        ;     Parent Loop BB164_42 Depth=2
                                        ; =>    This Loop Header: Depth=3
                                        ;         Child Loop BB164_54 Depth 4
                                        ;         Child Loop BB164_60 Depth 4
	s_mov_b32 s5, s17
	s_lshl_b64 s[22:23], s[4:5], 3
	s_waitcnt vmcnt(0)
	v_mov_b32_e32 v3, s23
	v_add_co_u32_e32 v2, vcc, s22, v10
	v_addc_co_u32_e32 v3, vcc, v11, v3, vcc
	global_load_dwordx2 v[2:3], v[2:3], off
	s_and_b64 vcc, exec, s[18:19]
	s_cbranch_vccz .LBB164_56
; %bb.53:                               ;   in Loop: Header=BB164_52 Depth=3
	s_mov_b32 s5, s4
	s_waitcnt vmcnt(0)
	v_mov_b32_e32 v6, v2
	v_mov_b32_e32 v7, v2
	v_mov_b32_e32 v4, v3
	v_mov_b32_e32 v5, 0
	v_mov_b32_e32 v8, v3
	v_mov_b32_e32 v9, v3
	s_mov_b32 s22, 1
	s_mov_b32 s23, 0
	;; [unrolled: 1-line block ×3, first 2 shown]
.LBB164_54:                             ;   Parent Loop BB164_39 Depth=1
                                        ;     Parent Loop BB164_42 Depth=2
                                        ;       Parent Loop BB164_52 Depth=3
                                        ; =>      This Inner Loop Header: Depth=4
	buffer_load_dword v16, v5, s[0:3], 0 offen
	buffer_load_dword v18, v5, s[0:3], 0 offen offset:4
	buffer_load_dword v17, v5, s[0:3], 0 offen offset:8
	buffer_load_dword v19, v5, s[0:3], 0 offen offset:12
	s_add_i32 s27, s22, s40
	s_add_i32 s43, s23, s39
	s_mul_i32 s43, s43, 28
	s_mul_i32 s27, s27, 28
	s_add_i32 s27, s27, s5
	s_add_i32 s43, s43, s4
	s_lshl_b32 s43, s43, 3
	s_lshl_b32 s27, s27, 3
	v_mov_b32_e32 v15, s43
	v_mov_b32_e32 v22, s27
	ds_read_b64 v[20:21], v15
	ds_read_b64 v[22:23], v22
	s_add_i32 s23, s23, 2
	s_add_i32 s22, s22, 2
	s_add_i32 s26, s26, -2
	s_waitcnt lgkmcnt(1)
	v_mov_b32_e32 v24, v20
	s_waitcnt lgkmcnt(0)
	v_mov_b32_e32 v25, v22
	v_mov_b32_e32 v22, v21
	v_pk_mul_f32 v[20:21], v[22:23], v[8:9]
	v_pk_mul_f32 v[22:23], v[22:23], v[6:7]
	v_pk_fma_f32 v[20:21], v[24:25], v[6:7], v[20:21] neg_lo:[0,0,1] neg_hi:[0,0,1]
	v_pk_fma_f32 v[22:23], v[24:25], v[8:9], v[22:23]
	s_cmp_lg_u32 s26, 0
	s_waitcnt vmcnt(1)
	v_pk_add_f32 v[16:17], v[16:17], v[20:21] neg_lo:[0,1] neg_hi:[0,1]
	s_waitcnt vmcnt(0)
	v_pk_add_f32 v[18:19], v[18:19], v[22:23] neg_lo:[0,1] neg_hi:[0,1]
	buffer_store_dword v16, v5, s[0:3], 0 offen
	buffer_store_dword v18, v5, s[0:3], 0 offen offset:4
	buffer_store_dword v17, v5, s[0:3], 0 offen offset:8
	;; [unrolled: 1-line block ×3, first 2 shown]
	v_add_u32_e32 v5, 16, v5
	s_cbranch_scc1 .LBB164_54
; %bb.55:                               ;   in Loop: Header=BB164_52 Depth=3
	s_mov_b64 s[22:23], s[20:21]
	s_mov_b32 s26, s34
	s_branch .LBB164_58
.LBB164_56:                             ;   in Loop: Header=BB164_52 Depth=3
	s_mov_b64 s[22:23], 0
                                        ; implicit-def: $vgpr4_vgpr5
	s_mov_b32 s26, s34
	s_cbranch_execz .LBB164_58
; %bb.57:                               ;   in Loop: Header=BB164_52 Depth=3
	s_waitcnt vmcnt(0)
	v_mov_b32_e32 v4, v3
	s_mov_b64 s[22:23], -1
	s_mov_b32 s26, 0
.LBB164_58:                             ;   in Loop: Header=BB164_52 Depth=3
	s_andn2_b64 vcc, exec, s[22:23]
	s_cbranch_vccnz .LBB164_51
; %bb.59:                               ;   in Loop: Header=BB164_52 Depth=3
	s_add_i32 s22, s28, s26
	s_mulk_i32 s22, 0xe0
	s_lshl_b32 s23, s26, 3
	s_waitcnt vmcnt(0)
	v_mov_b32_e32 v5, v3
	v_mov_b32_e32 v3, v2
	s_sub_i32 s5, s31, s26
	s_add_i32 s22, s41, s22
	v_add_u32_e32 v6, s23, v14
.LBB164_60:                             ;   Parent Loop BB164_39 Depth=1
                                        ;     Parent Loop BB164_42 Depth=2
                                        ;       Parent Loop BB164_52 Depth=3
                                        ; =>      This Inner Loop Header: Depth=4
	buffer_load_dword v8, v6, s[0:3], 0 offen
	buffer_load_dword v9, v6, s[0:3], 0 offen offset:4
	v_mov_b32_e32 v7, s22
	ds_read_b64 v[16:17], v7
	s_add_i32 s5, s5, -1
	s_addk_i32 s22, 0xe0
	s_cmp_eq_u32 s5, 0
	s_waitcnt lgkmcnt(0)
	v_pk_mul_f32 v[18:19], v[16:17], v[4:5]
	v_pk_fma_f32 v[20:21], v[16:17], v[2:3], v[18:19] op_sel:[0,0,1] op_sel_hi:[1,1,0] neg_lo:[0,0,1] neg_hi:[0,0,1]
	v_pk_fma_f32 v[16:17], v[16:17], v[2:3], v[18:19] op_sel:[0,0,1] op_sel_hi:[1,1,0]
	v_mov_b32_e32 v21, v17
	s_waitcnt vmcnt(0)
	v_pk_add_f32 v[8:9], v[8:9], v[20:21] neg_lo:[0,1] neg_hi:[0,1]
	buffer_store_dword v8, v6, s[0:3], 0 offen
	buffer_store_dword v9, v6, s[0:3], 0 offen offset:4
	v_add_u32_e32 v6, 8, v6
	s_cbranch_scc0 .LBB164_60
	s_branch .LBB164_51
.LBB164_61:                             ;   in Loop: Header=BB164_42 Depth=2
	s_mov_b32 s26, 0
	s_mov_b32 s27, s37
	s_branch .LBB164_63
.LBB164_62:                             ;   in Loop: Header=BB164_63 Depth=3
	s_mul_i32 s5, s4, 0xe8
	v_mov_b32_e32 v4, s5
	ds_read_b64 v[4:5], v4
	s_lshl_b32 s5, s26, 3
	v_add_u32_e32 v8, s5, v14
	s_ashr_i32 s5, s4, 31
	s_lshl_b64 s[4:5], s[4:5], 3
	s_waitcnt vmcnt(0) lgkmcnt(0)
	v_mul_f32_e32 v6, v5, v3
	v_mul_f32_e32 v7, v4, v3
	v_fma_f32 v6, v4, v2, -v6
	v_fmac_f32_e32 v7, v5, v2
	v_mov_b32_e32 v3, s5
	v_add_co_u32_e32 v2, vcc, s4, v10
	s_add_i32 s26, s26, 1
	s_addk_i32 s27, 0xe0
	v_addc_co_u32_e32 v3, vcc, v11, v3, vcc
	s_cmp_eq_u32 s26, s31
	buffer_store_dword v6, v8, s[0:3], 0 offen
	buffer_store_dword v7, v8, s[0:3], 0 offen offset:4
	global_store_dwordx2 v[2:3], v[6:7], off
	s_cbranch_scc1 .LBB164_41
.LBB164_63:                             ;   Parent Loop BB164_39 Depth=1
                                        ;     Parent Loop BB164_42 Depth=2
                                        ; =>    This Loop Header: Depth=3
                                        ;         Child Loop BB164_65 Depth 4
	s_cmp_lg_u32 s26, 0
	s_cbranch_scc0 .LBB164_67
; %bb.64:                               ;   in Loop: Header=BB164_63 Depth=3
	s_lshl_b32 s4, s26, 3
	v_add_u32_e32 v4, s4, v14
	buffer_load_dword v2, v4, s[0:3], 0 offen
	buffer_load_dword v3, v4, s[0:3], 0 offen offset:4
	v_mov_b32_e32 v5, 0
	s_mov_b32 s4, 0
	s_mov_b32 s5, s27
.LBB164_65:                             ;   Parent Loop BB164_39 Depth=1
                                        ;     Parent Loop BB164_42 Depth=2
                                        ;       Parent Loop BB164_63 Depth=3
                                        ; =>      This Inner Loop Header: Depth=4
	buffer_load_dword v7, v5, s[0:3], 0 offen offset:4
	buffer_load_dword v6, v5, s[0:3], 0 offen
	v_mov_b32_e32 v8, s5
	ds_read_b64 v[8:9], v8
	s_add_i32 s4, s4, 1
	s_add_i32 s5, s5, 8
	v_add_u32_e32 v5, 8, v5
	s_cmp_ge_u32 s4, s26
	s_waitcnt vmcnt(1)
	v_mov_b32_e32 v16, v7
	s_waitcnt lgkmcnt(0)
	v_pk_mul_f32 v[16:17], v[8:9], v[16:17] op_sel_hi:[1,0]
	s_waitcnt vmcnt(0)
	v_pk_fma_f32 v[18:19], v[8:9], v[6:7], v[16:17] op_sel:[0,0,1] op_sel_hi:[1,1,0] neg_lo:[0,0,1] neg_hi:[0,0,1]
	v_pk_fma_f32 v[6:7], v[8:9], v[6:7], v[16:17] op_sel:[0,0,1] op_sel_hi:[1,0,0]
	v_mov_b32_e32 v19, v7
	v_pk_add_f32 v[2:3], v[2:3], v[18:19] neg_lo:[0,1] neg_hi:[0,1]
	buffer_store_dword v2, v4, s[0:3], 0 offen
	buffer_store_dword v3, v4, s[0:3], 0 offen offset:4
	s_cbranch_scc0 .LBB164_65
; %bb.66:                               ;   in Loop: Header=BB164_63 Depth=3
	s_add_i32 s4, s26, s28
	s_branch .LBB164_62
.LBB164_67:                             ;   in Loop: Header=BB164_63 Depth=3
                                        ; implicit-def: $vgpr2
                                        ; implicit-def: $sgpr4
	s_cbranch_execz .LBB164_62
; %bb.68:                               ;   in Loop: Header=BB164_63 Depth=3
	buffer_load_dword v2, off, s[0:3], 0
	buffer_load_dword v3, off, s[0:3], 0 offset:4
	s_mov_b32 s4, s28
	s_branch .LBB164_62
.LBB164_69:
	s_mov_b64 s[4:5], 0
.LBB164_70:
	s_and_b64 vcc, exec, s[4:5]
	s_cbranch_vccz .LBB164_102
; %bb.71:
	s_add_u32 s4, s14, s10
	s_addc_u32 s5, s15, s11
	s_add_u32 s4, s4, s6
	s_addc_u32 s5, s5, s7
	v_mov_b32_e32 v2, s5
	v_add_co_u32_e32 v0, vcc, s4, v0
	v_addc_co_u32_e32 v1, vcc, v2, v1, vcc
	v_add_co_u32_e32 v8, vcc, 4, v0
	s_mul_i32 s26, s42, 0xe0
	s_mov_b32 s7, 0
	s_mov_b32 s8, s24
	;; [unrolled: 1-line block ×5, first 2 shown]
	v_addc_co_u32_e32 v9, vcc, 0, v1, vcc
	s_addk_i32 s26, 0xff20
	v_mov_b32_e32 v12, 0
	s_mov_b32 s10, s33
	s_mov_b32 s14, s7
	s_branch .LBB164_73
.LBB164_72:                             ;   in Loop: Header=BB164_73 Depth=1
	s_cmp_lt_i32 s10, 0
	s_cselect_b64 s[4:5], -1, 0
	s_add_i32 s14, s14, 1
	s_cmp_eq_u32 s14, 3
	s_cselect_b64 s[16:17], -1, 0
	s_or_b64 s[4:5], s[4:5], s[16:17]
	s_and_b64 vcc, exec, s[4:5]
	s_cbranch_vccnz .LBB164_102
.LBB164_73:                             ; =>This Loop Header: Depth=1
                                        ;     Child Loop BB164_76 Depth 2
                                        ;       Child Loop BB164_78 Depth 3
                                        ;       Child Loop BB164_82 Depth 3
	;; [unrolled: 1-line block ×3, first 2 shown]
                                        ;         Child Loop BB164_95 Depth 4
                                        ;         Child Loop BB164_101 Depth 4
                                        ;       Child Loop BB164_86 Depth 3
                                        ;         Child Loop BB164_88 Depth 4
	s_mov_b32 s15, s7
	s_lshl_b64 s[4:5], s[14:15], 2
	s_getpc_b64 s[16:17]
	s_add_u32 s16, s16, __const._ZL30rocblas_trsm_small_left_deviceILi28ELi28ELb0E19rocblas_complex_numIfES1_PKS1_PS1_Ev13rocblas_fill_18rocblas_operation_17rocblas_diagonal_iiT3_T4_lilT5_lili.step_sizes@rel32@lo+4
	s_addc_u32 s17, s17, __const._ZL30rocblas_trsm_small_left_deviceILi28ELi28ELb0E19rocblas_complex_numIfES1_PKS1_PS1_Ev13rocblas_fill_18rocblas_operation_17rocblas_diagonal_iiT3_T4_lilT5_lili.step_sizes@rel32@hi+12
	s_add_u32 s4, s4, s16
	s_addc_u32 s5, s5, s17
	s_load_dword s15, s[4:5], 0x0
	s_waitcnt lgkmcnt(0)
	s_add_i32 s27, s15, -1
	s_cmp_lt_i32 s10, s27
	s_cbranch_scc1 .LBB164_72
; %bb.74:                               ;   in Loop: Header=BB164_73 Depth=1
	s_max_i32 s28, s15, 1
	s_cmp_lg_u32 s14, 2
	s_cselect_b64 s[16:17], -1, 0
	s_and_b32 s29, s28, 0x7ffffffe
	s_cmp_lg_u32 s28, s29
	s_cselect_b64 s[18:19], -1, 0
	s_lshl_b32 s4, s10, 3
	s_add_i32 s30, s26, s4
	s_lshl_b32 s4, s15, 3
	s_sub_i32 s31, 0, s4
	s_mul_i32 s34, s10, 0xe8
	s_mul_i32 s35, s15, 0xffffff18
	s_branch .LBB164_76
.LBB164_75:                             ;   in Loop: Header=BB164_76 Depth=2
	s_sub_i32 s10, s10, s15
	s_add_i32 s30, s30, s31
	s_add_i32 s34, s34, s35
	s_cmp_lt_i32 s10, s27
	s_cbranch_scc1 .LBB164_72
.LBB164_76:                             ;   Parent Loop BB164_73 Depth=1
                                        ; =>  This Loop Header: Depth=2
                                        ;       Child Loop BB164_78 Depth 3
                                        ;       Child Loop BB164_82 Depth 3
	;; [unrolled: 1-line block ×3, first 2 shown]
                                        ;         Child Loop BB164_95 Depth 4
                                        ;         Child Loop BB164_101 Depth 4
                                        ;       Child Loop BB164_86 Depth 3
                                        ;         Child Loop BB164_88 Depth 4
	s_and_b64 vcc, exec, s[16:17]
	s_cbranch_vccz .LBB164_80
; %bb.77:                               ;   in Loop: Header=BB164_76 Depth=2
	v_mov_b32_e32 v0, 0
	s_mov_b32 s11, s10
	s_mov_b32 s20, 1
	;; [unrolled: 1-line block ×4, first 2 shown]
.LBB164_78:                             ;   Parent Loop BB164_73 Depth=1
                                        ;     Parent Loop BB164_76 Depth=2
                                        ; =>    This Inner Loop Header: Depth=3
	s_sub_i32 s4, s10, s21
	s_sub_i32 s36, s11, s20
	s_ashr_i32 s5, s4, 31
	s_ashr_i32 s37, s36, 31
	s_lshl_b64 s[4:5], s[4:5], 3
	s_lshl_b64 s[36:37], s[36:37], 3
	v_mov_b32_e32 v1, s5
	v_add_co_u32_e64 v4, s[4:5], s4, v10
	v_mov_b32_e32 v3, s37
	v_add_co_u32_e32 v2, vcc, s36, v10
	v_addc_co_u32_e64 v5, s[4:5], v11, v1, s[4:5]
	v_addc_co_u32_e32 v3, vcc, v11, v3, vcc
	global_load_dwordx2 v[6:7], v[4:5], off
	global_load_dwordx2 v[14:15], v[2:3], off
	s_add_i32 s21, s21, 2
	s_add_i32 s20, s20, 2
	s_add_i32 s22, s22, -2
	s_mov_b32 s6, s29
	s_mov_b64 s[4:5], s[18:19]
	s_cmp_lg_u32 s22, 0
	s_waitcnt vmcnt(1)
	v_mov_b32_e32 v2, v6
	s_waitcnt vmcnt(0)
	v_mov_b32_e32 v3, v14
	v_mov_b32_e32 v14, v7
	v_pk_mul_f32 v[4:5], v[14:15], s[12:13]
	v_pk_mul_f32 v[6:7], v[14:15], s[8:9]
	v_pk_fma_f32 v[4:5], v[2:3], s[8:9], v[4:5] neg_lo:[0,0,1] neg_hi:[0,0,1]
	v_pk_fma_f32 v[2:3], v[2:3], s[12:13], v[6:7]
	buffer_store_dword v2, v0, s[0:3], 0 offen offset:4
	buffer_store_dword v4, v0, s[0:3], 0 offen
	buffer_store_dword v3, v0, s[0:3], 0 offen offset:12
	buffer_store_dword v5, v0, s[0:3], 0 offen offset:8
	v_add_u32_e32 v0, 16, v0
	s_cbranch_scc1 .LBB164_78
; %bb.79:                               ;   in Loop: Header=BB164_76 Depth=2
	s_ashr_i32 s11, s10, 31
	s_and_b64 vcc, exec, s[4:5]
	s_cbranch_vccnz .LBB164_81
	s_branch .LBB164_83
.LBB164_80:                             ;   in Loop: Header=BB164_76 Depth=2
	s_mov_b32 s6, 0
	s_ashr_i32 s11, s10, 31
	s_cbranch_execz .LBB164_83
.LBB164_81:                             ;   in Loop: Header=BB164_76 Depth=2
	s_lshl_b64 s[20:21], s[10:11], 3
	s_sub_i32 s4, s28, s6
	s_lshl_b64 s[22:23], s[6:7], 3
	s_sub_u32 s5, s20, s22
	s_subb_u32 s20, s21, s23
	v_mov_b32_e32 v1, s20
	v_add_co_u32_e32 v0, vcc, s5, v8
	s_lshl_b32 s5, s6, 3
	v_addc_co_u32_e32 v1, vcc, v9, v1, vcc
	v_add_u32_e32 v2, s5, v12
.LBB164_82:                             ;   Parent Loop BB164_73 Depth=1
                                        ;     Parent Loop BB164_76 Depth=2
                                        ; =>    This Inner Loop Header: Depth=3
	global_load_dwordx2 v[4:5], v[0:1], off offset:-4
	s_add_i32 s4, s4, -1
	v_add_co_u32_e32 v0, vcc, -8, v0
	v_addc_co_u32_e32 v1, vcc, -1, v1, vcc
	s_cmp_eq_u32 s4, 0
	s_waitcnt vmcnt(0)
	v_mul_f32_e32 v3, s25, v5
	v_mul_f32_e32 v5, s24, v5
	v_fma_f32 v3, v4, s24, -v3
	v_fmac_f32_e32 v5, s25, v4
	buffer_store_dword v3, v2, s[0:3], 0 offen
	buffer_store_dword v5, v2, s[0:3], 0 offen offset:4
	v_add_u32_e32 v2, 8, v2
	s_cbranch_scc0 .LBB164_82
.LBB164_83:                             ;   in Loop: Header=BB164_76 Depth=2
	s_cmp_le_i32 s33, s10
	s_mov_b32 s6, s30
	s_mov_b32 s4, s33
	s_cbranch_scc0 .LBB164_93
.LBB164_84:                             ;   in Loop: Header=BB164_76 Depth=2
	s_mov_b32 s6, 0
	s_mov_b32 s36, s34
	s_branch .LBB164_86
.LBB164_85:                             ;   in Loop: Header=BB164_86 Depth=3
	s_mulk_i32 s20, 0xe8
	v_mov_b32_e32 v2, s20
	ds_read_b64 v[2:3], v2
	s_lshl_b64 s[4:5], s[4:5], 3
	s_lshl_b32 s20, s6, 3
	s_add_i32 s6, s6, 1
	s_add_i32 s36, s36, -8
	s_waitcnt vmcnt(0) lgkmcnt(0)
	v_mul_f32_e32 v4, v3, v1
	v_mul_f32_e32 v5, v2, v1
	v_fma_f32 v4, v2, v0, -v4
	v_fmac_f32_e32 v5, v3, v0
	v_mov_b32_e32 v1, s5
	v_add_co_u32_e32 v0, vcc, s4, v10
	v_add_u32_e32 v6, s20, v12
	v_addc_co_u32_e32 v1, vcc, v11, v1, vcc
	s_cmp_eq_u32 s6, s28
	buffer_store_dword v4, v6, s[0:3], 0 offen
	buffer_store_dword v5, v6, s[0:3], 0 offen offset:4
	global_store_dwordx2 v[0:1], v[4:5], off
	s_cbranch_scc1 .LBB164_75
.LBB164_86:                             ;   Parent Loop BB164_73 Depth=1
                                        ;     Parent Loop BB164_76 Depth=2
                                        ; =>    This Loop Header: Depth=3
                                        ;         Child Loop BB164_88 Depth 4
	s_cmp_lg_u32 s6, 0
	s_cbranch_scc0 .LBB164_90
; %bb.87:                               ;   in Loop: Header=BB164_86 Depth=3
	s_lshl_b32 s4, s6, 3
	v_add_u32_e32 v2, s4, v12
	buffer_load_dword v0, v2, s[0:3], 0 offen
	buffer_load_dword v1, v2, s[0:3], 0 offen offset:4
	v_mov_b32_e32 v3, 0
	s_mov_b32 s4, 0
	s_mov_b32 s5, s36
.LBB164_88:                             ;   Parent Loop BB164_73 Depth=1
                                        ;     Parent Loop BB164_76 Depth=2
                                        ;       Parent Loop BB164_86 Depth=3
                                        ; =>      This Inner Loop Header: Depth=4
	buffer_load_dword v5, v3, s[0:3], 0 offen offset:4
	buffer_load_dword v4, v3, s[0:3], 0 offen
	v_mov_b32_e32 v6, s5
	ds_read_b64 v[6:7], v6
	s_add_i32 s4, s4, 1
	s_addk_i32 s5, 0xff20
	v_add_u32_e32 v3, 8, v3
	s_cmp_ge_u32 s4, s6
	s_waitcnt vmcnt(1)
	v_mov_b32_e32 v14, v5
	s_waitcnt lgkmcnt(0)
	v_pk_mul_f32 v[14:15], v[6:7], v[14:15] op_sel_hi:[1,0]
	s_waitcnt vmcnt(0)
	v_pk_fma_f32 v[16:17], v[6:7], v[4:5], v[14:15] op_sel:[0,0,1] op_sel_hi:[1,1,0] neg_lo:[0,0,1] neg_hi:[0,0,1]
	v_pk_fma_f32 v[4:5], v[6:7], v[4:5], v[14:15] op_sel:[0,0,1] op_sel_hi:[1,0,0]
	v_mov_b32_e32 v17, v5
	v_pk_add_f32 v[0:1], v[0:1], v[16:17] neg_lo:[0,1] neg_hi:[0,1]
	buffer_store_dword v0, v2, s[0:3], 0 offen
	buffer_store_dword v1, v2, s[0:3], 0 offen offset:4
	s_cbranch_scc0 .LBB164_88
; %bb.89:                               ;   in Loop: Header=BB164_86 Depth=3
	s_sub_i32 s20, s10, s6
	s_ashr_i32 s21, s20, 31
	s_mov_b64 s[4:5], s[20:21]
	s_branch .LBB164_85
.LBB164_90:                             ;   in Loop: Header=BB164_86 Depth=3
                                        ; implicit-def: $vgpr0
                                        ; implicit-def: $sgpr20
                                        ; implicit-def: $sgpr4_sgpr5
	s_cbranch_execz .LBB164_85
; %bb.91:                               ;   in Loop: Header=BB164_86 Depth=3
	buffer_load_dword v0, off, s[0:3], 0
	buffer_load_dword v1, off, s[0:3], 0 offset:4
	s_mov_b64 s[4:5], s[10:11]
	s_mov_b32 s20, s10
	s_branch .LBB164_85
.LBB164_92:                             ;   in Loop: Header=BB164_93 Depth=3
	s_add_i32 s4, s4, -1
	s_addk_i32 s6, 0xff20
	s_cmp_le_i32 s4, s10
	s_cbranch_scc1 .LBB164_84
.LBB164_93:                             ;   Parent Loop BB164_73 Depth=1
                                        ;     Parent Loop BB164_76 Depth=2
                                        ; =>    This Loop Header: Depth=3
                                        ;         Child Loop BB164_95 Depth 4
                                        ;         Child Loop BB164_101 Depth 4
	s_ashr_i32 s5, s4, 31
	s_lshl_b64 s[20:21], s[4:5], 3
	s_waitcnt vmcnt(0)
	v_mov_b32_e32 v1, s21
	v_add_co_u32_e32 v0, vcc, s20, v10
	v_addc_co_u32_e32 v1, vcc, v11, v1, vcc
	global_load_dwordx2 v[0:1], v[0:1], off
	s_and_b64 vcc, exec, s[16:17]
	s_cbranch_vccz .LBB164_97
; %bb.94:                               ;   in Loop: Header=BB164_93 Depth=3
	s_mul_i32 s5, s4, 28
	s_add_i32 s5, s5, s10
	s_mov_b32 s20, s5
	s_waitcnt vmcnt(0)
	v_mov_b32_e32 v4, v0
	v_mov_b32_e32 v5, v0
	;; [unrolled: 1-line block ×6, first 2 shown]
	s_mov_b32 s21, 1
	s_mov_b32 s22, 0
	;; [unrolled: 1-line block ×3, first 2 shown]
.LBB164_95:                             ;   Parent Loop BB164_73 Depth=1
                                        ;     Parent Loop BB164_76 Depth=2
                                        ;       Parent Loop BB164_93 Depth=3
                                        ; =>      This Inner Loop Header: Depth=4
	buffer_load_dword v14, v3, s[0:3], 0 offen
	buffer_load_dword v16, v3, s[0:3], 0 offen offset:4
	buffer_load_dword v15, v3, s[0:3], 0 offen offset:8
	;; [unrolled: 1-line block ×3, first 2 shown]
	s_sub_i32 s36, s20, s21
	s_sub_i32 s37, s5, s22
	s_lshl_b32 s37, s37, 3
	s_lshl_b32 s36, s36, 3
	v_mov_b32_e32 v13, s37
	v_mov_b32_e32 v20, s36
	ds_read_b64 v[18:19], v13
	ds_read_b64 v[20:21], v20
	s_add_i32 s22, s22, 2
	s_add_i32 s21, s21, 2
	s_add_i32 s23, s23, -2
	s_waitcnt lgkmcnt(1)
	v_mov_b32_e32 v22, v18
	s_waitcnt lgkmcnt(0)
	v_mov_b32_e32 v23, v20
	v_mov_b32_e32 v20, v19
	v_pk_mul_f32 v[18:19], v[20:21], v[6:7]
	v_pk_mul_f32 v[20:21], v[20:21], v[4:5]
	v_pk_fma_f32 v[18:19], v[22:23], v[4:5], v[18:19] neg_lo:[0,0,1] neg_hi:[0,0,1]
	v_pk_fma_f32 v[20:21], v[22:23], v[6:7], v[20:21]
	s_cmp_lg_u32 s23, 0
	s_waitcnt vmcnt(1)
	v_pk_add_f32 v[14:15], v[14:15], v[18:19] neg_lo:[0,1] neg_hi:[0,1]
	s_waitcnt vmcnt(0)
	v_pk_add_f32 v[16:17], v[16:17], v[20:21] neg_lo:[0,1] neg_hi:[0,1]
	buffer_store_dword v14, v3, s[0:3], 0 offen
	buffer_store_dword v16, v3, s[0:3], 0 offen offset:4
	buffer_store_dword v15, v3, s[0:3], 0 offen offset:8
	;; [unrolled: 1-line block ×3, first 2 shown]
	v_add_u32_e32 v3, 16, v3
	s_cbranch_scc1 .LBB164_95
; %bb.96:                               ;   in Loop: Header=BB164_93 Depth=3
	s_mov_b64 s[20:21], s[18:19]
	s_mov_b32 s22, s29
	s_branch .LBB164_99
.LBB164_97:                             ;   in Loop: Header=BB164_93 Depth=3
	s_mov_b64 s[20:21], 0
                                        ; implicit-def: $vgpr2_vgpr3
	s_mov_b32 s22, s29
	s_cbranch_execz .LBB164_99
; %bb.98:                               ;   in Loop: Header=BB164_93 Depth=3
	s_waitcnt vmcnt(0)
	v_mov_b32_e32 v2, v1
	s_mov_b64 s[20:21], -1
	s_mov_b32 s22, 0
.LBB164_99:                             ;   in Loop: Header=BB164_93 Depth=3
	s_andn2_b64 vcc, exec, s[20:21]
	s_cbranch_vccnz .LBB164_92
; %bb.100:                              ;   in Loop: Header=BB164_93 Depth=3
	s_lshl_b32 s21, s22, 3
	s_waitcnt vmcnt(0)
	v_mov_b32_e32 v3, v1
	v_mov_b32_e32 v1, v0
	s_sub_i32 s5, s6, s21
	s_sub_i32 s20, s28, s22
	v_add_u32_e32 v4, s21, v12
.LBB164_101:                            ;   Parent Loop BB164_73 Depth=1
                                        ;     Parent Loop BB164_76 Depth=2
                                        ;       Parent Loop BB164_93 Depth=3
                                        ; =>      This Inner Loop Header: Depth=4
	buffer_load_dword v6, v4, s[0:3], 0 offen
	buffer_load_dword v7, v4, s[0:3], 0 offen offset:4
	v_mov_b32_e32 v5, s5
	ds_read_b64 v[14:15], v5
	s_add_i32 s5, s5, -8
	s_add_i32 s20, s20, -1
	s_cmp_eq_u32 s20, 0
	s_waitcnt lgkmcnt(0)
	v_pk_mul_f32 v[16:17], v[14:15], v[2:3]
	v_pk_fma_f32 v[18:19], v[14:15], v[0:1], v[16:17] op_sel:[0,0,1] op_sel_hi:[1,1,0] neg_lo:[0,0,1] neg_hi:[0,0,1]
	v_pk_fma_f32 v[14:15], v[14:15], v[0:1], v[16:17] op_sel:[0,0,1] op_sel_hi:[1,1,0]
	v_mov_b32_e32 v19, v15
	s_waitcnt vmcnt(0)
	v_pk_add_f32 v[6:7], v[6:7], v[18:19] neg_lo:[0,1] neg_hi:[0,1]
	buffer_store_dword v6, v4, s[0:3], 0 offen
	buffer_store_dword v7, v4, s[0:3], 0 offen offset:4
	v_add_u32_e32 v4, 8, v4
	s_cbranch_scc0 .LBB164_101
	s_branch .LBB164_92
.LBB164_102:
	s_endpgm
	.section	.rodata,"a",@progbits
	.p2align	6, 0x0
	.amdhsa_kernel _ZL30rocblas_trsm_small_left_deviceILi28ELi28ELb0E19rocblas_complex_numIfES1_PKS1_PS1_Ev13rocblas_fill_18rocblas_operation_17rocblas_diagonal_iiT3_T4_lilT5_lili
		.amdhsa_group_segment_fixed_size 6272
		.amdhsa_private_segment_fixed_size 240
		.amdhsa_kernarg_size 360
		.amdhsa_user_sgpr_count 8
		.amdhsa_user_sgpr_private_segment_buffer 1
		.amdhsa_user_sgpr_dispatch_ptr 0
		.amdhsa_user_sgpr_queue_ptr 0
		.amdhsa_user_sgpr_kernarg_segment_ptr 1
		.amdhsa_user_sgpr_dispatch_id 0
		.amdhsa_user_sgpr_flat_scratch_init 1
		.amdhsa_user_sgpr_kernarg_preload_length 0
		.amdhsa_user_sgpr_kernarg_preload_offset 0
		.amdhsa_user_sgpr_private_segment_size 0
		.amdhsa_uses_dynamic_stack 0
		.amdhsa_system_sgpr_private_segment_wavefront_offset 1
		.amdhsa_system_sgpr_workgroup_id_x 1
		.amdhsa_system_sgpr_workgroup_id_y 0
		.amdhsa_system_sgpr_workgroup_id_z 1
		.amdhsa_system_sgpr_workgroup_info 0
		.amdhsa_system_vgpr_workitem_id 0
		.amdhsa_next_free_vgpr 26
		.amdhsa_next_free_sgpr 46
		.amdhsa_accum_offset 28
		.amdhsa_reserve_vcc 1
		.amdhsa_reserve_flat_scratch 0
		.amdhsa_float_round_mode_32 0
		.amdhsa_float_round_mode_16_64 0
		.amdhsa_float_denorm_mode_32 3
		.amdhsa_float_denorm_mode_16_64 3
		.amdhsa_dx10_clamp 1
		.amdhsa_ieee_mode 1
		.amdhsa_fp16_overflow 0
		.amdhsa_tg_split 0
		.amdhsa_exception_fp_ieee_invalid_op 0
		.amdhsa_exception_fp_denorm_src 0
		.amdhsa_exception_fp_ieee_div_zero 0
		.amdhsa_exception_fp_ieee_overflow 0
		.amdhsa_exception_fp_ieee_underflow 0
		.amdhsa_exception_fp_ieee_inexact 0
		.amdhsa_exception_int_div_zero 0
	.end_amdhsa_kernel
	.section	.text._ZL30rocblas_trsm_small_left_deviceILi28ELi28ELb0E19rocblas_complex_numIfES1_PKS1_PS1_Ev13rocblas_fill_18rocblas_operation_17rocblas_diagonal_iiT3_T4_lilT5_lili,"axG",@progbits,_ZL30rocblas_trsm_small_left_deviceILi28ELi28ELb0E19rocblas_complex_numIfES1_PKS1_PS1_Ev13rocblas_fill_18rocblas_operation_17rocblas_diagonal_iiT3_T4_lilT5_lili,comdat
.Lfunc_end164:
	.size	_ZL30rocblas_trsm_small_left_deviceILi28ELi28ELb0E19rocblas_complex_numIfES1_PKS1_PS1_Ev13rocblas_fill_18rocblas_operation_17rocblas_diagonal_iiT3_T4_lilT5_lili, .Lfunc_end164-_ZL30rocblas_trsm_small_left_deviceILi28ELi28ELb0E19rocblas_complex_numIfES1_PKS1_PS1_Ev13rocblas_fill_18rocblas_operation_17rocblas_diagonal_iiT3_T4_lilT5_lili
                                        ; -- End function
	.section	.AMDGPU.csdata,"",@progbits
; Kernel info:
; codeLenInByte = 4352
; NumSgprs: 50
; NumVgprs: 26
; NumAgprs: 0
; TotalNumVgprs: 26
; ScratchSize: 240
; MemoryBound: 0
; FloatMode: 240
; IeeeMode: 1
; LDSByteSize: 6272 bytes/workgroup (compile time only)
; SGPRBlocks: 6
; VGPRBlocks: 3
; NumSGPRsForWavesPerEU: 50
; NumVGPRsForWavesPerEU: 26
; AccumOffset: 28
; Occupancy: 3
; WaveLimiterHint : 0
; COMPUTE_PGM_RSRC2:SCRATCH_EN: 1
; COMPUTE_PGM_RSRC2:USER_SGPR: 8
; COMPUTE_PGM_RSRC2:TRAP_HANDLER: 0
; COMPUTE_PGM_RSRC2:TGID_X_EN: 1
; COMPUTE_PGM_RSRC2:TGID_Y_EN: 0
; COMPUTE_PGM_RSRC2:TGID_Z_EN: 1
; COMPUTE_PGM_RSRC2:TIDIG_COMP_CNT: 0
; COMPUTE_PGM_RSRC3_GFX90A:ACCUM_OFFSET: 6
; COMPUTE_PGM_RSRC3_GFX90A:TG_SPLIT: 0
	.section	.text._ZL38rocblas_trsm_small_left_device_sharedBILi28ELi28ELb1E19rocblas_complex_numIfES1_PKS1_PS1_Ev13rocblas_fill_18rocblas_operation_17rocblas_diagonal_iiT3_T4_lilT5_lili,"axG",@progbits,_ZL38rocblas_trsm_small_left_device_sharedBILi28ELi28ELb1E19rocblas_complex_numIfES1_PKS1_PS1_Ev13rocblas_fill_18rocblas_operation_17rocblas_diagonal_iiT3_T4_lilT5_lili,comdat
	.globl	_ZL38rocblas_trsm_small_left_device_sharedBILi28ELi28ELb1E19rocblas_complex_numIfES1_PKS1_PS1_Ev13rocblas_fill_18rocblas_operation_17rocblas_diagonal_iiT3_T4_lilT5_lili ; -- Begin function _ZL38rocblas_trsm_small_left_device_sharedBILi28ELi28ELb1E19rocblas_complex_numIfES1_PKS1_PS1_Ev13rocblas_fill_18rocblas_operation_17rocblas_diagonal_iiT3_T4_lilT5_lili
	.p2align	8
	.type	_ZL38rocblas_trsm_small_left_device_sharedBILi28ELi28ELb1E19rocblas_complex_numIfES1_PKS1_PS1_Ev13rocblas_fill_18rocblas_operation_17rocblas_diagonal_iiT3_T4_lilT5_lili,@function
_ZL38rocblas_trsm_small_left_device_sharedBILi28ELi28ELb1E19rocblas_complex_numIfES1_PKS1_PS1_Ev13rocblas_fill_18rocblas_operation_17rocblas_diagonal_iiT3_T4_lilT5_lili: ; @_ZL38rocblas_trsm_small_left_device_sharedBILi28ELi28ELb1E19rocblas_complex_numIfES1_PKS1_PS1_Ev13rocblas_fill_18rocblas_operation_17rocblas_diagonal_iiT3_T4_lilT5_lili
; %bb.0:
	s_add_u32 s0, s0, s10
	s_load_dwordx4 s[20:23], s[4:5], 0x4
	s_load_dwordx2 s[30:31], s[4:5], 0x14
	s_load_dwordx4 s[16:19], s[4:5], 0x38
	s_load_dwordx2 s[24:25], s[4:5], 0x48
	s_load_dword s42, s[4:5], 0x68
	s_addc_u32 s1, s1, 0
	s_waitcnt lgkmcnt(0)
	s_min_i32 s33, s22, 28
	s_mov_b32 s43, 0
	s_add_i32 s45, s33, -1
	v_cmp_gt_i32_e32 vcc, s33, v0
	s_and_saveexec_b64 s[26:27], vcc
	s_cbranch_execz .LBB165_35
; %bb.1:
	s_load_dword s28, s[4:5], 0x30
	s_load_dwordx4 s[12:15], s[4:5], 0x20
	s_mul_i32 s6, s9, s17
	s_mul_hi_u32 s7, s9, s16
	s_mul_i32 s16, s9, s16
	s_waitcnt lgkmcnt(0)
	s_ashr_i32 s29, s28, 31
	s_cmpk_lg_i32 s20, 0x71
	s_cselect_b64 s[34:35], -1, 0
	s_add_i32 s17, s7, s6
	v_cndmask_b32_e64 v1, 0, 1, s[34:35]
	s_cmp_lt_u32 s45, 3
	v_cmp_ne_u32_e64 s[6:7], 1, v1
	s_cbranch_scc1 .LBB165_20
; %bb.2:
	s_lshl_b64 s[10:11], s[16:17], 3
	s_add_u32 s36, s12, s10
	s_addc_u32 s37, s13, s11
	s_lshl_b64 s[10:11], s[14:15], 3
	s_add_u32 s10, s36, s10
	s_addc_u32 s11, s37, s11
	v_lshlrev_b32_e32 v1, 3, v0
	v_mov_b32_e32 v3, s11
	v_add_co_u32_e32 v2, vcc, s10, v1
	s_mul_hi_i32 s10, s28, 24
	s_lshl_b64 s[36:37], s[28:29], 5
	s_lshl_b64 s[38:39], s[28:29], 4
	;; [unrolled: 1-line block ×3, first 2 shown]
	v_addc_co_u32_e32 v3, vcc, 0, v3, vcc
	s_and_b32 s43, s33, -4
	s_mul_i32 s44, s28, 24
	s_mov_b32 s46, 0
	v_mov_b32_e32 v8, s41
	v_mov_b32_e32 v9, s39
	;; [unrolled: 1-line block ×4, first 2 shown]
	s_branch .LBB165_4
.LBB165_3:                              ;   in Loop: Header=BB165_4 Depth=1
	global_load_dword v4, v[6:7], off
	s_add_i32 s46, s46, 4
	v_add_co_u32_e32 v2, vcc, s36, v2
	v_addc_co_u32_e32 v3, vcc, v3, v11, vcc
	s_cmp_eq_u32 s43, s46
	s_waitcnt vmcnt(0)
	ds_write_b64 v1, v[4:5] offset:672
	v_add_u32_e32 v1, 0x380, v1
	s_cbranch_scc1 .LBB165_20
.LBB165_4:                              ; =>This Inner Loop Header: Depth=1
	s_and_b64 vcc, exec, s[34:35]
	s_cbranch_vccz .LBB165_6
; %bb.5:                                ;   in Loop: Header=BB165_4 Depth=1
	global_load_dword v5, v[2:3], off offset:4
	s_cbranch_execz .LBB165_7
	s_branch .LBB165_8
.LBB165_6:                              ;   in Loop: Header=BB165_4 Depth=1
                                        ; implicit-def: $vgpr5
.LBB165_7:                              ;   in Loop: Header=BB165_4 Depth=1
	global_load_dword v4, v[2:3], off offset:4
	s_waitcnt vmcnt(0)
	v_xor_b32_e32 v5, 0x80000000, v4
.LBB165_8:                              ;   in Loop: Header=BB165_4 Depth=1
	global_load_dword v4, v[2:3], off
	v_add_co_u32_e64 v6, s[10:11], s40, v2
	s_and_b64 vcc, exec, s[6:7]
	v_addc_co_u32_e64 v7, s[10:11], v3, v8, s[10:11]
	s_waitcnt vmcnt(0)
	ds_write_b64 v1, v[4:5]
	s_cbranch_vccnz .LBB165_10
; %bb.9:                                ;   in Loop: Header=BB165_4 Depth=1
	global_load_dword v5, v[6:7], off offset:4
	s_cbranch_execz .LBB165_11
	s_branch .LBB165_12
.LBB165_10:                             ;   in Loop: Header=BB165_4 Depth=1
                                        ; implicit-def: $vgpr5
.LBB165_11:                             ;   in Loop: Header=BB165_4 Depth=1
	global_load_dword v4, v[6:7], off offset:4
	s_waitcnt vmcnt(0)
	v_xor_b32_e32 v5, 0x80000000, v4
.LBB165_12:                             ;   in Loop: Header=BB165_4 Depth=1
	global_load_dword v4, v[6:7], off
	v_add_co_u32_e64 v6, s[10:11], s38, v2
	s_and_b64 vcc, exec, s[6:7]
	v_addc_co_u32_e64 v7, s[10:11], v3, v9, s[10:11]
	s_waitcnt vmcnt(0)
	ds_write_b64 v1, v[4:5] offset:224
	s_cbranch_vccnz .LBB165_14
; %bb.13:                               ;   in Loop: Header=BB165_4 Depth=1
	global_load_dword v5, v[6:7], off offset:4
	s_cbranch_execz .LBB165_15
	s_branch .LBB165_16
.LBB165_14:                             ;   in Loop: Header=BB165_4 Depth=1
                                        ; implicit-def: $vgpr5
.LBB165_15:                             ;   in Loop: Header=BB165_4 Depth=1
	global_load_dword v4, v[6:7], off offset:4
	s_waitcnt vmcnt(0)
	v_xor_b32_e32 v5, 0x80000000, v4
.LBB165_16:                             ;   in Loop: Header=BB165_4 Depth=1
	global_load_dword v4, v[6:7], off
	v_add_co_u32_e64 v6, s[10:11], s44, v2
	s_and_b64 vcc, exec, s[6:7]
	v_addc_co_u32_e64 v7, s[10:11], v3, v10, s[10:11]
	s_waitcnt vmcnt(0)
	ds_write_b64 v1, v[4:5] offset:448
	s_cbranch_vccnz .LBB165_18
; %bb.17:                               ;   in Loop: Header=BB165_4 Depth=1
	global_load_dword v5, v[6:7], off offset:4
	s_cbranch_execnz .LBB165_3
	s_branch .LBB165_19
.LBB165_18:                             ;   in Loop: Header=BB165_4 Depth=1
                                        ; implicit-def: $vgpr5
.LBB165_19:                             ;   in Loop: Header=BB165_4 Depth=1
	global_load_dword v4, v[6:7], off offset:4
	s_waitcnt vmcnt(0)
	v_xor_b32_e32 v5, 0x80000000, v4
	s_branch .LBB165_3
.LBB165_20:
	s_and_b32 s34, s33, 3
	s_cmp_eq_u32 s34, 0
	s_cbranch_scc1 .LBB165_27
; %bb.21:
	s_mul_i32 s10, s43, 0xe0
	v_lshl_add_u32 v1, v0, 3, s10
	s_lshl_b64 s[10:11], s[16:17], 3
	s_mul_i32 s16, s29, s43
	s_mul_hi_u32 s17, s28, s43
	s_add_i32 s17, s17, s16
	s_mul_i32 s16, s28, s43
	s_lshl_b64 s[16:17], s[16:17], 3
	s_add_u32 s16, s10, s16
	s_addc_u32 s17, s11, s17
	s_lshl_b64 s[10:11], s[14:15], 3
	s_add_u32 s10, s16, s10
	s_addc_u32 s11, s17, s11
	s_add_u32 s10, s12, s10
	v_lshlrev_b32_e32 v2, 3, v0
	s_addc_u32 s11, s13, s11
	v_mov_b32_e32 v3, s11
	v_add_co_u32_e32 v2, vcc, s10, v2
	v_addc_co_u32_e32 v3, vcc, 0, v3, vcc
	v_add_co_u32_e32 v2, vcc, 4, v2
	s_lshl_b64 s[10:11], s[28:29], 3
	v_addc_co_u32_e32 v3, vcc, 0, v3, vcc
	v_mov_b32_e32 v6, s11
	s_branch .LBB165_23
.LBB165_22:                             ;   in Loop: Header=BB165_23 Depth=1
	global_load_dword v4, v[2:3], off offset:-4
	s_add_i32 s34, s34, -1
	v_add_co_u32_e32 v2, vcc, s10, v2
	s_cmp_lg_u32 s34, 0
	v_addc_co_u32_e32 v3, vcc, v3, v6, vcc
	s_waitcnt vmcnt(0)
	ds_write_b64 v1, v[4:5]
	v_add_u32_e32 v1, 0xe0, v1
	s_cbranch_scc0 .LBB165_27
.LBB165_23:                             ; =>This Inner Loop Header: Depth=1
	s_and_b64 vcc, exec, s[6:7]
	s_cbranch_vccnz .LBB165_25
; %bb.24:                               ;   in Loop: Header=BB165_23 Depth=1
	global_load_dword v5, v[2:3], off
	s_cbranch_execnz .LBB165_22
	s_branch .LBB165_26
.LBB165_25:                             ;   in Loop: Header=BB165_23 Depth=1
                                        ; implicit-def: $vgpr5
.LBB165_26:                             ;   in Loop: Header=BB165_23 Depth=1
	global_load_dword v4, v[2:3], off
	s_waitcnt vmcnt(0)
	v_xor_b32_e32 v5, 0x80000000, v4
	s_branch .LBB165_22
.LBB165_27:
	v_mul_u32_u24_e32 v1, 29, v0
	s_cmpk_lg_i32 s21, 0x84
	v_lshlrev_b32_e32 v1, 3, v1
	s_mov_b64 s[6:7], -1
	s_cbranch_scc0 .LBB165_33
; %bb.28:
	ds_read_b64 v[2:3], v1
	s_mov_b32 s6, 0
	s_waitcnt lgkmcnt(0)
	v_cmp_gt_f32_e32 vcc, 0, v3
	v_cndmask_b32_e64 v4, v3, -v3, vcc
	v_cmp_gt_f32_e32 vcc, 0, v2
	v_cndmask_b32_e64 v5, v2, -v2, vcc
	v_cmp_ngt_f32_e32 vcc, v5, v4
                                        ; implicit-def: $vgpr4_vgpr5
	s_and_saveexec_b64 s[10:11], vcc
	s_xor_b64 s[10:11], exec, s[10:11]
	s_cbranch_execz .LBB165_30
; %bb.29:
	v_div_scale_f32 v4, s[12:13], v3, v3, v2
	v_rcp_f32_e32 v5, v4
	v_div_scale_f32 v6, vcc, v2, v3, v2
	s_mov_b32 s7, -1.0
	v_fma_f32 v7, -v4, v5, 1.0
	v_fmac_f32_e32 v5, v7, v5
	v_mul_f32_e32 v7, v6, v5
	v_fma_f32 v8, -v4, v7, v6
	v_fmac_f32_e32 v7, v8, v5
	v_fma_f32 v4, -v4, v7, v6
	v_div_fmas_f32 v4, v4, v5, v7
	v_div_fixup_f32 v4, v4, v3, v2
	v_fmac_f32_e32 v3, v2, v4
	v_div_scale_f32 v2, s[12:13], v3, v3, 1.0
	v_rcp_f32_e32 v5, v2
	v_fma_f32 v6, -v2, v5, 1.0
	v_fmac_f32_e32 v5, v6, v5
	v_div_scale_f32 v6, vcc, 1.0, v3, 1.0
	v_mul_f32_e32 v7, v6, v5
	v_fma_f32 v8, -v2, v7, v6
	v_fmac_f32_e32 v7, v8, v5
	v_fma_f32 v2, -v2, v7, v6
	v_div_fmas_f32 v2, v2, v5, v7
	v_mul_f32_e32 v5, 0, v4
	v_div_fixup_f32 v2, v2, v3, 1.0
	v_pk_add_f32 v[4:5], v[4:5], s[6:7]
	v_pk_mul_f32 v[4:5], v[4:5], v[2:3] op_sel_hi:[1,0]
                                        ; implicit-def: $vgpr2_vgpr3
.LBB165_30:
	s_andn2_saveexec_b64 s[6:7], s[10:11]
	s_cbranch_execz .LBB165_32
; %bb.31:
	v_div_scale_f32 v4, s[10:11], v2, v2, v3
	v_rcp_f32_e32 v5, v4
	v_div_scale_f32 v6, vcc, v3, v2, v3
	v_fma_f32 v7, -v4, v5, 1.0
	v_fmac_f32_e32 v5, v7, v5
	v_mul_f32_e32 v7, v6, v5
	v_fma_f32 v8, -v4, v7, v6
	v_fmac_f32_e32 v7, v8, v5
	v_fma_f32 v4, -v4, v7, v6
	v_div_fmas_f32 v4, v4, v5, v7
	v_div_fixup_f32 v5, v4, v2, v3
	v_fmac_f32_e32 v2, v3, v5
	v_div_scale_f32 v3, s[10:11], v2, v2, 1.0
	v_rcp_f32_e32 v4, v3
	s_mov_b32 s10, 1.0
	s_mov_b32 s11, 0
	v_fma_f32 v6, -v3, v4, 1.0
	v_fmac_f32_e32 v4, v6, v4
	v_div_scale_f32 v6, vcc, 1.0, v2, 1.0
	v_mul_f32_e32 v7, v6, v4
	v_fma_f32 v8, -v3, v7, v6
	v_fmac_f32_e32 v7, v8, v4
	v_fma_f32 v3, -v3, v7, v6
	v_div_fmas_f32 v3, v3, v4, v7
	v_mul_f32_e32 v4, 0, v5
	v_pk_add_f32 v[6:7], v[4:5], s[10:11]
	v_pk_add_f32 v[4:5], v[4:5], s[10:11] neg_lo:[1,0] neg_hi:[1,0]
	v_div_fixup_f32 v2, v3, v2, 1.0
	v_mov_b32_e32 v7, v5
	v_pk_mul_f32 v[4:5], v[6:7], v[2:3] op_sel_hi:[1,0]
.LBB165_32:
	s_or_b64 exec, exec, s[6:7]
	s_mov_b64 s[6:7], 0
	ds_write_b64 v1, v[4:5]
.LBB165_33:
	s_and_b64 vcc, exec, s[6:7]
	s_cbranch_vccz .LBB165_35
; %bb.34:
	v_mov_b32_e32 v2, 1.0
	v_mov_b32_e32 v3, 0
	ds_write_b64 v1, v[2:3]
.LBB165_35:
	s_or_b64 exec, exec, s[26:27]
	s_load_dword s21, s[4:5], 0x50
	s_load_dwordx2 s[6:7], s[4:5], 0x58
	s_mul_i32 s26, s8, 28
	s_waitcnt lgkmcnt(0)
	s_ashr_i32 s44, s21, 31
	s_mul_i32 s5, s9, s7
	s_mul_hi_u32 s7, s9, s6
	s_mul_i32 s4, s9, s6
	s_add_i32 s5, s7, s5
	s_lshl_b64 s[16:17], s[4:5], 3
	s_add_u32 s4, s18, s16
	s_addc_u32 s5, s19, s17
	s_lshl_b64 s[24:25], s[24:25], 3
	s_add_u32 s6, s4, s24
	s_mul_i32 s4, s8, 0xffffffe4
	s_addc_u32 s7, s5, s25
	s_add_i32 s42, s42, -1
	s_add_i32 s4, s4, s23
	s_cmp_ge_u32 s8, s42
	s_cselect_b32 s9, s4, 28
	s_mul_hi_i32 s5, s21, s26
	s_mul_i32 s4, s21, s26
	s_ashr_i32 s27, s26, 31
	s_lshl_b64 s[4:5], s[4:5], 3
	s_add_u32 s23, s6, s4
	s_addc_u32 s46, s7, s5
	s_cmp_gt_i32 s22, 0
	v_cmp_gt_i32_e32 vcc, s9, v0
	s_cselect_b64 s[4:5], -1, 0
	s_mov_b32 s6, 0
	s_and_b64 s[28:29], vcc, s[4:5]
	s_and_saveexec_b64 s[34:35], s[28:29]
	s_cbranch_execz .LBB165_48
; %bb.36:
	s_cmp_lt_i32 s22, 2
	s_mov_b64 s[4:5], -1
	s_cbranch_scc1 .LBB165_45
; %bb.37:
	v_mad_i64_i32 v[2:3], s[4:5], s21, v0, 0
	s_add_i32 s5, s33, -2
	v_lshlrev_b64 v[2:3], 3, v[2:3]
	s_lshr_b32 s47, s5, 1
	v_mov_b32_e32 v4, s46
	v_add_co_u32_e32 v1, vcc, s23, v2
	s_mov_b32 s40, 1
	s_add_i32 s47, s47, 1
	s_mov_b32 s43, 0
	v_addc_co_u32_e32 v2, vcc, v4, v3, vcc
	s_mov_b32 s36, s30
	s_mov_b32 s37, s30
	;; [unrolled: 1-line block ×5, first 2 shown]
	s_cmp_lt_u32 s5, 6
	s_mov_b32 s5, s40
	s_cbranch_scc1 .LBB165_41
; %bb.38:
	s_and_b32 s48, s47, -4
	s_mov_b32 s42, s43
.LBB165_39:                             ; =>This Inner Loop Header: Depth=1
	s_lshl_b64 s[4:5], s[42:43], 3
	s_mov_b32 s41, s43
	s_add_i32 s6, s40, 2
	s_add_i32 s8, s42, 2
	s_mov_b32 s9, s43
	s_mov_b32 s7, s43
	s_add_i32 s10, s40, 4
	s_add_i32 s12, s42, 4
	s_mov_b32 s13, s43
	;; [unrolled: 4-line block ×3, first 2 shown]
	s_mov_b32 s15, s43
	v_mov_b32_e32 v3, s5
	v_add_co_u32_e32 v4, vcc, s4, v1
	s_lshl_b64 s[52:53], s[40:41], 3
	s_lshl_b64 s[8:9], s[8:9], 3
	;; [unrolled: 1-line block ×7, first 2 shown]
	v_addc_co_u32_e32 v5, vcc, v2, v3, vcc
	v_mov_b32_e32 v3, s53
	v_mov_b32_e32 v7, s9
	v_add_co_u32_e32 v6, vcc, s8, v1
	v_mov_b32_e32 v9, s7
	v_add_co_u32_e64 v8, s[4:5], s6, v1
	v_mov_b32_e32 v11, s13
	v_add_co_u32_e64 v10, s[6:7], s12, v1
	;; [unrolled: 2-line block ×5, first 2 shown]
	v_add_co_u32_e64 v18, s[14:15], s52, v1
	v_addc_co_u32_e64 v19, s[14:15], v2, v3, s[14:15]
	v_addc_co_u32_e32 v7, vcc, v2, v7, vcc
	v_addc_co_u32_e64 v9, vcc, v2, v9, s[4:5]
	v_addc_co_u32_e64 v11, vcc, v2, v11, s[6:7]
	;; [unrolled: 1-line block ×5, first 2 shown]
	global_load_dwordx2 v[20:21], v[4:5], off
	global_load_dwordx2 v[22:23], v[18:19], off
	;; [unrolled: 1-line block ×8, first 2 shown]
	s_mul_i32 s4, s40, 28
	s_mul_i32 s5, s42, 28
	s_add_i32 s42, s42, 8
	s_add_i32 s48, s48, -4
	v_add_lshl_u32 v3, s5, v0, 3
	v_add_lshl_u32 v36, s4, v0, 3
	s_add_i32 s6, s4, 56
	s_add_i32 s7, s5, 56
	;; [unrolled: 1-line block ×4, first 2 shown]
	s_addk_i32 s4, 0xa8
	s_addk_i32 s5, 0xa8
	s_add_i32 s40, s40, 8
	s_cmp_lg_u32 s48, 0
	v_add_lshl_u32 v37, s7, v0, 3
	v_add_lshl_u32 v38, s6, v0, 3
	;; [unrolled: 1-line block ×6, first 2 shown]
	s_waitcnt vmcnt(7)
	v_mov_b32_e32 v4, v20
	s_waitcnt vmcnt(6)
	v_mov_b32_e32 v5, v22
	v_mov_b32_e32 v22, v21
	s_waitcnt vmcnt(4)
	v_mov_b32_e32 v7, v26
	;; [unrolled: 3-line block ×4, first 2 shown]
	v_mov_b32_e32 v34, v33
	v_pk_mul_f32 v[12:13], s[38:39], v[22:23]
	v_pk_mul_f32 v[14:15], s[36:37], v[22:23]
	v_mov_b32_e32 v6, v24
	v_mov_b32_e32 v8, v28
	;; [unrolled: 1-line block ×3, first 2 shown]
	v_pk_mul_f32 v[16:17], s[38:39], v[26:27]
	v_pk_mul_f32 v[18:19], s[36:37], v[26:27]
	;; [unrolled: 1-line block ×6, first 2 shown]
	v_pk_fma_f32 v[12:13], s[36:37], v[4:5], v[12:13] neg_lo:[0,0,1] neg_hi:[0,0,1]
	v_pk_fma_f32 v[4:5], s[38:39], v[4:5], v[14:15]
	v_pk_fma_f32 v[14:15], s[36:37], v[6:7], v[16:17] neg_lo:[0,0,1] neg_hi:[0,0,1]
	v_pk_fma_f32 v[6:7], s[38:39], v[6:7], v[18:19]
	;; [unrolled: 2-line block ×4, first 2 shown]
	v_mov_b32_e32 v20, v12
	v_mov_b32_e32 v21, v4
	;; [unrolled: 1-line block ×12, first 2 shown]
	ds_write_b64 v3, v[20:21] offset:6272
	ds_write_b64 v36, v[4:5] offset:6272
	;; [unrolled: 1-line block ×8, first 2 shown]
	s_cbranch_scc1 .LBB165_39
; %bb.40:
	s_mov_b32 s43, s40
	s_mov_b64 s[4:5], s[42:43]
.LBB165_41:
	s_and_b32 s6, s47, 3
	s_cmp_eq_u32 s6, 0
	s_mov_b32 s7, 0
	s_cbranch_scc1 .LBB165_44
; %bb.42:
	s_sub_i32 s6, 0, s6
	v_mov_b32_e32 v3, s6
.LBB165_43:                             ; =>This Inner Loop Header: Depth=1
	s_mov_b32 s6, s4
	s_lshl_b64 s[8:9], s[6:7], 3
	s_mov_b32 s6, s5
	v_mov_b32_e32 v5, s9
	v_add_co_u32_e32 v4, vcc, s8, v1
	s_lshl_b64 s[10:11], s[6:7], 3
	v_addc_co_u32_e32 v5, vcc, v2, v5, vcc
	v_mov_b32_e32 v7, s11
	v_add_co_u32_e32 v6, vcc, s10, v1
	v_addc_co_u32_e32 v7, vcc, v2, v7, vcc
	global_load_dwordx2 v[8:9], v[4:5], off
	global_load_dwordx2 v[10:11], v[6:7], off
	s_mul_i32 s8, s4, 28
	v_add_co_u32_e32 v3, vcc, 1, v3
	s_mul_i32 s6, s5, 28
	s_add_i32 s4, s4, 2
	v_add_lshl_u32 v12, s8, v0, 3
	s_add_i32 s5, s5, 2
	s_andn2_b64 vcc, exec, vcc
	v_add_lshl_u32 v13, s6, v0, 3
	s_waitcnt vmcnt(1)
	v_mov_b32_e32 v4, v8
	s_waitcnt vmcnt(0)
	v_mov_b32_e32 v5, v10
	v_mov_b32_e32 v10, v9
	v_pk_mul_f32 v[6:7], s[38:39], v[10:11]
	v_pk_mul_f32 v[8:9], s[36:37], v[10:11]
	v_pk_fma_f32 v[6:7], s[36:37], v[4:5], v[6:7] neg_lo:[0,0,1] neg_hi:[0,0,1]
	v_pk_fma_f32 v[4:5], s[38:39], v[4:5], v[8:9]
	v_mov_b32_e32 v8, v6
	v_mov_b32_e32 v9, v4
	;; [unrolled: 1-line block ×3, first 2 shown]
	ds_write_b64 v12, v[8:9] offset:6272
	ds_write_b64 v13, v[4:5] offset:6272
	s_cbranch_vccnz .LBB165_43
.LBB165_44:
	s_and_b32 s6, s33, 30
	s_cmp_lg_u32 s33, s6
	s_cselect_b64 s[4:5], -1, 0
.LBB165_45:
	s_and_b64 vcc, exec, s[4:5]
	s_cbranch_vccz .LBB165_48
; %bb.46:
	s_mul_i32 s5, s6, 0xe0
	s_sub_i32 s4, s33, s6
	v_lshl_add_u32 v1, v0, 3, s5
	s_lshl_b64 s[8:9], s[26:27], 3
	s_lshl_b32 s5, s6, 3
	s_add_u32 s5, s18, s5
	s_addc_u32 s6, s19, 0
	s_add_u32 s5, s5, s24
	s_addc_u32 s7, s6, s25
	v_lshlrev_b32_e32 v2, 3, v0
	s_add_u32 s6, s5, s16
	v_mov_b32_e32 v3, s9
	v_add_co_u32_e32 v4, vcc, s8, v2
	s_addc_u32 s7, s7, s17
	v_addc_co_u32_e32 v5, vcc, 0, v3, vcc
	v_pk_mov_b32 v[2:3], s[6:7], s[6:7] op_sel:[0,1]
	v_mad_u64_u32 v[2:3], s[6:7], v4, s21, v[2:3]
	v_mul_lo_u32 v4, v4, s44
	v_mul_lo_u32 v5, v5, s21
	v_add3_u32 v3, v5, v3, v4
	v_add_co_u32_e32 v2, vcc, 4, v2
	v_add_u32_e32 v1, 0x1880, v1
	v_addc_co_u32_e32 v3, vcc, 0, v3, vcc
.LBB165_47:                             ; =>This Inner Loop Header: Depth=1
	global_load_dwordx2 v[4:5], v[2:3], off offset:-4
	s_add_i32 s4, s4, -1
	v_add_co_u32_e32 v2, vcc, 8, v2
	v_addc_co_u32_e32 v3, vcc, 0, v3, vcc
	s_cmp_lg_u32 s4, 0
	s_waitcnt vmcnt(0)
	v_mul_f32_e32 v6, s31, v5
	v_mul_f32_e32 v7, s30, v5
	v_fma_f32 v6, s30, v4, -v6
	v_fmac_f32_e32 v7, s31, v4
	ds_write_b64 v1, v[6:7]
	v_add_u32_e32 v1, 0xe0, v1
	s_cbranch_scc1 .LBB165_47
.LBB165_48:
	s_or_b64 exec, exec, s[34:35]
	s_cmpk_eq_i32 s20, 0x6f
	s_mov_b64 s[4:5], -1
	s_waitcnt lgkmcnt(0)
	; wave barrier
	s_waitcnt lgkmcnt(0)
	s_cbranch_scc1 .LBB165_77
; %bb.49:
	v_mov_b32_e32 v1, 0x1880
	s_lshl_b32 s14, s33, 3
	s_mov_b32 s5, 0
	v_lshl_add_u32 v1, v0, 3, v1
	s_add_i32 s14, s14, -8
	v_mov_b32_e32 v10, 0
	s_mov_b32 s4, s5
	s_mov_b32 s15, s45
	s_branch .LBB165_51
.LBB165_50:                             ;   in Loop: Header=BB165_51 Depth=1
	s_cmp_lt_i32 s15, 0
	s_cselect_b64 s[6:7], -1, 0
	s_add_i32 s4, s4, 1
	s_cmp_eq_u32 s4, 3
	s_cselect_b64 s[8:9], -1, 0
	s_or_b64 s[6:7], s[6:7], s[8:9]
	s_andn2_b64 vcc, exec, s[6:7]
	s_cbranch_vccz .LBB165_76
.LBB165_51:                             ; =>This Loop Header: Depth=1
                                        ;     Child Loop BB165_54 Depth 2
                                        ;       Child Loop BB165_55 Depth 3
                                        ;       Child Loop BB165_59 Depth 3
                                        ;         Child Loop BB165_61 Depth 4
                                        ;         Child Loop BB165_67 Depth 4
                                        ;       Child Loop BB165_70 Depth 3
                                        ;         Child Loop BB165_72 Depth 4
	s_lshl_b64 s[6:7], s[4:5], 2
	s_getpc_b64 s[8:9]
	s_add_u32 s8, s8, __const._ZL38rocblas_trsm_small_left_device_sharedBILi28ELi28ELb1E19rocblas_complex_numIfES1_PKS1_PS1_Ev13rocblas_fill_18rocblas_operation_17rocblas_diagonal_iiT3_T4_lilT5_lili.step_sizes@rel32@lo+4
	s_addc_u32 s9, s9, __const._ZL38rocblas_trsm_small_left_device_sharedBILi28ELi28ELb1E19rocblas_complex_numIfES1_PKS1_PS1_Ev13rocblas_fill_18rocblas_operation_17rocblas_diagonal_iiT3_T4_lilT5_lili.step_sizes@rel32@hi+12
	s_add_u32 s6, s6, s8
	s_addc_u32 s7, s7, s9
	s_load_dword s20, s[6:7], 0x0
	s_waitcnt lgkmcnt(0)
	s_add_i32 s30, s20, -1
	s_cmp_lt_i32 s15, s30
	s_cbranch_scc1 .LBB165_50
; %bb.52:                               ;   in Loop: Header=BB165_51 Depth=1
	s_max_i32 s31, s20, 1
	s_cmp_lg_u32 s4, 2
	s_cselect_b64 s[6:7], -1, 0
	s_and_b32 s34, s31, 0x7ffffffe
	s_cmp_lg_u32 s31, s34
	s_mul_i32 s10, s15, 0xe0
	s_cselect_b64 s[8:9], -1, 0
	v_add_u32_e32 v11, s10, v1
	s_mul_i32 s35, s20, 0xffffff20
	s_add_i32 s36, s14, s10
	s_mul_i32 s37, s15, 0xe8
	s_mul_i32 s38, s20, 0xffffff18
	s_branch .LBB165_54
.LBB165_53:                             ;   in Loop: Header=BB165_54 Depth=2
	s_sub_i32 s15, s15, s20
	s_add_i32 s36, s36, s35
	s_add_i32 s37, s37, s38
	s_cmp_lt_i32 s15, s30
	v_add_u32_e32 v11, s35, v11
	s_cbranch_scc1 .LBB165_50
.LBB165_54:                             ;   Parent Loop BB165_51 Depth=1
                                        ; =>  This Loop Header: Depth=2
                                        ;       Child Loop BB165_55 Depth 3
                                        ;       Child Loop BB165_59 Depth 3
                                        ;         Child Loop BB165_61 Depth 4
                                        ;         Child Loop BB165_67 Depth 4
                                        ;       Child Loop BB165_70 Depth 3
                                        ;         Child Loop BB165_72 Depth 4
	v_mov_b32_e32 v2, 0
	v_mov_b32_e32 v3, v11
	s_mov_b32 s10, s31
.LBB165_55:                             ;   Parent Loop BB165_51 Depth=1
                                        ;     Parent Loop BB165_54 Depth=2
                                        ; =>    This Inner Loop Header: Depth=3
	ds_read_b64 v[4:5], v3
	s_add_i32 s10, s10, -1
	v_add_u32_e32 v3, 0xffffff20, v3
	s_cmp_eq_u32 s10, 0
	s_waitcnt lgkmcnt(0)
	buffer_store_dword v5, v2, s[0:3], 0 offen offset:4
	buffer_store_dword v4, v2, s[0:3], 0 offen
	v_add_u32_e32 v2, 8, v2
	s_cbranch_scc0 .LBB165_55
; %bb.56:                               ;   in Loop: Header=BB165_54 Depth=2
	s_cmp_le_i32 s45, s15
	s_cbranch_scc1 .LBB165_68
; %bb.57:                               ;   in Loop: Header=BB165_54 Depth=2
	s_mov_b32 s39, s15
	s_mov_b32 s40, s36
	;; [unrolled: 1-line block ×3, first 2 shown]
	s_branch .LBB165_59
.LBB165_58:                             ;   in Loop: Header=BB165_59 Depth=3
	s_add_i32 s41, s41, -1
	s_add_i32 s40, s40, -8
	s_cmp_le_i32 s41, s15
	s_cbranch_scc1 .LBB165_68
.LBB165_59:                             ;   Parent Loop BB165_51 Depth=1
                                        ;     Parent Loop BB165_54 Depth=2
                                        ; =>    This Loop Header: Depth=3
                                        ;         Child Loop BB165_61 Depth 4
                                        ;         Child Loop BB165_67 Depth 4
	s_mul_i32 s10, s41, 28
	s_waitcnt lgkmcnt(0)
	v_add_lshl_u32 v2, s10, v0, 3
	ds_read_b64 v[2:3], v2 offset:6272
	s_and_b64 vcc, exec, s[6:7]
	s_cbranch_vccz .LBB165_63
; %bb.60:                               ;   in Loop: Header=BB165_59 Depth=3
	s_mov_b32 s10, s41
	s_waitcnt lgkmcnt(0)
	v_mov_b32_e32 v6, v2
	v_mov_b32_e32 v7, v2
	;; [unrolled: 1-line block ×6, first 2 shown]
	s_mov_b32 s11, 1
	s_mov_b32 s12, 0
	;; [unrolled: 1-line block ×3, first 2 shown]
.LBB165_61:                             ;   Parent Loop BB165_51 Depth=1
                                        ;     Parent Loop BB165_54 Depth=2
                                        ;       Parent Loop BB165_59 Depth=3
                                        ; =>      This Inner Loop Header: Depth=4
	buffer_load_dword v12, v5, s[0:3], 0 offen
	buffer_load_dword v14, v5, s[0:3], 0 offen offset:4
	buffer_load_dword v13, v5, s[0:3], 0 offen offset:8
	;; [unrolled: 1-line block ×3, first 2 shown]
	s_sub_i32 s42, s39, s11
	s_sub_i32 s43, s15, s12
	s_mul_i32 s43, s43, 28
	s_mul_i32 s42, s42, 28
	s_add_i32 s42, s42, s10
	s_add_i32 s43, s43, s41
	s_lshl_b32 s43, s43, 3
	s_lshl_b32 s42, s42, 3
	v_mov_b32_e32 v16, s43
	v_mov_b32_e32 v18, s42
	ds_read_b64 v[16:17], v16
	ds_read_b64 v[18:19], v18
	s_add_i32 s12, s12, 2
	s_add_i32 s11, s11, 2
	s_add_i32 s13, s13, -2
	s_waitcnt lgkmcnt(1)
	v_mov_b32_e32 v20, v16
	s_waitcnt lgkmcnt(0)
	v_mov_b32_e32 v21, v18
	v_mov_b32_e32 v18, v17
	v_pk_mul_f32 v[16:17], v[18:19], v[8:9]
	v_pk_mul_f32 v[18:19], v[18:19], v[6:7]
	v_pk_fma_f32 v[16:17], v[20:21], v[6:7], v[16:17] neg_lo:[0,0,1] neg_hi:[0,0,1]
	v_pk_fma_f32 v[18:19], v[20:21], v[8:9], v[18:19]
	s_cmp_lg_u32 s13, 0
	s_waitcnt vmcnt(1)
	v_pk_add_f32 v[12:13], v[12:13], v[16:17] neg_lo:[0,1] neg_hi:[0,1]
	s_waitcnt vmcnt(0)
	v_pk_add_f32 v[14:15], v[14:15], v[18:19] neg_lo:[0,1] neg_hi:[0,1]
	buffer_store_dword v12, v5, s[0:3], 0 offen
	buffer_store_dword v14, v5, s[0:3], 0 offen offset:4
	buffer_store_dword v13, v5, s[0:3], 0 offen offset:8
	;; [unrolled: 1-line block ×3, first 2 shown]
	v_add_u32_e32 v5, 16, v5
	s_cbranch_scc1 .LBB165_61
; %bb.62:                               ;   in Loop: Header=BB165_59 Depth=3
	s_mov_b64 s[10:11], s[8:9]
	s_mov_b32 s12, s34
	s_branch .LBB165_65
.LBB165_63:                             ;   in Loop: Header=BB165_59 Depth=3
	s_mov_b64 s[10:11], 0
                                        ; implicit-def: $vgpr4_vgpr5
	s_mov_b32 s12, s34
	s_cbranch_execz .LBB165_65
; %bb.64:                               ;   in Loop: Header=BB165_59 Depth=3
	s_waitcnt lgkmcnt(0)
	v_mov_b32_e32 v4, v3
	s_mov_b64 s[10:11], -1
	s_mov_b32 s12, 0
.LBB165_65:                             ;   in Loop: Header=BB165_59 Depth=3
	s_andn2_b64 vcc, exec, s[10:11]
	s_cbranch_vccnz .LBB165_58
; %bb.66:                               ;   in Loop: Header=BB165_59 Depth=3
	s_sub_i32 s10, s31, s12
	s_mul_i32 s11, s12, 0xffffff20
	s_lshl_b32 s12, s12, 3
	s_waitcnt lgkmcnt(0)
	v_mov_b32_e32 v5, v3
	v_mov_b32_e32 v3, v2
	s_add_i32 s11, s40, s11
	v_add_u32_e32 v6, s12, v10
.LBB165_67:                             ;   Parent Loop BB165_51 Depth=1
                                        ;     Parent Loop BB165_54 Depth=2
                                        ;       Parent Loop BB165_59 Depth=3
                                        ; =>      This Inner Loop Header: Depth=4
	buffer_load_dword v8, v6, s[0:3], 0 offen
	buffer_load_dword v9, v6, s[0:3], 0 offen offset:4
	v_mov_b32_e32 v7, s11
	ds_read_b64 v[12:13], v7
	s_add_i32 s10, s10, -1
	s_addk_i32 s11, 0xff20
	s_cmp_eq_u32 s10, 0
	s_waitcnt lgkmcnt(0)
	v_pk_mul_f32 v[14:15], v[12:13], v[4:5]
	v_pk_fma_f32 v[16:17], v[12:13], v[2:3], v[14:15] op_sel:[0,0,1] op_sel_hi:[1,1,0] neg_lo:[0,0,1] neg_hi:[0,0,1]
	v_pk_fma_f32 v[12:13], v[12:13], v[2:3], v[14:15] op_sel:[0,0,1] op_sel_hi:[1,1,0]
	v_mov_b32_e32 v17, v13
	s_waitcnt vmcnt(0)
	v_pk_add_f32 v[8:9], v[8:9], v[16:17] neg_lo:[0,1] neg_hi:[0,1]
	buffer_store_dword v8, v6, s[0:3], 0 offen
	buffer_store_dword v9, v6, s[0:3], 0 offen offset:4
	v_add_u32_e32 v6, 8, v6
	s_cbranch_scc0 .LBB165_67
	s_branch .LBB165_58
.LBB165_68:                             ;   in Loop: Header=BB165_54 Depth=2
	s_mul_i32 s12, s15, 28
	s_mov_b32 s13, 0
	s_mov_b32 s39, s37
	s_branch .LBB165_70
.LBB165_69:                             ;   in Loop: Header=BB165_70 Depth=3
	s_mul_i32 s10, s41, 0xe8
	v_mov_b32_e32 v4, s10
	ds_read_b64 v[4:5], v4
	s_lshl_b32 s10, s13, 3
	s_add_i32 s13, s13, 1
	s_addk_i32 s39, 0xff20
	v_add_u32_e32 v8, s10, v10
	s_waitcnt vmcnt(0) lgkmcnt(0)
	v_mul_f32_e32 v6, v5, v3
	v_mul_f32_e32 v7, v4, v3
	v_fma_f32 v6, v4, v2, -v6
	v_fmac_f32_e32 v7, v5, v2
	v_add_lshl_u32 v2, s40, v0, 3
	s_cmp_eq_u32 s13, s31
	buffer_store_dword v6, v8, s[0:3], 0 offen
	buffer_store_dword v7, v8, s[0:3], 0 offen offset:4
	ds_write_b64 v2, v[6:7] offset:6272
	s_cbranch_scc1 .LBB165_53
.LBB165_70:                             ;   Parent Loop BB165_51 Depth=1
                                        ;     Parent Loop BB165_54 Depth=2
                                        ; =>    This Loop Header: Depth=3
                                        ;         Child Loop BB165_72 Depth 4
	s_cmp_lg_u32 s13, 0
	s_cbranch_scc0 .LBB165_74
; %bb.71:                               ;   in Loop: Header=BB165_70 Depth=3
	s_lshl_b32 s10, s13, 3
	v_add_u32_e32 v4, s10, v10
	s_waitcnt lgkmcnt(0)
	buffer_load_dword v2, v4, s[0:3], 0 offen
	buffer_load_dword v3, v4, s[0:3], 0 offen offset:4
	v_mov_b32_e32 v5, 0
	s_mov_b32 s10, 0
	s_mov_b32 s11, s39
.LBB165_72:                             ;   Parent Loop BB165_51 Depth=1
                                        ;     Parent Loop BB165_54 Depth=2
                                        ;       Parent Loop BB165_70 Depth=3
                                        ; =>      This Inner Loop Header: Depth=4
	buffer_load_dword v7, v5, s[0:3], 0 offen offset:4
	buffer_load_dword v6, v5, s[0:3], 0 offen
	v_mov_b32_e32 v8, s11
	ds_read_b64 v[8:9], v8
	s_add_i32 s10, s10, 1
	s_add_i32 s11, s11, -8
	v_add_u32_e32 v5, 8, v5
	s_cmp_ge_u32 s10, s13
	s_waitcnt vmcnt(1)
	v_mov_b32_e32 v12, v7
	s_waitcnt lgkmcnt(0)
	v_pk_mul_f32 v[12:13], v[8:9], v[12:13] op_sel_hi:[1,0]
	s_waitcnt vmcnt(0)
	v_pk_fma_f32 v[14:15], v[8:9], v[6:7], v[12:13] op_sel:[0,0,1] op_sel_hi:[1,1,0] neg_lo:[0,0,1] neg_hi:[0,0,1]
	v_pk_fma_f32 v[6:7], v[8:9], v[6:7], v[12:13] op_sel:[0,0,1] op_sel_hi:[1,0,0]
	v_mov_b32_e32 v15, v7
	v_pk_add_f32 v[2:3], v[2:3], v[14:15] neg_lo:[0,1] neg_hi:[0,1]
	buffer_store_dword v2, v4, s[0:3], 0 offen
	buffer_store_dword v3, v4, s[0:3], 0 offen offset:4
	s_cbranch_scc0 .LBB165_72
; %bb.73:                               ;   in Loop: Header=BB165_70 Depth=3
	s_sub_i32 s41, s15, s13
	s_mul_i32 s40, s41, 28
	s_branch .LBB165_69
.LBB165_74:                             ;   in Loop: Header=BB165_70 Depth=3
                                        ; implicit-def: $vgpr2
                                        ; implicit-def: $sgpr41
                                        ; implicit-def: $sgpr40
	s_cbranch_execz .LBB165_69
; %bb.75:                               ;   in Loop: Header=BB165_70 Depth=3
	s_waitcnt lgkmcnt(0)
	buffer_load_dword v2, off, s[0:3], 0
	buffer_load_dword v3, off, s[0:3], 0 offset:4
	s_mov_b32 s40, s12
	s_mov_b32 s41, s15
	s_branch .LBB165_69
.LBB165_76:
	s_mov_b64 s[4:5], 0
.LBB165_77:
	s_and_b64 vcc, exec, s[4:5]
	s_cbranch_vccz .LBB165_105
; %bb.78:
	v_mov_b32_e32 v1, 0x1880
	s_mov_b32 s5, 0
	v_lshl_add_u32 v1, v0, 3, v1
	v_mov_b32_e32 v10, 0
	s_mov_b32 s4, s5
	s_mov_b32 s14, s5
	s_branch .LBB165_80
.LBB165_79:                             ;   in Loop: Header=BB165_80 Depth=1
	s_cmp_ge_i32 s14, s33
	s_cselect_b64 s[6:7], -1, 0
	s_add_i32 s4, s4, 1
	s_cmp_eq_u32 s4, 3
	s_cselect_b64 s[8:9], -1, 0
	s_or_b64 s[6:7], s[6:7], s[8:9]
	s_and_b64 vcc, exec, s[6:7]
	s_cbranch_vccnz .LBB165_105
.LBB165_80:                             ; =>This Loop Header: Depth=1
                                        ;     Child Loop BB165_83 Depth 2
                                        ;       Child Loop BB165_84 Depth 3
                                        ;       Child Loop BB165_88 Depth 3
                                        ;         Child Loop BB165_90 Depth 4
                                        ;         Child Loop BB165_96 Depth 4
                                        ;       Child Loop BB165_99 Depth 3
                                        ;         Child Loop BB165_101 Depth 4
	s_lshl_b64 s[6:7], s[4:5], 2
	s_getpc_b64 s[8:9]
	s_add_u32 s8, s8, __const._ZL38rocblas_trsm_small_left_device_sharedBILi28ELi28ELb1E19rocblas_complex_numIfES1_PKS1_PS1_Ev13rocblas_fill_18rocblas_operation_17rocblas_diagonal_iiT3_T4_lilT5_lili.step_sizes@rel32@lo+4
	s_addc_u32 s9, s9, __const._ZL38rocblas_trsm_small_left_device_sharedBILi28ELi28ELb1E19rocblas_complex_numIfES1_PKS1_PS1_Ev13rocblas_fill_18rocblas_operation_17rocblas_diagonal_iiT3_T4_lilT5_lili.step_sizes@rel32@hi+12
	s_add_u32 s6, s6, s8
	s_addc_u32 s7, s7, s9
	s_load_dword s15, s[6:7], 0x0
	s_waitcnt lgkmcnt(0)
	s_add_i32 s20, s15, -1
	s_add_i32 s6, s20, s14
	s_cmp_ge_i32 s6, s33
	s_cbranch_scc1 .LBB165_79
; %bb.81:                               ;   in Loop: Header=BB165_80 Depth=1
	s_max_i32 s30, s15, 1
	s_cmp_lg_u32 s4, 2
	s_cselect_b64 s[6:7], -1, 0
	s_and_b32 s31, s30, 0x7ffffffe
	s_cmp_lg_u32 s30, s31
	s_mul_i32 s10, s14, 0xe0
	s_cselect_b64 s[8:9], -1, 0
	v_add_u32_e32 v11, s10, v1
	s_mul_i32 s34, s15, 0xe0
	s_mul_i32 s35, s14, 0xe8
	;; [unrolled: 1-line block ×3, first 2 shown]
	s_branch .LBB165_83
.LBB165_82:                             ;   in Loop: Header=BB165_83 Depth=2
	s_add_i32 s14, s14, s15
	s_add_i32 s10, s20, s14
	;; [unrolled: 1-line block ×3, first 2 shown]
	s_cmp_ge_i32 s10, s33
	v_add_u32_e32 v11, s34, v11
	s_cbranch_scc1 .LBB165_79
.LBB165_83:                             ;   Parent Loop BB165_80 Depth=1
                                        ; =>  This Loop Header: Depth=2
                                        ;       Child Loop BB165_84 Depth 3
                                        ;       Child Loop BB165_88 Depth 3
                                        ;         Child Loop BB165_90 Depth 4
                                        ;         Child Loop BB165_96 Depth 4
                                        ;       Child Loop BB165_99 Depth 3
                                        ;         Child Loop BB165_101 Depth 4
	v_mov_b32_e32 v2, 0
	v_mov_b32_e32 v3, v11
	s_mov_b32 s10, s30
.LBB165_84:                             ;   Parent Loop BB165_80 Depth=1
                                        ;     Parent Loop BB165_83 Depth=2
                                        ; =>    This Inner Loop Header: Depth=3
	ds_read_b64 v[4:5], v3
	s_add_i32 s10, s10, -1
	v_add_u32_e32 v3, 0xe0, v3
	s_cmp_eq_u32 s10, 0
	s_waitcnt lgkmcnt(0)
	buffer_store_dword v5, v2, s[0:3], 0 offen offset:4
	buffer_store_dword v4, v2, s[0:3], 0 offen
	v_add_u32_e32 v2, 8, v2
	s_cbranch_scc0 .LBB165_84
; %bb.85:                               ;   in Loop: Header=BB165_83 Depth=2
	s_cmp_lt_i32 s14, 1
	s_cbranch_scc1 .LBB165_97
; %bb.86:                               ;   in Loop: Header=BB165_83 Depth=2
	s_mov_b32 s37, 0
	s_mov_b32 s38, s14
	s_branch .LBB165_88
.LBB165_87:                             ;   in Loop: Header=BB165_88 Depth=3
	s_add_i32 s37, s37, 1
	s_add_i32 s38, s38, 28
	s_cmp_ge_i32 s37, s14
	s_cbranch_scc1 .LBB165_97
.LBB165_88:                             ;   Parent Loop BB165_80 Depth=1
                                        ;     Parent Loop BB165_83 Depth=2
                                        ; =>    This Loop Header: Depth=3
                                        ;         Child Loop BB165_90 Depth 4
                                        ;         Child Loop BB165_96 Depth 4
	s_mul_i32 s10, s37, 28
	s_waitcnt lgkmcnt(0)
	v_add_lshl_u32 v2, s10, v0, 3
	ds_read_b64 v[2:3], v2 offset:6272
	s_and_b64 vcc, exec, s[6:7]
	s_cbranch_vccz .LBB165_92
; %bb.89:                               ;   in Loop: Header=BB165_88 Depth=3
	s_add_i32 s10, s10, s14
	s_mov_b32 s11, s10
	s_waitcnt lgkmcnt(0)
	v_mov_b32_e32 v6, v2
	v_mov_b32_e32 v7, v2
	;; [unrolled: 1-line block ×6, first 2 shown]
	s_mov_b32 s12, 1
	s_mov_b32 s13, 0
	;; [unrolled: 1-line block ×3, first 2 shown]
.LBB165_90:                             ;   Parent Loop BB165_80 Depth=1
                                        ;     Parent Loop BB165_83 Depth=2
                                        ;       Parent Loop BB165_88 Depth=3
                                        ; =>      This Inner Loop Header: Depth=4
	buffer_load_dword v12, v5, s[0:3], 0 offen
	buffer_load_dword v14, v5, s[0:3], 0 offen offset:4
	buffer_load_dword v13, v5, s[0:3], 0 offen offset:8
	;; [unrolled: 1-line block ×3, first 2 shown]
	s_add_i32 s40, s11, s12
	s_add_i32 s41, s10, s13
	s_lshl_b32 s41, s41, 3
	s_lshl_b32 s40, s40, 3
	v_mov_b32_e32 v16, s41
	v_mov_b32_e32 v18, s40
	ds_read_b64 v[16:17], v16
	ds_read_b64 v[18:19], v18
	s_add_i32 s13, s13, 2
	s_add_i32 s12, s12, 2
	s_add_i32 s39, s39, -2
	s_waitcnt lgkmcnt(1)
	v_mov_b32_e32 v20, v16
	s_waitcnt lgkmcnt(0)
	v_mov_b32_e32 v21, v18
	v_mov_b32_e32 v18, v17
	v_pk_mul_f32 v[16:17], v[18:19], v[8:9]
	v_pk_mul_f32 v[18:19], v[18:19], v[6:7]
	v_pk_fma_f32 v[16:17], v[20:21], v[6:7], v[16:17] neg_lo:[0,0,1] neg_hi:[0,0,1]
	v_pk_fma_f32 v[18:19], v[20:21], v[8:9], v[18:19]
	s_cmp_lg_u32 s39, 0
	s_waitcnt vmcnt(1)
	v_pk_add_f32 v[12:13], v[12:13], v[16:17] neg_lo:[0,1] neg_hi:[0,1]
	s_waitcnt vmcnt(0)
	v_pk_add_f32 v[14:15], v[14:15], v[18:19] neg_lo:[0,1] neg_hi:[0,1]
	buffer_store_dword v12, v5, s[0:3], 0 offen
	buffer_store_dword v14, v5, s[0:3], 0 offen offset:4
	buffer_store_dword v13, v5, s[0:3], 0 offen offset:8
	;; [unrolled: 1-line block ×3, first 2 shown]
	v_add_u32_e32 v5, 16, v5
	s_cbranch_scc1 .LBB165_90
; %bb.91:                               ;   in Loop: Header=BB165_88 Depth=3
	s_mov_b64 s[10:11], s[8:9]
	s_mov_b32 s12, s31
	s_branch .LBB165_94
.LBB165_92:                             ;   in Loop: Header=BB165_88 Depth=3
	s_mov_b64 s[10:11], 0
                                        ; implicit-def: $vgpr4_vgpr5
	s_mov_b32 s12, s31
	s_cbranch_execz .LBB165_94
; %bb.93:                               ;   in Loop: Header=BB165_88 Depth=3
	s_waitcnt lgkmcnt(0)
	v_mov_b32_e32 v4, v3
	s_mov_b64 s[10:11], -1
	s_mov_b32 s12, 0
.LBB165_94:                             ;   in Loop: Header=BB165_88 Depth=3
	s_andn2_b64 vcc, exec, s[10:11]
	s_cbranch_vccnz .LBB165_87
; %bb.95:                               ;   in Loop: Header=BB165_88 Depth=3
	s_sub_i32 s10, s30, s12
	s_add_i32 s11, s12, s38
	s_lshl_b32 s12, s12, 3
	s_waitcnt lgkmcnt(0)
	v_mov_b32_e32 v5, v3
	v_mov_b32_e32 v3, v2
	s_lshl_b32 s11, s11, 3
	v_add_u32_e32 v6, s12, v10
.LBB165_96:                             ;   Parent Loop BB165_80 Depth=1
                                        ;     Parent Loop BB165_83 Depth=2
                                        ;       Parent Loop BB165_88 Depth=3
                                        ; =>      This Inner Loop Header: Depth=4
	buffer_load_dword v8, v6, s[0:3], 0 offen
	buffer_load_dword v9, v6, s[0:3], 0 offen offset:4
	v_mov_b32_e32 v7, s11
	ds_read_b64 v[12:13], v7
	s_add_i32 s10, s10, -1
	s_add_i32 s11, s11, 8
	s_cmp_eq_u32 s10, 0
	s_waitcnt lgkmcnt(0)
	v_pk_mul_f32 v[14:15], v[12:13], v[4:5]
	v_pk_fma_f32 v[16:17], v[12:13], v[2:3], v[14:15] op_sel:[0,0,1] op_sel_hi:[1,1,0] neg_lo:[0,0,1] neg_hi:[0,0,1]
	v_pk_fma_f32 v[12:13], v[12:13], v[2:3], v[14:15] op_sel:[0,0,1] op_sel_hi:[1,1,0]
	v_mov_b32_e32 v17, v13
	s_waitcnt vmcnt(0)
	v_pk_add_f32 v[8:9], v[8:9], v[16:17] neg_lo:[0,1] neg_hi:[0,1]
	buffer_store_dword v8, v6, s[0:3], 0 offen
	buffer_store_dword v9, v6, s[0:3], 0 offen offset:4
	v_add_u32_e32 v6, 8, v6
	s_cbranch_scc0 .LBB165_96
	s_branch .LBB165_87
.LBB165_97:                             ;   in Loop: Header=BB165_83 Depth=2
	s_mov_b32 s12, 0
	s_mov_b32 s13, s35
	s_branch .LBB165_99
.LBB165_98:                             ;   in Loop: Header=BB165_99 Depth=3
	s_mul_i32 s10, s37, 0xe8
	v_mov_b32_e32 v4, s10
	ds_read_b64 v[4:5], v4
	s_mul_i32 s10, s37, 28
	s_lshl_b32 s11, s12, 3
	s_add_i32 s12, s12, 1
	s_add_i32 s13, s13, 8
	s_waitcnt vmcnt(0) lgkmcnt(0)
	v_mul_f32_e32 v6, v5, v3
	v_mul_f32_e32 v7, v4, v3
	v_add_u32_e32 v8, s11, v10
	v_fma_f32 v6, v4, v2, -v6
	v_fmac_f32_e32 v7, v5, v2
	v_add_lshl_u32 v2, s10, v0, 3
	s_cmp_eq_u32 s12, s30
	buffer_store_dword v6, v8, s[0:3], 0 offen
	buffer_store_dword v7, v8, s[0:3], 0 offen offset:4
	ds_write_b64 v2, v[6:7] offset:6272
	s_cbranch_scc1 .LBB165_82
.LBB165_99:                             ;   Parent Loop BB165_80 Depth=1
                                        ;     Parent Loop BB165_83 Depth=2
                                        ; =>    This Loop Header: Depth=3
                                        ;         Child Loop BB165_101 Depth 4
	s_cmp_lg_u32 s12, 0
	s_cbranch_scc0 .LBB165_103
; %bb.100:                              ;   in Loop: Header=BB165_99 Depth=3
	s_lshl_b32 s10, s12, 3
	v_add_u32_e32 v4, s10, v10
	s_waitcnt lgkmcnt(0)
	buffer_load_dword v2, v4, s[0:3], 0 offen
	buffer_load_dword v3, v4, s[0:3], 0 offen offset:4
	v_mov_b32_e32 v5, 0
	s_mov_b32 s10, 0
	s_mov_b32 s11, s13
.LBB165_101:                            ;   Parent Loop BB165_80 Depth=1
                                        ;     Parent Loop BB165_83 Depth=2
                                        ;       Parent Loop BB165_99 Depth=3
                                        ; =>      This Inner Loop Header: Depth=4
	buffer_load_dword v7, v5, s[0:3], 0 offen offset:4
	buffer_load_dword v6, v5, s[0:3], 0 offen
	v_mov_b32_e32 v8, s11
	ds_read_b64 v[8:9], v8
	s_add_i32 s10, s10, 1
	s_addk_i32 s11, 0xe0
	v_add_u32_e32 v5, 8, v5
	s_cmp_ge_u32 s10, s12
	s_waitcnt vmcnt(1)
	v_mov_b32_e32 v12, v7
	s_waitcnt lgkmcnt(0)
	v_pk_mul_f32 v[12:13], v[8:9], v[12:13] op_sel_hi:[1,0]
	s_waitcnt vmcnt(0)
	v_pk_fma_f32 v[14:15], v[8:9], v[6:7], v[12:13] op_sel:[0,0,1] op_sel_hi:[1,1,0] neg_lo:[0,0,1] neg_hi:[0,0,1]
	v_pk_fma_f32 v[6:7], v[8:9], v[6:7], v[12:13] op_sel:[0,0,1] op_sel_hi:[1,0,0]
	v_mov_b32_e32 v15, v7
	v_pk_add_f32 v[2:3], v[2:3], v[14:15] neg_lo:[0,1] neg_hi:[0,1]
	buffer_store_dword v2, v4, s[0:3], 0 offen
	buffer_store_dword v3, v4, s[0:3], 0 offen offset:4
	s_cbranch_scc0 .LBB165_101
; %bb.102:                              ;   in Loop: Header=BB165_99 Depth=3
	s_add_i32 s37, s12, s14
	s_branch .LBB165_98
.LBB165_103:                            ;   in Loop: Header=BB165_99 Depth=3
                                        ; implicit-def: $vgpr2
                                        ; implicit-def: $sgpr37
	s_cbranch_execz .LBB165_98
; %bb.104:                              ;   in Loop: Header=BB165_99 Depth=3
	s_waitcnt lgkmcnt(0)
	buffer_load_dword v2, off, s[0:3], 0
	buffer_load_dword v3, off, s[0:3], 0 offset:4
	s_mov_b32 s37, s14
	s_branch .LBB165_98
.LBB165_105:
	s_waitcnt lgkmcnt(0)
	; wave barrier
	s_waitcnt lgkmcnt(0)
	s_and_saveexec_b64 s[4:5], s[28:29]
	s_cbranch_execz .LBB165_112
; %bb.106:
	s_cmp_lt_i32 s22, 8
	s_mov_b32 s4, 0
	s_cbranch_scc1 .LBB165_109
; %bb.107:
	v_mad_i64_i32 v[2:3], s[4:5], s21, v0, 0
	v_lshlrev_b64 v[2:3], 3, v[2:3]
	v_mov_b32_e32 v4, s46
	v_add_co_u32_e32 v1, vcc, s23, v2
	v_addc_co_u32_e32 v2, vcc, v4, v3, vcc
	v_mov_b32_e32 v3, 0x1880
	s_lshl_b32 s4, s33, 3
	v_lshl_add_u32 v3, v0, 3, v3
	s_and_b32 s5, s4, 0xc0
	s_mov_b32 s4, 0
	s_mov_b64 s[6:7], 0
.LBB165_108:                            ; =>This Inner Loop Header: Depth=1
	ds_read2_b64 v[4:7], v3 offset1:28
	ds_read2_b64 v[8:11], v3 offset0:56 offset1:84
	ds_read2_b64 v[12:15], v3 offset0:112 offset1:140
	ds_read2_b64 v[16:19], v3 offset0:168 offset1:196
	s_add_i32 s4, s4, 8
	v_add_co_u32_e32 v20, vcc, s6, v1
	s_add_u32 s6, s6, 64
	v_mov_b32_e32 v21, s7
	s_addc_u32 s7, s7, 0
	v_add_u32_e32 v3, 0x700, v3
	v_addc_co_u32_e32 v21, vcc, v2, v21, vcc
	s_cmp_lg_u32 s5, s6
	s_waitcnt lgkmcnt(3)
	global_store_dwordx4 v[20:21], v[4:7], off
	s_waitcnt lgkmcnt(2)
	global_store_dwordx4 v[20:21], v[8:11], off offset:16
	s_waitcnt lgkmcnt(1)
	global_store_dwordx4 v[20:21], v[12:15], off offset:32
	;; [unrolled: 2-line block ×3, first 2 shown]
	s_cbranch_scc1 .LBB165_108
.LBB165_109:
	s_and_b32 s6, s33, 7
	s_cmp_eq_u32 s6, 0
	s_mov_b32 s5, 0
	s_cbranch_scc1 .LBB165_112
; %bb.110:
	s_lshl_b64 s[8:9], s[26:27], 3
	v_lshlrev_b32_e32 v1, 3, v0
	v_mov_b32_e32 v2, s9
	v_add_co_u32_e32 v1, vcc, s8, v1
	s_lshl_b64 s[8:9], s[4:5], 3
	s_add_u32 s5, s18, s8
	s_addc_u32 s7, s19, s9
	s_add_u32 s5, s5, s24
	s_addc_u32 s7, s7, s25
	;; [unrolled: 2-line block ×3, first 2 shown]
	v_addc_co_u32_e32 v4, vcc, 0, v2, vcc
	v_pk_mov_b32 v[2:3], s[8:9], s[8:9] op_sel:[0,1]
	s_mulk_i32 s4, 0xe0
	v_mad_u64_u32 v[2:3], s[8:9], v1, s21, v[2:3]
	v_mul_lo_u32 v1, v1, s44
	v_mul_lo_u32 v4, v4, s21
	v_lshl_add_u32 v0, v0, 3, s4
	v_add3_u32 v3, v4, v3, v1
	v_add_u32_e32 v0, 0x1880, v0
.LBB165_111:                            ; =>This Inner Loop Header: Depth=1
	ds_read_b64 v[4:5], v0
	s_add_i32 s6, s6, -1
	v_add_u32_e32 v0, 0xe0, v0
	s_cmp_lg_u32 s6, 0
	s_waitcnt lgkmcnt(0)
	global_store_dwordx2 v[2:3], v[4:5], off
	v_add_co_u32_e32 v2, vcc, 8, v2
	v_addc_co_u32_e32 v3, vcc, 0, v3, vcc
	s_cbranch_scc1 .LBB165_111
.LBB165_112:
	s_endpgm
	.section	.rodata,"a",@progbits
	.p2align	6, 0x0
	.amdhsa_kernel _ZL38rocblas_trsm_small_left_device_sharedBILi28ELi28ELb1E19rocblas_complex_numIfES1_PKS1_PS1_Ev13rocblas_fill_18rocblas_operation_17rocblas_diagonal_iiT3_T4_lilT5_lili
		.amdhsa_group_segment_fixed_size 12544
		.amdhsa_private_segment_fixed_size 240
		.amdhsa_kernarg_size 360
		.amdhsa_user_sgpr_count 8
		.amdhsa_user_sgpr_private_segment_buffer 1
		.amdhsa_user_sgpr_dispatch_ptr 0
		.amdhsa_user_sgpr_queue_ptr 0
		.amdhsa_user_sgpr_kernarg_segment_ptr 1
		.amdhsa_user_sgpr_dispatch_id 0
		.amdhsa_user_sgpr_flat_scratch_init 1
		.amdhsa_user_sgpr_kernarg_preload_length 0
		.amdhsa_user_sgpr_kernarg_preload_offset 0
		.amdhsa_user_sgpr_private_segment_size 0
		.amdhsa_uses_dynamic_stack 0
		.amdhsa_system_sgpr_private_segment_wavefront_offset 1
		.amdhsa_system_sgpr_workgroup_id_x 1
		.amdhsa_system_sgpr_workgroup_id_y 0
		.amdhsa_system_sgpr_workgroup_id_z 1
		.amdhsa_system_sgpr_workgroup_info 0
		.amdhsa_system_vgpr_workitem_id 0
		.amdhsa_next_free_vgpr 43
		.amdhsa_next_free_sgpr 54
		.amdhsa_accum_offset 44
		.amdhsa_reserve_vcc 1
		.amdhsa_reserve_flat_scratch 0
		.amdhsa_float_round_mode_32 0
		.amdhsa_float_round_mode_16_64 0
		.amdhsa_float_denorm_mode_32 3
		.amdhsa_float_denorm_mode_16_64 3
		.amdhsa_dx10_clamp 1
		.amdhsa_ieee_mode 1
		.amdhsa_fp16_overflow 0
		.amdhsa_tg_split 0
		.amdhsa_exception_fp_ieee_invalid_op 0
		.amdhsa_exception_fp_denorm_src 0
		.amdhsa_exception_fp_ieee_div_zero 0
		.amdhsa_exception_fp_ieee_overflow 0
		.amdhsa_exception_fp_ieee_underflow 0
		.amdhsa_exception_fp_ieee_inexact 0
		.amdhsa_exception_int_div_zero 0
	.end_amdhsa_kernel
	.section	.text._ZL38rocblas_trsm_small_left_device_sharedBILi28ELi28ELb1E19rocblas_complex_numIfES1_PKS1_PS1_Ev13rocblas_fill_18rocblas_operation_17rocblas_diagonal_iiT3_T4_lilT5_lili,"axG",@progbits,_ZL38rocblas_trsm_small_left_device_sharedBILi28ELi28ELb1E19rocblas_complex_numIfES1_PKS1_PS1_Ev13rocblas_fill_18rocblas_operation_17rocblas_diagonal_iiT3_T4_lilT5_lili,comdat
.Lfunc_end165:
	.size	_ZL38rocblas_trsm_small_left_device_sharedBILi28ELi28ELb1E19rocblas_complex_numIfES1_PKS1_PS1_Ev13rocblas_fill_18rocblas_operation_17rocblas_diagonal_iiT3_T4_lilT5_lili, .Lfunc_end165-_ZL38rocblas_trsm_small_left_device_sharedBILi28ELi28ELb1E19rocblas_complex_numIfES1_PKS1_PS1_Ev13rocblas_fill_18rocblas_operation_17rocblas_diagonal_iiT3_T4_lilT5_lili
                                        ; -- End function
	.section	.AMDGPU.csdata,"",@progbits
; Kernel info:
; codeLenInByte = 5356
; NumSgprs: 58
; NumVgprs: 43
; NumAgprs: 0
; TotalNumVgprs: 43
; ScratchSize: 240
; MemoryBound: 0
; FloatMode: 240
; IeeeMode: 1
; LDSByteSize: 12544 bytes/workgroup (compile time only)
; SGPRBlocks: 7
; VGPRBlocks: 5
; NumSGPRsForWavesPerEU: 58
; NumVGPRsForWavesPerEU: 43
; AccumOffset: 44
; Occupancy: 2
; WaveLimiterHint : 0
; COMPUTE_PGM_RSRC2:SCRATCH_EN: 1
; COMPUTE_PGM_RSRC2:USER_SGPR: 8
; COMPUTE_PGM_RSRC2:TRAP_HANDLER: 0
; COMPUTE_PGM_RSRC2:TGID_X_EN: 1
; COMPUTE_PGM_RSRC2:TGID_Y_EN: 0
; COMPUTE_PGM_RSRC2:TGID_Z_EN: 1
; COMPUTE_PGM_RSRC2:TIDIG_COMP_CNT: 0
; COMPUTE_PGM_RSRC3_GFX90A:ACCUM_OFFSET: 10
; COMPUTE_PGM_RSRC3_GFX90A:TG_SPLIT: 0
	.section	.text._ZL30rocblas_trsm_small_left_deviceILi28ELi28ELb1E19rocblas_complex_numIfES1_PKS1_PS1_Ev13rocblas_fill_18rocblas_operation_17rocblas_diagonal_iiT3_T4_lilT5_lili,"axG",@progbits,_ZL30rocblas_trsm_small_left_deviceILi28ELi28ELb1E19rocblas_complex_numIfES1_PKS1_PS1_Ev13rocblas_fill_18rocblas_operation_17rocblas_diagonal_iiT3_T4_lilT5_lili,comdat
	.globl	_ZL30rocblas_trsm_small_left_deviceILi28ELi28ELb1E19rocblas_complex_numIfES1_PKS1_PS1_Ev13rocblas_fill_18rocblas_operation_17rocblas_diagonal_iiT3_T4_lilT5_lili ; -- Begin function _ZL30rocblas_trsm_small_left_deviceILi28ELi28ELb1E19rocblas_complex_numIfES1_PKS1_PS1_Ev13rocblas_fill_18rocblas_operation_17rocblas_diagonal_iiT3_T4_lilT5_lili
	.p2align	8
	.type	_ZL30rocblas_trsm_small_left_deviceILi28ELi28ELb1E19rocblas_complex_numIfES1_PKS1_PS1_Ev13rocblas_fill_18rocblas_operation_17rocblas_diagonal_iiT3_T4_lilT5_lili,@function
_ZL30rocblas_trsm_small_left_deviceILi28ELi28ELb1E19rocblas_complex_numIfES1_PKS1_PS1_Ev13rocblas_fill_18rocblas_operation_17rocblas_diagonal_iiT3_T4_lilT5_lili: ; @_ZL30rocblas_trsm_small_left_deviceILi28ELi28ELb1E19rocblas_complex_numIfES1_PKS1_PS1_Ev13rocblas_fill_18rocblas_operation_17rocblas_diagonal_iiT3_T4_lilT5_lili
; %bb.0:
	s_add_u32 s0, s0, s10
	s_load_dwordx4 s[16:19], s[4:5], 0x4
	s_load_dwordx2 s[24:25], s[4:5], 0x14
	s_load_dwordx4 s[12:15], s[4:5], 0x38
	s_load_dwordx2 s[26:27], s[4:5], 0x48
	s_load_dword s43, s[4:5], 0x68
	s_addc_u32 s1, s1, 0
	s_waitcnt lgkmcnt(0)
	s_min_i32 s33, s18, 28
	s_mov_b32 s44, 0
	s_add_i32 s42, s33, -1
	v_cmp_gt_i32_e32 vcc, s33, v0
	s_and_saveexec_b64 s[28:29], vcc
	s_cbranch_execz .LBB166_35
; %bb.1:
	s_load_dword s30, s[4:5], 0x30
	s_load_dwordx4 s[20:23], s[4:5], 0x20
	s_mul_i32 s6, s9, s13
	s_mul_hi_u32 s7, s9, s12
	s_mul_i32 s12, s9, s12
	s_waitcnt lgkmcnt(0)
	s_ashr_i32 s31, s30, 31
	s_cmpk_lg_i32 s16, 0x71
	s_cselect_b64 s[34:35], -1, 0
	s_add_i32 s13, s7, s6
	v_cndmask_b32_e64 v2, 0, 1, s[34:35]
	s_cmp_lt_u32 s42, 3
	v_lshlrev_b32_e32 v1, 3, v0
	v_cmp_ne_u32_e64 s[6:7], 1, v2
	s_cbranch_scc1 .LBB166_20
; %bb.2:
	s_lshl_b64 s[10:11], s[12:13], 3
	s_add_u32 s18, s20, s10
	s_addc_u32 s36, s21, s11
	s_lshl_b64 s[10:11], s[22:23], 3
	s_add_u32 s10, s18, s10
	s_addc_u32 s11, s36, s11
	v_mov_b32_e32 v3, s11
	v_add_co_u32_e32 v2, vcc, s10, v1
	s_mul_hi_i32 s10, s30, 24
	s_lshl_b64 s[36:37], s[30:31], 5
	s_lshl_b64 s[38:39], s[30:31], 4
	;; [unrolled: 1-line block ×3, first 2 shown]
	v_addc_co_u32_e32 v3, vcc, 0, v3, vcc
	s_and_b32 s44, s33, -4
	s_mul_i32 s18, s30, 24
	s_mov_b32 s45, 0
	v_mov_b32_e32 v8, s41
	v_mov_b32_e32 v9, s39
	;; [unrolled: 1-line block ×5, first 2 shown]
	s_branch .LBB166_4
.LBB166_3:                              ;   in Loop: Header=BB166_4 Depth=1
	global_load_dword v4, v[6:7], off
	s_add_i32 s45, s45, 4
	v_add_co_u32_e32 v2, vcc, s36, v2
	v_addc_co_u32_e32 v3, vcc, v3, v11, vcc
	s_cmp_eq_u32 s44, s45
	s_waitcnt vmcnt(0)
	ds_write_b64 v12, v[4:5] offset:672
	v_add_u32_e32 v12, 0x380, v12
	s_cbranch_scc1 .LBB166_20
.LBB166_4:                              ; =>This Inner Loop Header: Depth=1
	s_and_b64 vcc, exec, s[34:35]
	s_cbranch_vccz .LBB166_6
; %bb.5:                                ;   in Loop: Header=BB166_4 Depth=1
	global_load_dword v5, v[2:3], off offset:4
	s_cbranch_execz .LBB166_7
	s_branch .LBB166_8
.LBB166_6:                              ;   in Loop: Header=BB166_4 Depth=1
                                        ; implicit-def: $vgpr5
.LBB166_7:                              ;   in Loop: Header=BB166_4 Depth=1
	global_load_dword v4, v[2:3], off offset:4
	s_waitcnt vmcnt(0)
	v_xor_b32_e32 v5, 0x80000000, v4
.LBB166_8:                              ;   in Loop: Header=BB166_4 Depth=1
	global_load_dword v4, v[2:3], off
	v_add_co_u32_e64 v6, s[10:11], s40, v2
	s_and_b64 vcc, exec, s[6:7]
	v_addc_co_u32_e64 v7, s[10:11], v3, v8, s[10:11]
	s_waitcnt vmcnt(0)
	ds_write_b64 v12, v[4:5]
	s_cbranch_vccnz .LBB166_10
; %bb.9:                                ;   in Loop: Header=BB166_4 Depth=1
	global_load_dword v5, v[6:7], off offset:4
	s_cbranch_execz .LBB166_11
	s_branch .LBB166_12
.LBB166_10:                             ;   in Loop: Header=BB166_4 Depth=1
                                        ; implicit-def: $vgpr5
.LBB166_11:                             ;   in Loop: Header=BB166_4 Depth=1
	global_load_dword v4, v[6:7], off offset:4
	s_waitcnt vmcnt(0)
	v_xor_b32_e32 v5, 0x80000000, v4
.LBB166_12:                             ;   in Loop: Header=BB166_4 Depth=1
	global_load_dword v4, v[6:7], off
	v_add_co_u32_e64 v6, s[10:11], s38, v2
	s_and_b64 vcc, exec, s[6:7]
	v_addc_co_u32_e64 v7, s[10:11], v3, v9, s[10:11]
	s_waitcnt vmcnt(0)
	ds_write_b64 v12, v[4:5] offset:224
	s_cbranch_vccnz .LBB166_14
; %bb.13:                               ;   in Loop: Header=BB166_4 Depth=1
	global_load_dword v5, v[6:7], off offset:4
	s_cbranch_execz .LBB166_15
	s_branch .LBB166_16
.LBB166_14:                             ;   in Loop: Header=BB166_4 Depth=1
                                        ; implicit-def: $vgpr5
.LBB166_15:                             ;   in Loop: Header=BB166_4 Depth=1
	global_load_dword v4, v[6:7], off offset:4
	s_waitcnt vmcnt(0)
	v_xor_b32_e32 v5, 0x80000000, v4
.LBB166_16:                             ;   in Loop: Header=BB166_4 Depth=1
	global_load_dword v4, v[6:7], off
	v_add_co_u32_e64 v6, s[10:11], s18, v2
	s_and_b64 vcc, exec, s[6:7]
	v_addc_co_u32_e64 v7, s[10:11], v3, v10, s[10:11]
	s_waitcnt vmcnt(0)
	ds_write_b64 v12, v[4:5] offset:448
	s_cbranch_vccnz .LBB166_18
; %bb.17:                               ;   in Loop: Header=BB166_4 Depth=1
	global_load_dword v5, v[6:7], off offset:4
	s_cbranch_execnz .LBB166_3
	s_branch .LBB166_19
.LBB166_18:                             ;   in Loop: Header=BB166_4 Depth=1
                                        ; implicit-def: $vgpr5
.LBB166_19:                             ;   in Loop: Header=BB166_4 Depth=1
	global_load_dword v4, v[6:7], off offset:4
	s_waitcnt vmcnt(0)
	v_xor_b32_e32 v5, 0x80000000, v4
	s_branch .LBB166_3
.LBB166_20:
	s_and_b32 s18, s33, 3
	s_cmp_eq_u32 s18, 0
	s_cbranch_scc1 .LBB166_27
; %bb.21:
	s_mul_i32 s10, s44, 0xe0
	v_lshl_add_u32 v6, v0, 3, s10
	s_lshl_b64 s[10:11], s[12:13], 3
	s_mul_i32 s12, s31, s44
	s_mul_hi_u32 s13, s30, s44
	s_add_i32 s13, s13, s12
	s_mul_i32 s12, s30, s44
	s_lshl_b64 s[12:13], s[12:13], 3
	s_add_u32 s12, s10, s12
	s_addc_u32 s13, s11, s13
	s_lshl_b64 s[10:11], s[22:23], 3
	s_add_u32 s10, s12, s10
	s_addc_u32 s11, s13, s11
	s_add_u32 s10, s20, s10
	s_addc_u32 s11, s21, s11
	v_mov_b32_e32 v2, s11
	v_add_co_u32_e32 v1, vcc, s10, v1
	v_addc_co_u32_e32 v3, vcc, 0, v2, vcc
	v_add_co_u32_e32 v2, vcc, 4, v1
	s_lshl_b64 s[10:11], s[30:31], 3
	v_addc_co_u32_e32 v3, vcc, 0, v3, vcc
	v_mov_b32_e32 v1, s11
	s_branch .LBB166_23
.LBB166_22:                             ;   in Loop: Header=BB166_23 Depth=1
	global_load_dword v4, v[2:3], off offset:-4
	s_add_i32 s18, s18, -1
	v_add_co_u32_e32 v2, vcc, s10, v2
	s_cmp_lg_u32 s18, 0
	v_addc_co_u32_e32 v3, vcc, v3, v1, vcc
	s_waitcnt vmcnt(0)
	ds_write_b64 v6, v[4:5]
	v_add_u32_e32 v6, 0xe0, v6
	s_cbranch_scc0 .LBB166_27
.LBB166_23:                             ; =>This Inner Loop Header: Depth=1
	s_and_b64 vcc, exec, s[6:7]
	s_cbranch_vccnz .LBB166_25
; %bb.24:                               ;   in Loop: Header=BB166_23 Depth=1
	global_load_dword v5, v[2:3], off
	s_cbranch_execnz .LBB166_22
	s_branch .LBB166_26
.LBB166_25:                             ;   in Loop: Header=BB166_23 Depth=1
                                        ; implicit-def: $vgpr5
.LBB166_26:                             ;   in Loop: Header=BB166_23 Depth=1
	global_load_dword v4, v[2:3], off
	s_waitcnt vmcnt(0)
	v_xor_b32_e32 v5, 0x80000000, v4
	s_branch .LBB166_22
.LBB166_27:
	v_mul_u32_u24_e32 v1, 29, v0
	s_cmpk_lg_i32 s17, 0x84
	v_lshlrev_b32_e32 v1, 3, v1
	s_mov_b64 s[6:7], -1
	s_cbranch_scc0 .LBB166_33
; %bb.28:
	ds_read_b64 v[2:3], v1
	s_mov_b32 s6, 0
	s_waitcnt lgkmcnt(0)
	v_cmp_gt_f32_e32 vcc, 0, v3
	v_cndmask_b32_e64 v4, v3, -v3, vcc
	v_cmp_gt_f32_e32 vcc, 0, v2
	v_cndmask_b32_e64 v5, v2, -v2, vcc
	v_cmp_ngt_f32_e32 vcc, v5, v4
                                        ; implicit-def: $vgpr4_vgpr5
	s_and_saveexec_b64 s[10:11], vcc
	s_xor_b64 s[10:11], exec, s[10:11]
	s_cbranch_execz .LBB166_30
; %bb.29:
	v_div_scale_f32 v4, s[12:13], v3, v3, v2
	v_rcp_f32_e32 v5, v4
	v_div_scale_f32 v6, vcc, v2, v3, v2
	s_mov_b32 s7, -1.0
	v_fma_f32 v7, -v4, v5, 1.0
	v_fmac_f32_e32 v5, v7, v5
	v_mul_f32_e32 v7, v6, v5
	v_fma_f32 v8, -v4, v7, v6
	v_fmac_f32_e32 v7, v8, v5
	v_fma_f32 v4, -v4, v7, v6
	v_div_fmas_f32 v4, v4, v5, v7
	v_div_fixup_f32 v4, v4, v3, v2
	v_fmac_f32_e32 v3, v2, v4
	v_div_scale_f32 v2, s[12:13], v3, v3, 1.0
	v_rcp_f32_e32 v5, v2
	v_fma_f32 v6, -v2, v5, 1.0
	v_fmac_f32_e32 v5, v6, v5
	v_div_scale_f32 v6, vcc, 1.0, v3, 1.0
	v_mul_f32_e32 v7, v6, v5
	v_fma_f32 v8, -v2, v7, v6
	v_fmac_f32_e32 v7, v8, v5
	v_fma_f32 v2, -v2, v7, v6
	v_div_fmas_f32 v2, v2, v5, v7
	v_mul_f32_e32 v5, 0, v4
	v_div_fixup_f32 v2, v2, v3, 1.0
	v_pk_add_f32 v[4:5], v[4:5], s[6:7]
	v_pk_mul_f32 v[4:5], v[4:5], v[2:3] op_sel_hi:[1,0]
                                        ; implicit-def: $vgpr2_vgpr3
.LBB166_30:
	s_andn2_saveexec_b64 s[6:7], s[10:11]
	s_cbranch_execz .LBB166_32
; %bb.31:
	v_div_scale_f32 v4, s[10:11], v2, v2, v3
	v_rcp_f32_e32 v5, v4
	v_div_scale_f32 v6, vcc, v3, v2, v3
	v_fma_f32 v7, -v4, v5, 1.0
	v_fmac_f32_e32 v5, v7, v5
	v_mul_f32_e32 v7, v6, v5
	v_fma_f32 v8, -v4, v7, v6
	v_fmac_f32_e32 v7, v8, v5
	v_fma_f32 v4, -v4, v7, v6
	v_div_fmas_f32 v4, v4, v5, v7
	v_div_fixup_f32 v5, v4, v2, v3
	v_fmac_f32_e32 v2, v3, v5
	v_div_scale_f32 v3, s[10:11], v2, v2, 1.0
	v_rcp_f32_e32 v4, v3
	s_mov_b32 s10, 1.0
	s_mov_b32 s11, 0
	v_fma_f32 v6, -v3, v4, 1.0
	v_fmac_f32_e32 v4, v6, v4
	v_div_scale_f32 v6, vcc, 1.0, v2, 1.0
	v_mul_f32_e32 v7, v6, v4
	v_fma_f32 v8, -v3, v7, v6
	v_fmac_f32_e32 v7, v8, v4
	v_fma_f32 v3, -v3, v7, v6
	v_div_fmas_f32 v3, v3, v4, v7
	v_mul_f32_e32 v4, 0, v5
	v_pk_add_f32 v[6:7], v[4:5], s[10:11]
	v_pk_add_f32 v[4:5], v[4:5], s[10:11] neg_lo:[1,0] neg_hi:[1,0]
	v_div_fixup_f32 v2, v3, v2, 1.0
	v_mov_b32_e32 v7, v5
	v_pk_mul_f32 v[4:5], v[6:7], v[2:3] op_sel_hi:[1,0]
.LBB166_32:
	s_or_b64 exec, exec, s[6:7]
	s_mov_b64 s[6:7], 0
	ds_write_b64 v1, v[4:5]
.LBB166_33:
	s_and_b64 vcc, exec, s[6:7]
	s_cbranch_vccz .LBB166_35
; %bb.34:
	v_mov_b32_e32 v2, 1.0
	v_mov_b32_e32 v3, 0
	ds_write_b64 v1, v[2:3]
.LBB166_35:
	s_or_b64 exec, exec, s[28:29]
	s_mul_i32 s6, s8, 0xffffffe4
	s_add_i32 s43, s43, -1
	s_add_i32 s6, s6, s19
	s_cmp_ge_u32 s8, s43
	s_cselect_b32 s6, s6, 28
	v_cmp_gt_i32_e32 vcc, s6, v0
	s_waitcnt lgkmcnt(0)
	; wave barrier
	s_waitcnt lgkmcnt(0)
	s_and_saveexec_b64 s[6:7], vcc
	s_cbranch_execz .LBB166_103
; %bb.36:
	s_load_dwordx2 s[6:7], s[4:5], 0x58
	s_load_dword s12, s[4:5], 0x50
	s_waitcnt lgkmcnt(0)
	s_mul_i32 s5, s9, s7
	s_mul_hi_u32 s7, s9, s6
	s_mul_i32 s4, s9, s6
	s_add_i32 s5, s7, s5
	s_lshl_b64 s[6:7], s[4:5], 3
	s_add_u32 s4, s14, s6
	s_addc_u32 s5, s15, s7
	s_lshl_b64 s[10:11], s[26:27], 3
	s_add_u32 s9, s4, s10
	s_addc_u32 s13, s5, s11
	v_mad_u64_u32 v[0:1], s[4:5], s8, 28, v[0:1]
	v_mad_i64_i32 v[0:1], s[4:5], s12, v0, 0
	v_lshlrev_b64 v[0:1], 3, v[0:1]
	v_mov_b32_e32 v2, s13
	v_add_co_u32_e32 v10, vcc, s9, v0
	v_addc_co_u32_e32 v11, vcc, v2, v1, vcc
	s_cmpk_eq_i32 s16, 0x6f
	s_mov_b64 s[4:5], -1
	s_cbranch_scc1 .LBB166_70
; %bb.37:
	s_add_u32 s4, s14, s10
	s_addc_u32 s5, s15, s11
	s_add_u32 s4, s4, s6
	s_addc_u32 s5, s5, s7
	v_mov_b32_e32 v2, s5
	v_add_co_u32_e32 v3, vcc, s4, v0
	v_addc_co_u32_e32 v2, vcc, v2, v1, vcc
	v_add_co_u32_e32 v12, vcc, 4, v3
	s_lshl_b32 s34, s33, 3
	s_mov_b32 s17, 0
	s_mov_b32 s8, s24
	;; [unrolled: 1-line block ×5, first 2 shown]
	v_addc_co_u32_e32 v13, vcc, 0, v2, vcc
	s_add_i32 s34, s34, -8
	v_mov_b32_e32 v14, 0
	s_mov_b32 s18, s17
	s_mov_b32 s20, s42
	s_branch .LBB166_39
.LBB166_38:                             ;   in Loop: Header=BB166_39 Depth=1
	s_cmp_lt_i32 s20, 0
	s_cselect_b64 s[4:5], -1, 0
	s_add_i32 s18, s18, 1
	s_cmp_eq_u32 s18, 3
	s_cselect_b64 s[22:23], -1, 0
	s_or_b64 s[4:5], s[4:5], s[22:23]
	s_andn2_b64 vcc, exec, s[4:5]
	s_cbranch_vccz .LBB166_69
.LBB166_39:                             ; =>This Loop Header: Depth=1
                                        ;     Child Loop BB166_42 Depth 2
                                        ;       Child Loop BB166_44 Depth 3
                                        ;       Child Loop BB166_48 Depth 3
	;; [unrolled: 1-line block ×3, first 2 shown]
                                        ;         Child Loop BB166_54 Depth 4
                                        ;         Child Loop BB166_60 Depth 4
                                        ;       Child Loop BB166_63 Depth 3
                                        ;         Child Loop BB166_65 Depth 4
	s_mov_b32 s19, s17
	s_lshl_b64 s[4:5], s[18:19], 2
	s_getpc_b64 s[22:23]
	s_add_u32 s22, s22, __const._ZL30rocblas_trsm_small_left_deviceILi28ELi28ELb1E19rocblas_complex_numIfES1_PKS1_PS1_Ev13rocblas_fill_18rocblas_operation_17rocblas_diagonal_iiT3_T4_lilT5_lili.step_sizes@rel32@lo+4
	s_addc_u32 s23, s23, __const._ZL30rocblas_trsm_small_left_deviceILi28ELi28ELb1E19rocblas_complex_numIfES1_PKS1_PS1_Ev13rocblas_fill_18rocblas_operation_17rocblas_diagonal_iiT3_T4_lilT5_lili.step_sizes@rel32@hi+12
	s_add_u32 s4, s4, s22
	s_addc_u32 s5, s5, s23
	s_load_dword s19, s[4:5], 0x0
	s_waitcnt lgkmcnt(0)
	s_add_i32 s35, s19, -1
	s_cmp_lt_i32 s20, s35
	s_cbranch_scc1 .LBB166_38
; %bb.40:                               ;   in Loop: Header=BB166_39 Depth=1
	s_max_i32 s36, s19, 1
	s_cmp_lg_u32 s18, 2
	s_cselect_b64 s[22:23], -1, 0
	s_and_b32 s37, s36, 0x7ffffffe
	s_cmp_lg_u32 s36, s37
	s_mul_i32 s4, s20, 0xe0
	s_cselect_b64 s[26:27], -1, 0
	s_add_i32 s38, s34, s4
	s_mul_i32 s39, s19, 0xffffff20
	s_mul_i32 s40, s20, 0xe8
	;; [unrolled: 1-line block ×3, first 2 shown]
	s_branch .LBB166_42
.LBB166_41:                             ;   in Loop: Header=BB166_42 Depth=2
	s_sub_i32 s20, s20, s19
	s_add_i32 s38, s38, s39
	s_add_i32 s40, s40, s41
	s_cmp_lt_i32 s20, s35
	s_cbranch_scc1 .LBB166_38
.LBB166_42:                             ;   Parent Loop BB166_39 Depth=1
                                        ; =>  This Loop Header: Depth=2
                                        ;       Child Loop BB166_44 Depth 3
                                        ;       Child Loop BB166_48 Depth 3
	;; [unrolled: 1-line block ×3, first 2 shown]
                                        ;         Child Loop BB166_54 Depth 4
                                        ;         Child Loop BB166_60 Depth 4
                                        ;       Child Loop BB166_63 Depth 3
                                        ;         Child Loop BB166_65 Depth 4
	s_and_b64 vcc, exec, s[22:23]
	s_cbranch_vccz .LBB166_46
; %bb.43:                               ;   in Loop: Header=BB166_42 Depth=2
	v_mov_b32_e32 v2, 0
	s_mov_b32 s21, s20
	s_mov_b32 s28, 1
	s_mov_b32 s29, 0
	s_mov_b32 s30, s37
.LBB166_44:                             ;   Parent Loop BB166_39 Depth=1
                                        ;     Parent Loop BB166_42 Depth=2
                                        ; =>    This Inner Loop Header: Depth=3
	s_sub_i32 s4, s20, s29
	s_sub_i32 s44, s21, s28
	s_ashr_i32 s5, s4, 31
	s_ashr_i32 s45, s44, 31
	s_lshl_b64 s[4:5], s[4:5], 3
	s_lshl_b64 s[44:45], s[44:45], 3
	v_mov_b32_e32 v3, s5
	v_add_co_u32_e64 v6, s[4:5], s4, v10
	v_mov_b32_e32 v5, s45
	v_add_co_u32_e32 v4, vcc, s44, v10
	v_addc_co_u32_e64 v7, s[4:5], v11, v3, s[4:5]
	v_addc_co_u32_e32 v5, vcc, v11, v5, vcc
	global_load_dwordx2 v[8:9], v[6:7], off
	global_load_dwordx2 v[16:17], v[4:5], off
	s_add_i32 s29, s29, 2
	s_add_i32 s28, s28, 2
	s_add_i32 s30, s30, -2
	s_mov_b32 s16, s37
	s_mov_b64 s[4:5], s[26:27]
	s_cmp_lg_u32 s30, 0
	s_waitcnt vmcnt(1)
	v_mov_b32_e32 v4, v8
	s_waitcnt vmcnt(0)
	v_mov_b32_e32 v5, v16
	v_mov_b32_e32 v16, v9
	v_pk_mul_f32 v[6:7], v[16:17], s[12:13]
	v_pk_mul_f32 v[8:9], v[16:17], s[8:9]
	v_pk_fma_f32 v[6:7], v[4:5], s[8:9], v[6:7] neg_lo:[0,0,1] neg_hi:[0,0,1]
	v_pk_fma_f32 v[4:5], v[4:5], s[12:13], v[8:9]
	buffer_store_dword v4, v2, s[0:3], 0 offen offset:4
	buffer_store_dword v6, v2, s[0:3], 0 offen
	buffer_store_dword v5, v2, s[0:3], 0 offen offset:12
	buffer_store_dword v7, v2, s[0:3], 0 offen offset:8
	v_add_u32_e32 v2, 16, v2
	s_cbranch_scc1 .LBB166_44
; %bb.45:                               ;   in Loop: Header=BB166_42 Depth=2
	s_ashr_i32 s21, s20, 31
	s_and_b64 vcc, exec, s[4:5]
	s_cbranch_vccnz .LBB166_47
	s_branch .LBB166_49
.LBB166_46:                             ;   in Loop: Header=BB166_42 Depth=2
	s_mov_b32 s16, 0
	s_ashr_i32 s21, s20, 31
	s_cbranch_execz .LBB166_49
.LBB166_47:                             ;   in Loop: Header=BB166_42 Depth=2
	s_lshl_b64 s[28:29], s[20:21], 3
	s_sub_i32 s4, s36, s16
	s_lshl_b64 s[30:31], s[16:17], 3
	s_sub_u32 s5, s28, s30
	s_subb_u32 s28, s29, s31
	v_mov_b32_e32 v3, s28
	v_add_co_u32_e32 v2, vcc, s5, v12
	s_lshl_b32 s5, s16, 3
	v_addc_co_u32_e32 v3, vcc, v13, v3, vcc
	v_add_u32_e32 v4, s5, v14
.LBB166_48:                             ;   Parent Loop BB166_39 Depth=1
                                        ;     Parent Loop BB166_42 Depth=2
                                        ; =>    This Inner Loop Header: Depth=3
	global_load_dwordx2 v[6:7], v[2:3], off offset:-4
	s_add_i32 s4, s4, -1
	v_add_co_u32_e32 v2, vcc, -8, v2
	v_addc_co_u32_e32 v3, vcc, -1, v3, vcc
	s_cmp_eq_u32 s4, 0
	s_waitcnt vmcnt(0)
	v_mul_f32_e32 v5, s25, v7
	v_mul_f32_e32 v7, s24, v7
	v_fma_f32 v5, v6, s24, -v5
	v_fmac_f32_e32 v7, s25, v6
	buffer_store_dword v5, v4, s[0:3], 0 offen
	buffer_store_dword v7, v4, s[0:3], 0 offen offset:4
	v_add_u32_e32 v4, 8, v4
	s_cbranch_scc0 .LBB166_48
.LBB166_49:                             ;   in Loop: Header=BB166_42 Depth=2
	s_cmp_le_i32 s42, s20
	s_cbranch_scc1 .LBB166_61
; %bb.50:                               ;   in Loop: Header=BB166_42 Depth=2
	s_mov_b32 s16, s20
	s_mov_b32 s43, s20
	;; [unrolled: 1-line block ×4, first 2 shown]
	s_branch .LBB166_52
.LBB166_51:                             ;   in Loop: Header=BB166_52 Depth=3
	s_add_i32 s4, s4, -1
	s_add_i32 s44, s44, -8
	s_cmp_le_i32 s4, s20
	s_cbranch_scc1 .LBB166_61
.LBB166_52:                             ;   Parent Loop BB166_39 Depth=1
                                        ;     Parent Loop BB166_42 Depth=2
                                        ; =>    This Loop Header: Depth=3
                                        ;         Child Loop BB166_54 Depth 4
                                        ;         Child Loop BB166_60 Depth 4
	s_ashr_i32 s5, s4, 31
	s_lshl_b64 s[28:29], s[4:5], 3
	s_waitcnt vmcnt(0)
	v_mov_b32_e32 v3, s29
	v_add_co_u32_e32 v2, vcc, s28, v10
	v_addc_co_u32_e32 v3, vcc, v11, v3, vcc
	global_load_dwordx2 v[2:3], v[2:3], off
	s_and_b64 vcc, exec, s[22:23]
	s_cbranch_vccz .LBB166_56
; %bb.53:                               ;   in Loop: Header=BB166_52 Depth=3
	s_mov_b32 s5, s4
	s_waitcnt vmcnt(0)
	v_mov_b32_e32 v6, v2
	v_mov_b32_e32 v7, v2
	;; [unrolled: 1-line block ×6, first 2 shown]
	s_mov_b32 s28, 1
	s_mov_b32 s29, 0
	;; [unrolled: 1-line block ×3, first 2 shown]
.LBB166_54:                             ;   Parent Loop BB166_39 Depth=1
                                        ;     Parent Loop BB166_42 Depth=2
                                        ;       Parent Loop BB166_52 Depth=3
                                        ; =>      This Inner Loop Header: Depth=4
	buffer_load_dword v16, v5, s[0:3], 0 offen
	buffer_load_dword v18, v5, s[0:3], 0 offen offset:4
	buffer_load_dword v17, v5, s[0:3], 0 offen offset:8
	;; [unrolled: 1-line block ×3, first 2 shown]
	s_sub_i32 s31, s43, s28
	s_sub_i32 s45, s16, s29
	s_mul_i32 s45, s45, 28
	s_mul_i32 s31, s31, 28
	s_add_i32 s31, s31, s5
	s_add_i32 s45, s45, s4
	s_lshl_b32 s45, s45, 3
	s_lshl_b32 s31, s31, 3
	v_mov_b32_e32 v15, s45
	v_mov_b32_e32 v22, s31
	ds_read_b64 v[20:21], v15
	ds_read_b64 v[22:23], v22
	s_add_i32 s29, s29, 2
	s_add_i32 s28, s28, 2
	s_add_i32 s30, s30, -2
	s_waitcnt lgkmcnt(1)
	v_mov_b32_e32 v24, v20
	s_waitcnt lgkmcnt(0)
	v_mov_b32_e32 v25, v22
	v_mov_b32_e32 v22, v21
	v_pk_mul_f32 v[20:21], v[22:23], v[8:9]
	v_pk_mul_f32 v[22:23], v[22:23], v[6:7]
	v_pk_fma_f32 v[20:21], v[24:25], v[6:7], v[20:21] neg_lo:[0,0,1] neg_hi:[0,0,1]
	v_pk_fma_f32 v[22:23], v[24:25], v[8:9], v[22:23]
	s_cmp_lg_u32 s30, 0
	s_waitcnt vmcnt(1)
	v_pk_add_f32 v[16:17], v[16:17], v[20:21] neg_lo:[0,1] neg_hi:[0,1]
	s_waitcnt vmcnt(0)
	v_pk_add_f32 v[18:19], v[18:19], v[22:23] neg_lo:[0,1] neg_hi:[0,1]
	buffer_store_dword v16, v5, s[0:3], 0 offen
	buffer_store_dword v18, v5, s[0:3], 0 offen offset:4
	buffer_store_dword v17, v5, s[0:3], 0 offen offset:8
	;; [unrolled: 1-line block ×3, first 2 shown]
	v_add_u32_e32 v5, 16, v5
	s_cbranch_scc1 .LBB166_54
; %bb.55:                               ;   in Loop: Header=BB166_52 Depth=3
	s_mov_b64 s[28:29], s[26:27]
	s_mov_b32 s30, s37
	s_branch .LBB166_58
.LBB166_56:                             ;   in Loop: Header=BB166_52 Depth=3
	s_mov_b64 s[28:29], 0
                                        ; implicit-def: $vgpr4_vgpr5
	s_mov_b32 s30, s37
	s_cbranch_execz .LBB166_58
; %bb.57:                               ;   in Loop: Header=BB166_52 Depth=3
	s_waitcnt vmcnt(0)
	v_mov_b32_e32 v4, v3
	s_mov_b64 s[28:29], -1
	s_mov_b32 s30, 0
.LBB166_58:                             ;   in Loop: Header=BB166_52 Depth=3
	s_andn2_b64 vcc, exec, s[28:29]
	s_cbranch_vccnz .LBB166_51
; %bb.59:                               ;   in Loop: Header=BB166_52 Depth=3
	s_mul_i32 s28, s30, 0xffffff20
	s_lshl_b32 s29, s30, 3
	s_waitcnt vmcnt(0)
	v_mov_b32_e32 v5, v3
	v_mov_b32_e32 v3, v2
	s_sub_i32 s5, s36, s30
	s_add_i32 s28, s44, s28
	v_add_u32_e32 v6, s29, v14
.LBB166_60:                             ;   Parent Loop BB166_39 Depth=1
                                        ;     Parent Loop BB166_42 Depth=2
                                        ;       Parent Loop BB166_52 Depth=3
                                        ; =>      This Inner Loop Header: Depth=4
	buffer_load_dword v8, v6, s[0:3], 0 offen
	buffer_load_dword v9, v6, s[0:3], 0 offen offset:4
	v_mov_b32_e32 v7, s28
	ds_read_b64 v[16:17], v7
	s_add_i32 s5, s5, -1
	s_addk_i32 s28, 0xff20
	s_cmp_eq_u32 s5, 0
	s_waitcnt lgkmcnt(0)
	v_pk_mul_f32 v[18:19], v[16:17], v[4:5]
	v_pk_fma_f32 v[20:21], v[16:17], v[2:3], v[18:19] op_sel:[0,0,1] op_sel_hi:[1,1,0] neg_lo:[0,0,1] neg_hi:[0,0,1]
	v_pk_fma_f32 v[16:17], v[16:17], v[2:3], v[18:19] op_sel:[0,0,1] op_sel_hi:[1,1,0]
	v_mov_b32_e32 v21, v17
	s_waitcnt vmcnt(0)
	v_pk_add_f32 v[8:9], v[8:9], v[20:21] neg_lo:[0,1] neg_hi:[0,1]
	buffer_store_dword v8, v6, s[0:3], 0 offen
	buffer_store_dword v9, v6, s[0:3], 0 offen offset:4
	v_add_u32_e32 v6, 8, v6
	s_cbranch_scc0 .LBB166_60
	s_branch .LBB166_51
.LBB166_61:                             ;   in Loop: Header=BB166_42 Depth=2
	s_mov_b32 s16, 0
	s_mov_b32 s43, s40
	s_branch .LBB166_63
.LBB166_62:                             ;   in Loop: Header=BB166_63 Depth=3
	s_mulk_i32 s28, 0xe8
	v_mov_b32_e32 v4, s28
	ds_read_b64 v[4:5], v4
	s_lshl_b64 s[4:5], s[4:5], 3
	s_lshl_b32 s28, s16, 3
	s_add_i32 s16, s16, 1
	s_addk_i32 s43, 0xff20
	s_waitcnt vmcnt(0) lgkmcnt(0)
	v_mul_f32_e32 v6, v5, v3
	v_mul_f32_e32 v7, v4, v3
	v_fma_f32 v6, v4, v2, -v6
	v_fmac_f32_e32 v7, v5, v2
	v_mov_b32_e32 v3, s5
	v_add_co_u32_e32 v2, vcc, s4, v10
	v_add_u32_e32 v8, s28, v14
	v_addc_co_u32_e32 v3, vcc, v11, v3, vcc
	s_cmp_eq_u32 s16, s36
	buffer_store_dword v6, v8, s[0:3], 0 offen
	buffer_store_dword v7, v8, s[0:3], 0 offen offset:4
	global_store_dwordx2 v[2:3], v[6:7], off
	s_cbranch_scc1 .LBB166_41
.LBB166_63:                             ;   Parent Loop BB166_39 Depth=1
                                        ;     Parent Loop BB166_42 Depth=2
                                        ; =>    This Loop Header: Depth=3
                                        ;         Child Loop BB166_65 Depth 4
	s_cmp_lg_u32 s16, 0
	s_cbranch_scc0 .LBB166_67
; %bb.64:                               ;   in Loop: Header=BB166_63 Depth=3
	s_lshl_b32 s4, s16, 3
	v_add_u32_e32 v4, s4, v14
	buffer_load_dword v2, v4, s[0:3], 0 offen
	buffer_load_dword v3, v4, s[0:3], 0 offen offset:4
	v_mov_b32_e32 v5, 0
	s_mov_b32 s4, 0
	s_mov_b32 s5, s43
.LBB166_65:                             ;   Parent Loop BB166_39 Depth=1
                                        ;     Parent Loop BB166_42 Depth=2
                                        ;       Parent Loop BB166_63 Depth=3
                                        ; =>      This Inner Loop Header: Depth=4
	buffer_load_dword v7, v5, s[0:3], 0 offen offset:4
	buffer_load_dword v6, v5, s[0:3], 0 offen
	v_mov_b32_e32 v8, s5
	ds_read_b64 v[8:9], v8
	s_add_i32 s4, s4, 1
	s_add_i32 s5, s5, -8
	v_add_u32_e32 v5, 8, v5
	s_cmp_ge_u32 s4, s16
	s_waitcnt vmcnt(1)
	v_mov_b32_e32 v16, v7
	s_waitcnt lgkmcnt(0)
	v_pk_mul_f32 v[16:17], v[8:9], v[16:17] op_sel_hi:[1,0]
	s_waitcnt vmcnt(0)
	v_pk_fma_f32 v[18:19], v[8:9], v[6:7], v[16:17] op_sel:[0,0,1] op_sel_hi:[1,1,0] neg_lo:[0,0,1] neg_hi:[0,0,1]
	v_pk_fma_f32 v[6:7], v[8:9], v[6:7], v[16:17] op_sel:[0,0,1] op_sel_hi:[1,0,0]
	v_mov_b32_e32 v19, v7
	v_pk_add_f32 v[2:3], v[2:3], v[18:19] neg_lo:[0,1] neg_hi:[0,1]
	buffer_store_dword v2, v4, s[0:3], 0 offen
	buffer_store_dword v3, v4, s[0:3], 0 offen offset:4
	s_cbranch_scc0 .LBB166_65
; %bb.66:                               ;   in Loop: Header=BB166_63 Depth=3
	s_sub_i32 s28, s20, s16
	s_ashr_i32 s29, s28, 31
	s_mov_b64 s[4:5], s[28:29]
	s_branch .LBB166_62
.LBB166_67:                             ;   in Loop: Header=BB166_63 Depth=3
                                        ; implicit-def: $vgpr2
                                        ; implicit-def: $sgpr28
                                        ; implicit-def: $sgpr4_sgpr5
	s_cbranch_execz .LBB166_62
; %bb.68:                               ;   in Loop: Header=BB166_63 Depth=3
	buffer_load_dword v2, off, s[0:3], 0
	buffer_load_dword v3, off, s[0:3], 0 offset:4
	s_mov_b64 s[4:5], s[20:21]
	s_mov_b32 s28, s20
	s_branch .LBB166_62
.LBB166_69:
	s_mov_b64 s[4:5], 0
.LBB166_70:
	s_and_b64 vcc, exec, s[4:5]
	s_cbranch_vccz .LBB166_103
; %bb.71:
	s_add_u32 s4, s14, s10
	s_addc_u32 s5, s15, s11
	s_add_u32 s4, s4, s6
	s_addc_u32 s5, s5, s7
	v_mov_b32_e32 v2, s5
	v_add_co_u32_e32 v0, vcc, s4, v0
	v_addc_co_u32_e32 v1, vcc, v2, v1, vcc
	v_add_co_u32_e32 v8, vcc, 4, v0
	s_mov_b32 s7, 0
	s_mov_b32 s8, s24
	;; [unrolled: 1-line block ×5, first 2 shown]
	v_addc_co_u32_e32 v9, vcc, 0, v1, vcc
	v_mov_b32_e32 v12, 0
	s_mov_b32 s20, s7
	s_mov_b32 s10, s7
	s_branch .LBB166_73
.LBB166_72:                             ;   in Loop: Header=BB166_73 Depth=1
	s_cmp_ge_i32 s20, s33
	s_cselect_b64 s[4:5], -1, 0
	s_add_i32 s10, s10, 1
	s_cmp_eq_u32 s10, 3
	s_cselect_b64 s[14:15], -1, 0
	s_or_b64 s[4:5], s[4:5], s[14:15]
	s_and_b64 vcc, exec, s[4:5]
	s_cbranch_vccnz .LBB166_103
.LBB166_73:                             ; =>This Loop Header: Depth=1
                                        ;     Child Loop BB166_76 Depth 2
                                        ;       Child Loop BB166_78 Depth 3
                                        ;       Child Loop BB166_82 Depth 3
	;; [unrolled: 1-line block ×3, first 2 shown]
                                        ;         Child Loop BB166_88 Depth 4
                                        ;         Child Loop BB166_94 Depth 4
                                        ;       Child Loop BB166_97 Depth 3
                                        ;         Child Loop BB166_99 Depth 4
	s_mov_b32 s11, s7
	s_lshl_b64 s[4:5], s[10:11], 2
	s_getpc_b64 s[14:15]
	s_add_u32 s14, s14, __const._ZL30rocblas_trsm_small_left_deviceILi28ELi28ELb1E19rocblas_complex_numIfES1_PKS1_PS1_Ev13rocblas_fill_18rocblas_operation_17rocblas_diagonal_iiT3_T4_lilT5_lili.step_sizes@rel32@lo+4
	s_addc_u32 s15, s15, __const._ZL30rocblas_trsm_small_left_deviceILi28ELi28ELb1E19rocblas_complex_numIfES1_PKS1_PS1_Ev13rocblas_fill_18rocblas_operation_17rocblas_diagonal_iiT3_T4_lilT5_lili.step_sizes@rel32@hi+12
	s_add_u32 s4, s4, s14
	s_addc_u32 s5, s5, s15
	s_load_dword s11, s[4:5], 0x0
	s_waitcnt lgkmcnt(0)
	s_add_i32 s21, s11, -1
	s_add_i32 s4, s21, s20
	s_cmp_ge_i32 s4, s33
	s_cbranch_scc1 .LBB166_72
; %bb.74:                               ;   in Loop: Header=BB166_73 Depth=1
	s_max_i32 s22, s11, 1
	s_cmp_lg_u32 s10, 2
	s_cselect_b64 s[14:15], -1, 0
	s_and_b32 s23, s22, 0x7ffffffe
	s_cmp_lg_u32 s22, s23
	s_cselect_b64 s[16:17], -1, 0
	s_ashr_i32 s26, s20, 31
	s_ashr_i32 s27, s11, 31
	s_mul_i32 s28, s20, 0xe8
	s_mul_i32 s29, s11, 0xe8
	s_branch .LBB166_76
.LBB166_75:                             ;   in Loop: Header=BB166_76 Depth=2
	s_add_u32 s20, s20, s11
	s_addc_u32 s26, s26, s27
	s_add_i32 s4, s21, s20
	s_add_i32 s28, s28, s29
	s_cmp_ge_i32 s4, s33
	s_cbranch_scc1 .LBB166_72
.LBB166_76:                             ;   Parent Loop BB166_73 Depth=1
                                        ; =>  This Loop Header: Depth=2
                                        ;       Child Loop BB166_78 Depth 3
                                        ;       Child Loop BB166_82 Depth 3
	;; [unrolled: 1-line block ×3, first 2 shown]
                                        ;         Child Loop BB166_88 Depth 4
                                        ;         Child Loop BB166_94 Depth 4
                                        ;       Child Loop BB166_97 Depth 3
                                        ;         Child Loop BB166_99 Depth 4
	s_and_b64 vcc, exec, s[14:15]
	s_cbranch_vccz .LBB166_80
; %bb.77:                               ;   in Loop: Header=BB166_76 Depth=2
	v_mov_b32_e32 v0, 0
	s_mov_b32 s6, s20
	s_mov_b32 s18, s20
	;; [unrolled: 1-line block ×5, first 2 shown]
.LBB166_78:                             ;   Parent Loop BB166_73 Depth=1
                                        ;     Parent Loop BB166_76 Depth=2
                                        ; =>    This Inner Loop Header: Depth=3
	s_add_i32 s4, s30, s6
	s_add_i32 s34, s19, s18
	s_ashr_i32 s5, s4, 31
	s_ashr_i32 s35, s34, 31
	s_lshl_b64 s[4:5], s[4:5], 3
	s_lshl_b64 s[34:35], s[34:35], 3
	v_mov_b32_e32 v1, s5
	v_add_co_u32_e64 v4, s[4:5], s4, v10
	v_mov_b32_e32 v3, s35
	v_add_co_u32_e32 v2, vcc, s34, v10
	v_addc_co_u32_e64 v5, s[4:5], v11, v1, s[4:5]
	v_addc_co_u32_e32 v3, vcc, v11, v3, vcc
	global_load_dwordx2 v[6:7], v[4:5], off
	global_load_dwordx2 v[14:15], v[2:3], off
	s_add_i32 s30, s30, 2
	s_add_i32 s19, s19, 2
	s_add_i32 s31, s31, -2
	s_mov_b32 s34, s23
	s_mov_b64 s[4:5], s[16:17]
	s_cmp_lg_u32 s31, 0
	s_waitcnt vmcnt(1)
	v_mov_b32_e32 v2, v6
	s_waitcnt vmcnt(0)
	v_mov_b32_e32 v3, v14
	v_mov_b32_e32 v14, v7
	v_pk_mul_f32 v[4:5], v[14:15], s[12:13]
	v_pk_mul_f32 v[6:7], v[14:15], s[8:9]
	v_pk_fma_f32 v[4:5], v[2:3], s[8:9], v[4:5] neg_lo:[0,0,1] neg_hi:[0,0,1]
	v_pk_fma_f32 v[2:3], v[2:3], s[12:13], v[6:7]
	buffer_store_dword v2, v0, s[0:3], 0 offen offset:4
	buffer_store_dword v4, v0, s[0:3], 0 offen
	buffer_store_dword v3, v0, s[0:3], 0 offen offset:12
	buffer_store_dword v5, v0, s[0:3], 0 offen offset:8
	v_add_u32_e32 v0, 16, v0
	s_cbranch_scc1 .LBB166_78
; %bb.79:                               ;   in Loop: Header=BB166_76 Depth=2
	s_and_b64 vcc, exec, s[4:5]
	s_cbranch_vccnz .LBB166_81
	s_branch .LBB166_83
.LBB166_80:                             ;   in Loop: Header=BB166_76 Depth=2
	s_mov_b32 s34, 0
	s_cbranch_execz .LBB166_83
.LBB166_81:                             ;   in Loop: Header=BB166_76 Depth=2
	s_sub_i32 s4, s22, s34
	s_add_u32 s18, s20, s34
	s_addc_u32 s19, s26, 0
	s_lshl_b64 s[18:19], s[18:19], 3
	v_mov_b32_e32 v1, s19
	v_add_co_u32_e32 v0, vcc, s18, v8
	s_lshl_b32 s5, s34, 3
	v_addc_co_u32_e32 v1, vcc, v9, v1, vcc
	v_add_u32_e32 v2, s5, v12
.LBB166_82:                             ;   Parent Loop BB166_73 Depth=1
                                        ;     Parent Loop BB166_76 Depth=2
                                        ; =>    This Inner Loop Header: Depth=3
	global_load_dwordx2 v[4:5], v[0:1], off offset:-4
	s_add_i32 s4, s4, -1
	v_add_co_u32_e32 v0, vcc, 8, v0
	v_addc_co_u32_e32 v1, vcc, 0, v1, vcc
	s_cmp_eq_u32 s4, 0
	s_waitcnt vmcnt(0)
	v_mul_f32_e32 v3, s25, v5
	v_mul_f32_e32 v5, s24, v5
	v_fma_f32 v3, v4, s24, -v3
	v_fmac_f32_e32 v5, s25, v4
	buffer_store_dword v3, v2, s[0:3], 0 offen
	buffer_store_dword v5, v2, s[0:3], 0 offen offset:4
	v_add_u32_e32 v2, 8, v2
	s_cbranch_scc0 .LBB166_82
.LBB166_83:                             ;   in Loop: Header=BB166_76 Depth=2
	s_cmp_lt_i32 s20, 1
	s_cbranch_scc1 .LBB166_95
; %bb.84:                               ;   in Loop: Header=BB166_76 Depth=2
	s_mov_b32 s6, 0
	s_mov_b32 s30, s20
	s_branch .LBB166_86
.LBB166_85:                             ;   in Loop: Header=BB166_86 Depth=3
	s_add_i32 s6, s6, 1
	s_add_i32 s30, s30, 28
	s_cmp_ge_i32 s6, s20
	s_cbranch_scc1 .LBB166_95
.LBB166_86:                             ;   Parent Loop BB166_73 Depth=1
                                        ;     Parent Loop BB166_76 Depth=2
                                        ; =>    This Loop Header: Depth=3
                                        ;         Child Loop BB166_88 Depth 4
                                        ;         Child Loop BB166_94 Depth 4
	s_lshl_b64 s[4:5], s[6:7], 3
	s_waitcnt vmcnt(0)
	v_mov_b32_e32 v1, s5
	v_add_co_u32_e32 v0, vcc, s4, v10
	v_addc_co_u32_e32 v1, vcc, v11, v1, vcc
	global_load_dwordx2 v[0:1], v[0:1], off
	s_and_b64 vcc, exec, s[14:15]
	s_cbranch_vccz .LBB166_90
; %bb.87:                               ;   in Loop: Header=BB166_86 Depth=3
	s_mul_i32 s4, s6, 28
	s_add_i32 s4, s4, s20
	s_mov_b32 s5, s4
	s_waitcnt vmcnt(0)
	v_mov_b32_e32 v4, v0
	v_mov_b32_e32 v5, v0
	;; [unrolled: 1-line block ×6, first 2 shown]
	s_mov_b32 s18, 1
	s_mov_b32 s19, 0
	;; [unrolled: 1-line block ×3, first 2 shown]
.LBB166_88:                             ;   Parent Loop BB166_73 Depth=1
                                        ;     Parent Loop BB166_76 Depth=2
                                        ;       Parent Loop BB166_86 Depth=3
                                        ; =>      This Inner Loop Header: Depth=4
	buffer_load_dword v14, v3, s[0:3], 0 offen
	buffer_load_dword v16, v3, s[0:3], 0 offen offset:4
	buffer_load_dword v15, v3, s[0:3], 0 offen offset:8
	;; [unrolled: 1-line block ×3, first 2 shown]
	s_add_i32 s34, s5, s18
	s_add_i32 s35, s4, s19
	s_lshl_b32 s35, s35, 3
	s_lshl_b32 s34, s34, 3
	v_mov_b32_e32 v13, s35
	v_mov_b32_e32 v20, s34
	ds_read_b64 v[18:19], v13
	ds_read_b64 v[20:21], v20
	s_add_i32 s19, s19, 2
	s_add_i32 s18, s18, 2
	s_add_i32 s31, s31, -2
	s_waitcnt lgkmcnt(1)
	v_mov_b32_e32 v22, v18
	s_waitcnt lgkmcnt(0)
	v_mov_b32_e32 v23, v20
	v_mov_b32_e32 v20, v19
	v_pk_mul_f32 v[18:19], v[20:21], v[6:7]
	v_pk_mul_f32 v[20:21], v[20:21], v[4:5]
	v_pk_fma_f32 v[18:19], v[22:23], v[4:5], v[18:19] neg_lo:[0,0,1] neg_hi:[0,0,1]
	v_pk_fma_f32 v[20:21], v[22:23], v[6:7], v[20:21]
	s_cmp_lg_u32 s31, 0
	s_waitcnt vmcnt(1)
	v_pk_add_f32 v[14:15], v[14:15], v[18:19] neg_lo:[0,1] neg_hi:[0,1]
	s_waitcnt vmcnt(0)
	v_pk_add_f32 v[16:17], v[16:17], v[20:21] neg_lo:[0,1] neg_hi:[0,1]
	buffer_store_dword v14, v3, s[0:3], 0 offen
	buffer_store_dword v16, v3, s[0:3], 0 offen offset:4
	buffer_store_dword v15, v3, s[0:3], 0 offen offset:8
	;; [unrolled: 1-line block ×3, first 2 shown]
	v_add_u32_e32 v3, 16, v3
	s_cbranch_scc1 .LBB166_88
; %bb.89:                               ;   in Loop: Header=BB166_86 Depth=3
	s_mov_b64 s[4:5], s[16:17]
	s_mov_b32 s18, s23
	s_branch .LBB166_92
.LBB166_90:                             ;   in Loop: Header=BB166_86 Depth=3
	s_mov_b64 s[4:5], 0
                                        ; implicit-def: $vgpr2_vgpr3
	s_mov_b32 s18, s23
	s_cbranch_execz .LBB166_92
; %bb.91:                               ;   in Loop: Header=BB166_86 Depth=3
	s_waitcnt vmcnt(0)
	v_mov_b32_e32 v2, v1
	s_mov_b64 s[4:5], -1
	s_mov_b32 s18, 0
.LBB166_92:                             ;   in Loop: Header=BB166_86 Depth=3
	s_andn2_b64 vcc, exec, s[4:5]
	s_cbranch_vccnz .LBB166_85
; %bb.93:                               ;   in Loop: Header=BB166_86 Depth=3
	s_sub_i32 s4, s22, s18
	s_add_i32 s5, s18, s30
	s_lshl_b32 s18, s18, 3
	s_waitcnt vmcnt(0)
	v_mov_b32_e32 v3, v1
	v_mov_b32_e32 v1, v0
	s_lshl_b32 s5, s5, 3
	v_add_u32_e32 v4, s18, v12
.LBB166_94:                             ;   Parent Loop BB166_73 Depth=1
                                        ;     Parent Loop BB166_76 Depth=2
                                        ;       Parent Loop BB166_86 Depth=3
                                        ; =>      This Inner Loop Header: Depth=4
	buffer_load_dword v6, v4, s[0:3], 0 offen
	buffer_load_dword v7, v4, s[0:3], 0 offen offset:4
	v_mov_b32_e32 v5, s5
	ds_read_b64 v[14:15], v5
	s_add_i32 s4, s4, -1
	s_add_i32 s5, s5, 8
	s_cmp_eq_u32 s4, 0
	s_waitcnt lgkmcnt(0)
	v_pk_mul_f32 v[16:17], v[14:15], v[2:3]
	v_pk_fma_f32 v[18:19], v[14:15], v[0:1], v[16:17] op_sel:[0,0,1] op_sel_hi:[1,1,0] neg_lo:[0,0,1] neg_hi:[0,0,1]
	v_pk_fma_f32 v[14:15], v[14:15], v[0:1], v[16:17] op_sel:[0,0,1] op_sel_hi:[1,1,0]
	v_mov_b32_e32 v19, v15
	s_waitcnt vmcnt(0)
	v_pk_add_f32 v[6:7], v[6:7], v[18:19] neg_lo:[0,1] neg_hi:[0,1]
	buffer_store_dword v6, v4, s[0:3], 0 offen
	buffer_store_dword v7, v4, s[0:3], 0 offen offset:4
	v_add_u32_e32 v4, 8, v4
	s_cbranch_scc0 .LBB166_94
	s_branch .LBB166_85
.LBB166_95:                             ;   in Loop: Header=BB166_76 Depth=2
	s_mov_b32 s6, 0
	s_mov_b32 s30, s28
	s_branch .LBB166_97
.LBB166_96:                             ;   in Loop: Header=BB166_97 Depth=3
	s_mul_i32 s5, s4, 0xe8
	v_mov_b32_e32 v2, s5
	ds_read_b64 v[2:3], v2
	s_lshl_b32 s5, s6, 3
	v_add_u32_e32 v6, s5, v12
	s_ashr_i32 s5, s4, 31
	s_lshl_b64 s[4:5], s[4:5], 3
	s_waitcnt vmcnt(0) lgkmcnt(0)
	v_mul_f32_e32 v4, v3, v1
	v_mul_f32_e32 v5, v2, v1
	v_fma_f32 v4, v2, v0, -v4
	v_fmac_f32_e32 v5, v3, v0
	v_mov_b32_e32 v1, s5
	v_add_co_u32_e32 v0, vcc, s4, v10
	s_add_i32 s6, s6, 1
	s_add_i32 s30, s30, 8
	v_addc_co_u32_e32 v1, vcc, v11, v1, vcc
	s_cmp_eq_u32 s6, s22
	buffer_store_dword v4, v6, s[0:3], 0 offen
	buffer_store_dword v5, v6, s[0:3], 0 offen offset:4
	global_store_dwordx2 v[0:1], v[4:5], off
	s_cbranch_scc1 .LBB166_75
.LBB166_97:                             ;   Parent Loop BB166_73 Depth=1
                                        ;     Parent Loop BB166_76 Depth=2
                                        ; =>    This Loop Header: Depth=3
                                        ;         Child Loop BB166_99 Depth 4
	s_cmp_lg_u32 s6, 0
	s_cbranch_scc0 .LBB166_101
; %bb.98:                               ;   in Loop: Header=BB166_97 Depth=3
	s_lshl_b32 s4, s6, 3
	v_add_u32_e32 v2, s4, v12
	buffer_load_dword v0, v2, s[0:3], 0 offen
	buffer_load_dword v1, v2, s[0:3], 0 offen offset:4
	v_mov_b32_e32 v3, 0
	s_mov_b32 s4, 0
	s_mov_b32 s5, s30
.LBB166_99:                             ;   Parent Loop BB166_73 Depth=1
                                        ;     Parent Loop BB166_76 Depth=2
                                        ;       Parent Loop BB166_97 Depth=3
                                        ; =>      This Inner Loop Header: Depth=4
	buffer_load_dword v5, v3, s[0:3], 0 offen offset:4
	buffer_load_dword v4, v3, s[0:3], 0 offen
	v_mov_b32_e32 v6, s5
	ds_read_b64 v[6:7], v6
	s_add_i32 s4, s4, 1
	s_addk_i32 s5, 0xe0
	v_add_u32_e32 v3, 8, v3
	s_cmp_ge_u32 s4, s6
	s_waitcnt vmcnt(1)
	v_mov_b32_e32 v14, v5
	s_waitcnt lgkmcnt(0)
	v_pk_mul_f32 v[14:15], v[6:7], v[14:15] op_sel_hi:[1,0]
	s_waitcnt vmcnt(0)
	v_pk_fma_f32 v[16:17], v[6:7], v[4:5], v[14:15] op_sel:[0,0,1] op_sel_hi:[1,1,0] neg_lo:[0,0,1] neg_hi:[0,0,1]
	v_pk_fma_f32 v[4:5], v[6:7], v[4:5], v[14:15] op_sel:[0,0,1] op_sel_hi:[1,0,0]
	v_mov_b32_e32 v17, v5
	v_pk_add_f32 v[0:1], v[0:1], v[16:17] neg_lo:[0,1] neg_hi:[0,1]
	buffer_store_dword v0, v2, s[0:3], 0 offen
	buffer_store_dword v1, v2, s[0:3], 0 offen offset:4
	s_cbranch_scc0 .LBB166_99
; %bb.100:                              ;   in Loop: Header=BB166_97 Depth=3
	s_add_i32 s4, s6, s20
	s_branch .LBB166_96
.LBB166_101:                            ;   in Loop: Header=BB166_97 Depth=3
                                        ; implicit-def: $vgpr0
                                        ; implicit-def: $sgpr4
	s_cbranch_execz .LBB166_96
; %bb.102:                              ;   in Loop: Header=BB166_97 Depth=3
	buffer_load_dword v0, off, s[0:3], 0
	buffer_load_dword v1, off, s[0:3], 0 offset:4
	s_mov_b32 s4, s20
	s_branch .LBB166_96
.LBB166_103:
	s_endpgm
	.section	.rodata,"a",@progbits
	.p2align	6, 0x0
	.amdhsa_kernel _ZL30rocblas_trsm_small_left_deviceILi28ELi28ELb1E19rocblas_complex_numIfES1_PKS1_PS1_Ev13rocblas_fill_18rocblas_operation_17rocblas_diagonal_iiT3_T4_lilT5_lili
		.amdhsa_group_segment_fixed_size 6272
		.amdhsa_private_segment_fixed_size 240
		.amdhsa_kernarg_size 360
		.amdhsa_user_sgpr_count 8
		.amdhsa_user_sgpr_private_segment_buffer 1
		.amdhsa_user_sgpr_dispatch_ptr 0
		.amdhsa_user_sgpr_queue_ptr 0
		.amdhsa_user_sgpr_kernarg_segment_ptr 1
		.amdhsa_user_sgpr_dispatch_id 0
		.amdhsa_user_sgpr_flat_scratch_init 1
		.amdhsa_user_sgpr_kernarg_preload_length 0
		.amdhsa_user_sgpr_kernarg_preload_offset 0
		.amdhsa_user_sgpr_private_segment_size 0
		.amdhsa_uses_dynamic_stack 0
		.amdhsa_system_sgpr_private_segment_wavefront_offset 1
		.amdhsa_system_sgpr_workgroup_id_x 1
		.amdhsa_system_sgpr_workgroup_id_y 0
		.amdhsa_system_sgpr_workgroup_id_z 1
		.amdhsa_system_sgpr_workgroup_info 0
		.amdhsa_system_vgpr_workitem_id 0
		.amdhsa_next_free_vgpr 26
		.amdhsa_next_free_sgpr 46
		.amdhsa_accum_offset 28
		.amdhsa_reserve_vcc 1
		.amdhsa_reserve_flat_scratch 0
		.amdhsa_float_round_mode_32 0
		.amdhsa_float_round_mode_16_64 0
		.amdhsa_float_denorm_mode_32 3
		.amdhsa_float_denorm_mode_16_64 3
		.amdhsa_dx10_clamp 1
		.amdhsa_ieee_mode 1
		.amdhsa_fp16_overflow 0
		.amdhsa_tg_split 0
		.amdhsa_exception_fp_ieee_invalid_op 0
		.amdhsa_exception_fp_denorm_src 0
		.amdhsa_exception_fp_ieee_div_zero 0
		.amdhsa_exception_fp_ieee_overflow 0
		.amdhsa_exception_fp_ieee_underflow 0
		.amdhsa_exception_fp_ieee_inexact 0
		.amdhsa_exception_int_div_zero 0
	.end_amdhsa_kernel
	.section	.text._ZL30rocblas_trsm_small_left_deviceILi28ELi28ELb1E19rocblas_complex_numIfES1_PKS1_PS1_Ev13rocblas_fill_18rocblas_operation_17rocblas_diagonal_iiT3_T4_lilT5_lili,"axG",@progbits,_ZL30rocblas_trsm_small_left_deviceILi28ELi28ELb1E19rocblas_complex_numIfES1_PKS1_PS1_Ev13rocblas_fill_18rocblas_operation_17rocblas_diagonal_iiT3_T4_lilT5_lili,comdat
.Lfunc_end166:
	.size	_ZL30rocblas_trsm_small_left_deviceILi28ELi28ELb1E19rocblas_complex_numIfES1_PKS1_PS1_Ev13rocblas_fill_18rocblas_operation_17rocblas_diagonal_iiT3_T4_lilT5_lili, .Lfunc_end166-_ZL30rocblas_trsm_small_left_deviceILi28ELi28ELb1E19rocblas_complex_numIfES1_PKS1_PS1_Ev13rocblas_fill_18rocblas_operation_17rocblas_diagonal_iiT3_T4_lilT5_lili
                                        ; -- End function
	.section	.AMDGPU.csdata,"",@progbits
; Kernel info:
; codeLenInByte = 4360
; NumSgprs: 50
; NumVgprs: 26
; NumAgprs: 0
; TotalNumVgprs: 26
; ScratchSize: 240
; MemoryBound: 0
; FloatMode: 240
; IeeeMode: 1
; LDSByteSize: 6272 bytes/workgroup (compile time only)
; SGPRBlocks: 6
; VGPRBlocks: 3
; NumSGPRsForWavesPerEU: 50
; NumVGPRsForWavesPerEU: 26
; AccumOffset: 28
; Occupancy: 3
; WaveLimiterHint : 0
; COMPUTE_PGM_RSRC2:SCRATCH_EN: 1
; COMPUTE_PGM_RSRC2:USER_SGPR: 8
; COMPUTE_PGM_RSRC2:TRAP_HANDLER: 0
; COMPUTE_PGM_RSRC2:TGID_X_EN: 1
; COMPUTE_PGM_RSRC2:TGID_Y_EN: 0
; COMPUTE_PGM_RSRC2:TGID_Z_EN: 1
; COMPUTE_PGM_RSRC2:TIDIG_COMP_CNT: 0
; COMPUTE_PGM_RSRC3_GFX90A:ACCUM_OFFSET: 6
; COMPUTE_PGM_RSRC3_GFX90A:TG_SPLIT: 0
	.section	.text._ZL31rocblas_trsm_small_right_deviceI19rocblas_complex_numIfES1_PKS1_PS1_Li28EEv13rocblas_fill_18rocblas_operation_17rocblas_diagonal_iiT0_T1_lilT2_lili,"axG",@progbits,_ZL31rocblas_trsm_small_right_deviceI19rocblas_complex_numIfES1_PKS1_PS1_Li28EEv13rocblas_fill_18rocblas_operation_17rocblas_diagonal_iiT0_T1_lilT2_lili,comdat
	.globl	_ZL31rocblas_trsm_small_right_deviceI19rocblas_complex_numIfES1_PKS1_PS1_Li28EEv13rocblas_fill_18rocblas_operation_17rocblas_diagonal_iiT0_T1_lilT2_lili ; -- Begin function _ZL31rocblas_trsm_small_right_deviceI19rocblas_complex_numIfES1_PKS1_PS1_Li28EEv13rocblas_fill_18rocblas_operation_17rocblas_diagonal_iiT0_T1_lilT2_lili
	.p2align	8
	.type	_ZL31rocblas_trsm_small_right_deviceI19rocblas_complex_numIfES1_PKS1_PS1_Li28EEv13rocblas_fill_18rocblas_operation_17rocblas_diagonal_iiT0_T1_lilT2_lili,@function
_ZL31rocblas_trsm_small_right_deviceI19rocblas_complex_numIfES1_PKS1_PS1_Li28EEv13rocblas_fill_18rocblas_operation_17rocblas_diagonal_iiT0_T1_lilT2_lili: ; @_ZL31rocblas_trsm_small_right_deviceI19rocblas_complex_numIfES1_PKS1_PS1_Li28EEv13rocblas_fill_18rocblas_operation_17rocblas_diagonal_iiT0_T1_lilT2_lili
; %bb.0:
	s_load_dwordx8 s[12:19], s[4:5], 0x0
	s_load_dwordx4 s[20:23], s[4:5], 0x38
	s_load_dwordx2 s[26:27], s[4:5], 0x48
	s_waitcnt lgkmcnt(0)
	s_load_dword s19, s[4:5], 0x68
	s_mov_b32 s40, 0
	s_min_i32 s33, s16, 28
	s_add_i32 s42, s33, -1
	v_cmp_gt_i32_e32 vcc, s33, v0
	s_and_saveexec_b64 s[24:25], vcc
	s_cbranch_execz .LBB167_29
; %bb.1:
	s_load_dword s28, s[4:5], 0x30
	s_load_dwordx4 s[8:11], s[4:5], 0x20
	s_mul_i32 s0, s7, s21
	s_mul_hi_u32 s1, s7, s20
	s_mul_i32 s20, s7, s20
	s_waitcnt lgkmcnt(0)
	s_ashr_i32 s29, s28, 31
	s_cmpk_lg_i32 s13, 0x71
	s_cselect_b64 s[30:31], -1, 0
	s_add_i32 s21, s1, s0
	v_cndmask_b32_e64 v1, 0, 1, s[30:31]
	s_cmp_lt_u32 s42, 3
	v_cmp_ne_u32_e64 s[0:1], 1, v1
	s_cbranch_scc1 .LBB167_20
; %bb.2:
	s_lshl_b64 s[2:3], s[20:21], 3
	s_add_u32 s34, s8, s2
	s_addc_u32 s35, s9, s3
	s_lshl_b64 s[2:3], s[10:11], 3
	s_add_u32 s2, s34, s2
	s_addc_u32 s3, s35, s3
	v_lshlrev_b32_e32 v1, 3, v0
	v_mov_b32_e32 v3, s3
	v_add_co_u32_e32 v2, vcc, s2, v1
	s_mul_hi_i32 s2, s28, 24
	s_lshl_b64 s[34:35], s[28:29], 5
	s_lshl_b64 s[36:37], s[28:29], 4
	;; [unrolled: 1-line block ×3, first 2 shown]
	v_addc_co_u32_e32 v3, vcc, 0, v3, vcc
	s_and_b32 s40, s33, -4
	s_mul_i32 s41, s28, 24
	s_mov_b32 s43, 0
	v_mov_b32_e32 v8, s39
	v_mov_b32_e32 v9, s37
	;; [unrolled: 1-line block ×4, first 2 shown]
	s_branch .LBB167_4
.LBB167_3:                              ;   in Loop: Header=BB167_4 Depth=1
	global_load_dword v4, v[6:7], off
	s_add_i32 s43, s43, 4
	v_add_co_u32_e32 v2, vcc, s34, v2
	v_addc_co_u32_e32 v3, vcc, v3, v11, vcc
	s_cmp_eq_u32 s40, s43
	s_waitcnt vmcnt(0)
	ds_write_b64 v1, v[4:5] offset:672
	v_add_u32_e32 v1, 0x380, v1
	s_cbranch_scc1 .LBB167_20
.LBB167_4:                              ; =>This Inner Loop Header: Depth=1
	s_and_b64 vcc, exec, s[30:31]
	s_cbranch_vccz .LBB167_6
; %bb.5:                                ;   in Loop: Header=BB167_4 Depth=1
	global_load_dword v5, v[2:3], off offset:4
	s_cbranch_execz .LBB167_7
	s_branch .LBB167_8
.LBB167_6:                              ;   in Loop: Header=BB167_4 Depth=1
                                        ; implicit-def: $vgpr5
.LBB167_7:                              ;   in Loop: Header=BB167_4 Depth=1
	global_load_dword v4, v[2:3], off offset:4
	s_waitcnt vmcnt(0)
	v_xor_b32_e32 v5, 0x80000000, v4
.LBB167_8:                              ;   in Loop: Header=BB167_4 Depth=1
	global_load_dword v4, v[2:3], off
	v_add_co_u32_e64 v6, s[2:3], s38, v2
	s_and_b64 vcc, exec, s[0:1]
	v_addc_co_u32_e64 v7, s[2:3], v3, v8, s[2:3]
	s_waitcnt vmcnt(0)
	ds_write_b64 v1, v[4:5]
	s_cbranch_vccnz .LBB167_10
; %bb.9:                                ;   in Loop: Header=BB167_4 Depth=1
	global_load_dword v5, v[6:7], off offset:4
	s_cbranch_execz .LBB167_11
	s_branch .LBB167_12
.LBB167_10:                             ;   in Loop: Header=BB167_4 Depth=1
                                        ; implicit-def: $vgpr5
.LBB167_11:                             ;   in Loop: Header=BB167_4 Depth=1
	global_load_dword v4, v[6:7], off offset:4
	s_waitcnt vmcnt(0)
	v_xor_b32_e32 v5, 0x80000000, v4
.LBB167_12:                             ;   in Loop: Header=BB167_4 Depth=1
	global_load_dword v4, v[6:7], off
	v_add_co_u32_e64 v6, s[2:3], s36, v2
	s_and_b64 vcc, exec, s[0:1]
	v_addc_co_u32_e64 v7, s[2:3], v3, v9, s[2:3]
	s_waitcnt vmcnt(0)
	ds_write_b64 v1, v[4:5] offset:224
	s_cbranch_vccnz .LBB167_14
; %bb.13:                               ;   in Loop: Header=BB167_4 Depth=1
	global_load_dword v5, v[6:7], off offset:4
	s_cbranch_execz .LBB167_15
	s_branch .LBB167_16
.LBB167_14:                             ;   in Loop: Header=BB167_4 Depth=1
                                        ; implicit-def: $vgpr5
.LBB167_15:                             ;   in Loop: Header=BB167_4 Depth=1
	global_load_dword v4, v[6:7], off offset:4
	s_waitcnt vmcnt(0)
	v_xor_b32_e32 v5, 0x80000000, v4
.LBB167_16:                             ;   in Loop: Header=BB167_4 Depth=1
	global_load_dword v4, v[6:7], off
	v_add_co_u32_e64 v6, s[2:3], s41, v2
	s_and_b64 vcc, exec, s[0:1]
	v_addc_co_u32_e64 v7, s[2:3], v3, v10, s[2:3]
	s_waitcnt vmcnt(0)
	ds_write_b64 v1, v[4:5] offset:448
	s_cbranch_vccnz .LBB167_18
; %bb.17:                               ;   in Loop: Header=BB167_4 Depth=1
	global_load_dword v5, v[6:7], off offset:4
	s_cbranch_execnz .LBB167_3
	s_branch .LBB167_19
.LBB167_18:                             ;   in Loop: Header=BB167_4 Depth=1
                                        ; implicit-def: $vgpr5
.LBB167_19:                             ;   in Loop: Header=BB167_4 Depth=1
	global_load_dword v4, v[6:7], off offset:4
	s_waitcnt vmcnt(0)
	v_xor_b32_e32 v5, 0x80000000, v4
	s_branch .LBB167_3
.LBB167_20:
	s_and_b32 s30, s33, 3
	s_cmp_eq_u32 s30, 0
	s_cbranch_scc1 .LBB167_27
; %bb.21:
	s_mul_i32 s2, s40, 0xe0
	v_lshl_add_u32 v1, v0, 3, s2
	s_lshl_b64 s[2:3], s[20:21], 3
	s_mul_i32 s20, s29, s40
	s_mul_hi_u32 s21, s28, s40
	s_add_i32 s21, s21, s20
	s_mul_i32 s20, s28, s40
	s_lshl_b64 s[20:21], s[20:21], 3
	s_add_u32 s20, s2, s20
	s_addc_u32 s21, s3, s21
	s_lshl_b64 s[2:3], s[10:11], 3
	s_add_u32 s2, s20, s2
	s_addc_u32 s3, s21, s3
	s_add_u32 s2, s8, s2
	v_lshlrev_b32_e32 v2, 3, v0
	s_addc_u32 s3, s9, s3
	v_mov_b32_e32 v3, s3
	v_add_co_u32_e32 v2, vcc, s2, v2
	v_addc_co_u32_e32 v3, vcc, 0, v3, vcc
	v_add_co_u32_e32 v2, vcc, 4, v2
	s_lshl_b64 s[2:3], s[28:29], 3
	v_addc_co_u32_e32 v3, vcc, 0, v3, vcc
	v_mov_b32_e32 v6, s3
	s_branch .LBB167_23
.LBB167_22:                             ;   in Loop: Header=BB167_23 Depth=1
	global_load_dword v4, v[2:3], off offset:-4
	s_add_i32 s30, s30, -1
	v_add_co_u32_e32 v2, vcc, s2, v2
	s_cmp_lg_u32 s30, 0
	v_addc_co_u32_e32 v3, vcc, v3, v6, vcc
	s_waitcnt vmcnt(0)
	ds_write_b64 v1, v[4:5]
	v_add_u32_e32 v1, 0xe0, v1
	s_cbranch_scc0 .LBB167_27
.LBB167_23:                             ; =>This Inner Loop Header: Depth=1
	s_and_b64 vcc, exec, s[0:1]
	s_cbranch_vccnz .LBB167_25
; %bb.24:                               ;   in Loop: Header=BB167_23 Depth=1
	global_load_dword v5, v[2:3], off
	s_cbranch_execnz .LBB167_22
	s_branch .LBB167_26
.LBB167_25:                             ;   in Loop: Header=BB167_23 Depth=1
                                        ; implicit-def: $vgpr5
.LBB167_26:                             ;   in Loop: Header=BB167_23 Depth=1
	global_load_dword v4, v[2:3], off
	s_waitcnt vmcnt(0)
	v_xor_b32_e32 v5, 0x80000000, v4
	s_branch .LBB167_22
.LBB167_27:
	s_cmpk_eq_i32 s14, 0x84
	s_cbranch_scc0 .LBB167_29
; %bb.28:
	v_mul_u32_u24_e32 v1, 29, v0
	v_lshlrev_b32_e32 v1, 3, v1
	v_mov_b32_e32 v2, 1.0
	v_mov_b32_e32 v3, 0
	ds_write_b64 v1, v[2:3]
.LBB167_29:
	s_or_b64 exec, exec, s[24:25]
	s_load_dwordx2 s[0:1], s[4:5], 0x58
	s_load_dword s14, s[4:5], 0x50
	s_mul_i32 s39, s6, 0xe0
	s_mul_hi_i32 s38, s6, 0xe0
	s_waitcnt lgkmcnt(0)
	s_mul_i32 s1, s7, s1
	s_mul_hi_u32 s2, s7, s0
	s_mul_i32 s0, s7, s0
	s_add_i32 s1, s2, s1
	s_lshl_b64 s[24:25], s[0:1], 3
	s_add_u32 s0, s22, s24
	s_addc_u32 s1, s23, s25
	s_lshl_b64 s[20:21], s[26:27], 3
	s_add_u32 s0, s0, s20
	s_mul_i32 s2, s6, 0xffffffe4
	s_addc_u32 s1, s1, s21
	s_add_i32 s19, s19, -1
	s_add_i32 s2, s2, s15
	s_cmp_ge_u32 s6, s19
	s_cselect_b32 s2, s2, 28
	s_add_u32 s40, s0, s39
	s_addc_u32 s41, s1, s38
	s_cmp_gt_i32 s16, 0
	v_cmp_gt_i32_e32 vcc, s2, v0
	s_cselect_b64 s[2:3], -1, 0
	s_mov_b32 s0, 0
	s_and_b64 s[26:27], vcc, s[2:3]
	s_and_saveexec_b64 s[28:29], s[26:27]
	s_cbranch_execz .LBB167_41
; %bb.30:
	s_cmp_lt_u32 s16, 2
	s_cselect_b64 s[4:5], -1, 0
	s_cmp_lg_u32 s14, 1
	s_cselect_b64 s[6:7], -1, 0
	s_or_b64 s[4:5], s[4:5], s[6:7]
	s_mov_b32 s1, 1
	s_mov_b64 s[2:3], -1
	s_and_b64 vcc, exec, s[4:5]
	s_cbranch_vccnz .LBB167_38
; %bb.31:
	s_add_i32 s0, s16, -2
	v_lshlrev_b32_e32 v1, 3, v0
	s_lshr_b32 s15, s0, 1
	v_mov_b32_e32 v2, s41
	v_add_co_u32_e32 v1, vcc, s40, v1
	s_add_i32 s15, s15, 1
	s_mov_b32 s35, 0
	v_addc_co_u32_e32 v2, vcc, 0, v2, vcc
	s_mov_b32 s30, s17
	s_mov_b32 s31, s17
	;; [unrolled: 1-line block ×3, first 2 shown]
	s_cmp_lt_u32 s0, 6
	s_mov_b32 s0, s35
	s_cbranch_scc1 .LBB167_35
; %bb.32:
	s_and_b32 s43, s15, -4
	s_mov_b32 s36, 1
	s_mov_b32 s34, s35
.LBB167_33:                             ; =>This Inner Loop Header: Depth=1
	s_lshl_b64 s[0:1], s[34:35], 3
	s_mov_b32 s37, s35
	s_add_i32 s2, s36, 2
	s_add_i32 s4, s34, 2
	s_mov_b32 s5, s35
	s_mov_b32 s3, s35
	s_add_i32 s6, s36, 4
	s_add_i32 s8, s34, 4
	s_mov_b32 s9, s35
	;; [unrolled: 4-line block ×3, first 2 shown]
	s_mov_b32 s11, s35
	v_mov_b32_e32 v3, s1
	v_add_co_u32_e32 v4, vcc, s0, v1
	s_lshl_b64 s[46:47], s[36:37], 3
	s_lshl_b64 s[4:5], s[4:5], 3
	;; [unrolled: 1-line block ×7, first 2 shown]
	v_addc_co_u32_e32 v5, vcc, v2, v3, vcc
	v_mov_b32_e32 v3, s47
	v_mov_b32_e32 v7, s5
	v_add_co_u32_e32 v6, vcc, s4, v1
	v_mov_b32_e32 v9, s3
	v_add_co_u32_e64 v8, s[0:1], s2, v1
	v_mov_b32_e32 v11, s9
	v_add_co_u32_e64 v10, s[2:3], s8, v1
	;; [unrolled: 2-line block ×5, first 2 shown]
	v_add_co_u32_e64 v18, s[10:11], s46, v1
	v_addc_co_u32_e64 v19, s[10:11], v2, v3, s[10:11]
	v_addc_co_u32_e32 v7, vcc, v2, v7, vcc
	v_addc_co_u32_e64 v9, vcc, v2, v9, s[0:1]
	v_addc_co_u32_e64 v11, vcc, v2, v11, s[2:3]
	;; [unrolled: 1-line block ×5, first 2 shown]
	global_load_dwordx2 v[20:21], v[4:5], off
	global_load_dwordx2 v[22:23], v[18:19], off
	;; [unrolled: 1-line block ×8, first 2 shown]
	s_mul_i32 s0, s36, 28
	s_mul_i32 s1, s34, 28
	s_add_i32 s34, s34, 8
	s_add_i32 s43, s43, -4
	v_add_lshl_u32 v3, s1, v0, 3
	v_add_lshl_u32 v36, s0, v0, 3
	s_add_i32 s2, s0, 56
	s_add_i32 s3, s1, 56
	;; [unrolled: 1-line block ×4, first 2 shown]
	s_addk_i32 s0, 0xa8
	s_addk_i32 s1, 0xa8
	s_add_i32 s36, s36, 8
	s_cmp_lg_u32 s43, 0
	v_add_lshl_u32 v37, s3, v0, 3
	v_add_lshl_u32 v38, s2, v0, 3
	v_add_lshl_u32 v39, s5, v0, 3
	v_add_lshl_u32 v40, s4, v0, 3
	v_add_lshl_u32 v41, s1, v0, 3
	v_add_lshl_u32 v42, s0, v0, 3
	s_waitcnt vmcnt(7)
	v_mov_b32_e32 v4, v20
	s_waitcnt vmcnt(6)
	v_mov_b32_e32 v5, v22
	v_mov_b32_e32 v22, v21
	s_waitcnt vmcnt(4)
	v_mov_b32_e32 v7, v26
	;; [unrolled: 3-line block ×4, first 2 shown]
	v_mov_b32_e32 v34, v33
	v_pk_mul_f32 v[12:13], s[18:19], v[22:23]
	v_pk_mul_f32 v[14:15], s[30:31], v[22:23]
	v_mov_b32_e32 v6, v24
	v_mov_b32_e32 v8, v28
	;; [unrolled: 1-line block ×3, first 2 shown]
	v_pk_mul_f32 v[16:17], s[18:19], v[26:27]
	v_pk_mul_f32 v[18:19], s[30:31], v[26:27]
	v_pk_mul_f32 v[20:21], s[18:19], v[30:31]
	v_pk_mul_f32 v[22:23], s[30:31], v[30:31]
	v_pk_mul_f32 v[24:25], s[18:19], v[34:35]
	v_pk_mul_f32 v[26:27], s[30:31], v[34:35]
	v_pk_fma_f32 v[12:13], s[30:31], v[4:5], v[12:13] neg_lo:[0,0,1] neg_hi:[0,0,1]
	v_pk_fma_f32 v[4:5], s[18:19], v[4:5], v[14:15]
	v_pk_fma_f32 v[14:15], s[30:31], v[6:7], v[16:17] neg_lo:[0,0,1] neg_hi:[0,0,1]
	v_pk_fma_f32 v[6:7], s[18:19], v[6:7], v[18:19]
	;; [unrolled: 2-line block ×4, first 2 shown]
	v_mov_b32_e32 v20, v12
	v_mov_b32_e32 v21, v4
	v_mov_b32_e32 v4, v13
	v_mov_b32_e32 v12, v14
	v_mov_b32_e32 v13, v6
	v_mov_b32_e32 v6, v15
	v_mov_b32_e32 v14, v16
	v_mov_b32_e32 v15, v8
	v_mov_b32_e32 v8, v17
	v_mov_b32_e32 v16, v18
	v_mov_b32_e32 v17, v10
	v_mov_b32_e32 v10, v19
	ds_write_b64 v3, v[20:21] offset:6272
	ds_write_b64 v36, v[4:5] offset:6272
	;; [unrolled: 1-line block ×8, first 2 shown]
	s_cbranch_scc1 .LBB167_33
; %bb.34:
	s_mov_b32 s35, s36
	s_mov_b64 s[0:1], s[34:35]
.LBB167_35:
	s_and_b32 s4, s15, 3
	s_cmp_eq_u32 s4, 0
	s_mov_b32 s3, 0
	s_cbranch_scc1 .LBB167_37
.LBB167_36:                             ; =>This Inner Loop Header: Depth=1
	s_mov_b32 s2, s0
	s_lshl_b64 s[6:7], s[2:3], 3
	s_mov_b32 s2, s1
	v_mov_b32_e32 v3, s7
	v_add_co_u32_e32 v4, vcc, s6, v1
	s_lshl_b64 s[8:9], s[2:3], 3
	v_addc_co_u32_e32 v5, vcc, v2, v3, vcc
	v_mov_b32_e32 v3, s9
	v_add_co_u32_e32 v6, vcc, s8, v1
	v_addc_co_u32_e32 v7, vcc, v2, v3, vcc
	global_load_dwordx2 v[8:9], v[4:5], off
	global_load_dwordx2 v[10:11], v[6:7], off
	s_mul_i32 s2, s1, 28
	s_mul_i32 s5, s0, 28
	s_add_i32 s0, s0, 2
	s_add_i32 s4, s4, -1
	s_add_i32 s1, s1, 2
	v_add_lshl_u32 v3, s5, v0, 3
	s_cmp_lg_u32 s4, 0
	v_add_lshl_u32 v12, s2, v0, 3
	s_waitcnt vmcnt(1)
	v_mov_b32_e32 v4, v8
	s_waitcnt vmcnt(0)
	v_mov_b32_e32 v5, v10
	v_mov_b32_e32 v10, v9
	v_pk_mul_f32 v[6:7], s[18:19], v[10:11]
	v_pk_mul_f32 v[8:9], s[30:31], v[10:11]
	v_pk_fma_f32 v[6:7], s[30:31], v[4:5], v[6:7] neg_lo:[0,0,1] neg_hi:[0,0,1]
	v_pk_fma_f32 v[4:5], s[18:19], v[4:5], v[8:9]
	v_mov_b32_e32 v8, v6
	v_mov_b32_e32 v9, v4
	;; [unrolled: 1-line block ×3, first 2 shown]
	ds_write_b64 v3, v[8:9] offset:6272
	ds_write_b64 v12, v[4:5] offset:6272
	s_cbranch_scc1 .LBB167_36
.LBB167_37:
	s_and_b32 s0, s16, 0x7ffffffe
	s_cmp_lg_u32 s0, s16
	s_cselect_b64 s[2:3], -1, 0
.LBB167_38:
	s_and_b64 vcc, exec, s[2:3]
	s_cbranch_vccz .LBB167_41
; %bb.39:
	s_mul_i32 s1, s0, 0xe0
	s_sub_i32 s2, s16, s0
	v_lshl_add_u32 v1, v0, 3, s1
	s_mul_hi_i32 s1, s14, s0
	s_mul_i32 s0, s14, s0
	s_ashr_i32 s15, s14, 31
	s_lshl_b64 s[0:1], s[0:1], 3
	s_add_u32 s0, s24, s0
	s_addc_u32 s1, s25, s1
	s_add_u32 s0, s0, s39
	s_addc_u32 s1, s1, s38
	;; [unrolled: 2-line block ×3, first 2 shown]
	s_add_u32 s0, s22, s0
	v_lshlrev_b32_e32 v2, 3, v0
	s_addc_u32 s1, s23, s1
	v_mov_b32_e32 v3, s1
	v_add_co_u32_e32 v2, vcc, s0, v2
	v_addc_co_u32_e32 v3, vcc, 0, v3, vcc
	v_add_co_u32_e32 v2, vcc, 4, v2
	s_lshl_b64 s[0:1], s[14:15], 3
	v_add_u32_e32 v1, 0x1880, v1
	v_addc_co_u32_e32 v3, vcc, 0, v3, vcc
	v_mov_b32_e32 v4, s1
.LBB167_40:                             ; =>This Inner Loop Header: Depth=1
	global_load_dwordx2 v[6:7], v[2:3], off offset:-4
	s_add_i32 s2, s2, -1
	v_add_co_u32_e32 v2, vcc, s0, v2
	v_addc_co_u32_e32 v3, vcc, v3, v4, vcc
	s_cmp_lg_u32 s2, 0
	s_waitcnt vmcnt(0)
	v_mul_f32_e32 v5, s18, v7
	v_mul_f32_e32 v9, s17, v7
	v_fma_f32 v8, s17, v6, -v5
	v_fmac_f32_e32 v9, s18, v6
	ds_write_b64 v1, v[8:9]
	v_add_u32_e32 v1, 0xe0, v1
	s_cbranch_scc1 .LBB167_40
.LBB167_41:
	s_or_b64 exec, exec, s[28:29]
	s_cmpk_eq_i32 s13, 0x6f
	s_cselect_b64 s[0:1], -1, 0
	s_cmpk_eq_i32 s12, 0x79
	s_cselect_b64 s[4:5], -1, 0
	s_cmpk_lg_i32 s12, 0x79
	s_cselect_b64 s[2:3], -1, 0
	s_and_b64 s[4:5], s[4:5], s[0:1]
	s_andn2_b64 vcc, exec, s[4:5]
	s_mov_b64 s[4:5], -1
	s_waitcnt lgkmcnt(0)
	; wave barrier
	s_waitcnt lgkmcnt(0)
	s_cbranch_vccz .LBB167_149
; %bb.42:
	s_cmpk_lg_i32 s12, 0x7a
	s_cselect_b64 s[6:7], -1, 0
	s_xor_b64 s[0:1], s[0:1], -1
	s_or_b64 s[6:7], s[6:7], s[0:1]
	s_cmp_gt_i32 s16, 3
	s_cselect_b64 s[0:1], -1, 0
	s_and_b64 vcc, exec, s[6:7]
	s_cbranch_vccz .LBB167_116
; %bb.43:
	s_andn2_b64 vcc, exec, s[2:3]
	s_mov_b64 s[2:3], -1
	s_cbranch_vccnz .LBB167_83
; %bb.44:
	s_andn2_b64 vcc, exec, s[0:1]
	s_mov_b32 s6, 0
	s_cbranch_vccnz .LBB167_67
; %bb.45:
	v_mov_b32_e32 v1, 0x1880
	v_lshl_add_u32 v1, v0, 3, v1
	s_mov_b32 s4, 0
	s_mov_b32 s5, 0
.LBB167_46:                             ; =>This Loop Header: Depth=1
                                        ;     Child Loop BB167_48 Depth 2
	s_mul_i32 s6, s5, 28
	v_add_lshl_u32 v8, s6, v0, 3
	s_add_i32 s7, s6, 28
	s_add_i32 s6, s6, 56
	v_add_lshl_u32 v12, s6, v0, 3
	v_add_u32_e32 v2, 0x1800, v12
	v_add_lshl_u32 v9, s7, v0, 3
	ds_read_b64 v[6:7], v8 offset:6272
	ds_read_b64 v[10:11], v9 offset:6272
	ds_read2_b64 v[2:5], v2 offset0:16 offset1:44
	s_cmp_eq_u32 s5, 0
	s_cbranch_scc1 .LBB167_49
; %bb.47:                               ;   in Loop: Header=BB167_46 Depth=1
	s_mov_b32 s2, 0
	v_mov_b32_e32 v13, v1
	s_mov_b32 s3, s4
.LBB167_48:                             ;   Parent Loop BB167_46 Depth=1
                                        ; =>  This Inner Loop Header: Depth=2
	ds_read2_b64 v[14:17], v13 offset1:28
	v_mov_b32_e32 v30, s3
	ds_read_b128 v[18:21], v30
	ds_read_b128 v[22:25], v30 offset:16
	ds_read_b128 v[26:29], v30 offset:224
	;; [unrolled: 1-line block ×3, first 2 shown]
	s_add_i32 s2, s2, 2
	s_addk_i32 s3, 0x1c0
	s_waitcnt lgkmcnt(3)
	v_mul_f32_e32 v34, v19, v15
	v_mul_f32_e32 v35, v18, v15
	v_mul_f32_e32 v36, v21, v15
	v_mul_f32_e32 v21, v21, v14
	s_waitcnt lgkmcnt(2)
	v_mul_f32_e32 v37, v23, v15
	v_mul_f32_e32 v23, v23, v14
	v_mul_f32_e32 v38, v25, v15
	v_mul_f32_e32 v25, v25, v14
	;; [unrolled: 5-line block ×4, first 2 shown]
	v_fma_f32 v18, v18, v14, -v34
	v_fmac_f32_e32 v35, v19, v14
	v_fma_f32 v19, v20, v14, -v36
	v_fmac_f32_e32 v21, v20, v15
	;; [unrolled: 2-line block ×8, first 2 shown]
	v_sub_f32_e32 v6, v6, v18
	v_sub_f32_e32 v7, v7, v35
	;; [unrolled: 1-line block ×8, first 2 shown]
	v_add_u32_e32 v13, 0x1c0, v13
	s_cmp_ge_u32 s2, s5
	v_sub_f32_e32 v6, v6, v15
	v_sub_f32_e32 v7, v7, v40
	;; [unrolled: 1-line block ×8, first 2 shown]
	s_cbranch_scc0 .LBB167_48
.LBB167_49:                             ;   in Loop: Header=BB167_46 Depth=1
	s_mul_i32 s8, s5, 0xe8
	v_add_u32_e32 v16, 0x1880, v8
	v_mov_b32_e32 v8, s8
	v_add_u32_e32 v15, 0x1880, v9
	ds_read_b64 v[8:9], v8
	v_add_u32_e32 v14, 0x1880, v12
	s_waitcnt lgkmcnt(0)
	v_cmp_gt_f32_e32 vcc, 0, v9
	v_cndmask_b32_e64 v12, v9, -v9, vcc
	v_cmp_gt_f32_e32 vcc, 0, v8
	v_cndmask_b32_e64 v13, v8, -v8, vcc
	v_cmp_ngt_f32_e32 vcc, v13, v12
	s_cbranch_vccz .LBB167_51
; %bb.50:                               ;   in Loop: Header=BB167_46 Depth=1
	v_div_scale_f32 v12, s[2:3], v9, v9, v8
	v_rcp_f32_e32 v13, v12
	v_div_scale_f32 v17, vcc, v8, v9, v8
	v_fma_f32 v18, -v12, v13, 1.0
	v_fmac_f32_e32 v13, v18, v13
	v_mul_f32_e32 v18, v17, v13
	v_fma_f32 v19, -v12, v18, v17
	v_fmac_f32_e32 v18, v19, v13
	v_fma_f32 v12, -v12, v18, v17
	v_div_fmas_f32 v12, v12, v13, v18
	v_div_fixup_f32 v13, v12, v9, v8
	v_fma_f32 v12, v8, v13, v9
	v_div_scale_f32 v17, s[2:3], v12, v12, 1.0
	v_rcp_f32_e32 v18, v17
	v_fma_f32 v19, -v17, v18, 1.0
	v_fmac_f32_e32 v18, v19, v18
	v_div_scale_f32 v19, vcc, 1.0, v12, 1.0
	v_mul_f32_e32 v20, v19, v18
	v_fma_f32 v21, -v17, v20, v19
	v_fmac_f32_e32 v20, v21, v18
	v_fma_f32 v17, -v17, v20, v19
	v_div_fmas_f32 v17, v17, v18, v20
	v_div_fixup_f32 v17, v17, v12, 1.0
	v_fma_f32 v12, v6, v13, v7
	v_fma_f32 v13, v7, v13, -v6
	v_mul_f32_e32 v12, v12, v17
	v_mul_f32_e32 v13, v13, v17
	s_cbranch_execz .LBB167_52
	s_branch .LBB167_53
.LBB167_51:                             ;   in Loop: Header=BB167_46 Depth=1
                                        ; implicit-def: $vgpr13
.LBB167_52:                             ;   in Loop: Header=BB167_46 Depth=1
	v_div_scale_f32 v12, s[2:3], v8, v8, v9
	v_rcp_f32_e32 v13, v12
	v_div_scale_f32 v17, vcc, v9, v8, v9
	v_fma_f32 v18, -v12, v13, 1.0
	v_fmac_f32_e32 v13, v18, v13
	v_mul_f32_e32 v18, v17, v13
	v_fma_f32 v19, -v12, v18, v17
	v_fmac_f32_e32 v18, v19, v13
	v_fma_f32 v12, -v12, v18, v17
	v_div_fmas_f32 v12, v12, v13, v18
	v_div_fixup_f32 v13, v12, v8, v9
	v_fmac_f32_e32 v8, v9, v13
	v_div_scale_f32 v9, s[2:3], v8, v8, 1.0
	v_rcp_f32_e32 v12, v9
	v_fma_f32 v17, -v9, v12, 1.0
	v_fmac_f32_e32 v12, v17, v12
	v_div_scale_f32 v17, vcc, 1.0, v8, 1.0
	v_mul_f32_e32 v18, v17, v12
	v_fma_f32 v19, -v9, v18, v17
	v_fmac_f32_e32 v18, v19, v12
	v_fma_f32 v9, -v9, v18, v17
	v_div_fmas_f32 v9, v9, v12, v18
	v_div_fixup_f32 v8, v9, v8, 1.0
	v_fma_f32 v9, v7, v13, v6
	v_fma_f32 v6, -v6, v13, v7
	v_mul_f32_e32 v12, v9, v8
	v_mul_f32_e32 v13, v6, v8
.LBB167_53:                             ;   in Loop: Header=BB167_46 Depth=1
	v_mov_b32_e32 v6, s8
	ds_read2_b64 v[6:9], v6 offset0:1 offset1:29
	ds_write_b64 v16, v[12:13]
	s_waitcnt lgkmcnt(1)
	v_mul_f32_e32 v16, v13, v7
	v_mul_f32_e32 v7, v12, v7
	v_fma_f32 v16, v12, v6, -v16
	v_cmp_gt_f32_e32 vcc, 0, v9
	v_fmac_f32_e32 v7, v13, v6
	v_sub_f32_e32 v6, v10, v16
	v_cndmask_b32_e64 v10, v9, -v9, vcc
	v_cmp_gt_f32_e32 vcc, 0, v8
	v_sub_f32_e32 v7, v11, v7
	v_cndmask_b32_e64 v11, v8, -v8, vcc
	v_cmp_ngt_f32_e32 vcc, v11, v10
	s_cbranch_vccz .LBB167_55
; %bb.54:                               ;   in Loop: Header=BB167_46 Depth=1
	v_div_scale_f32 v10, s[2:3], v9, v9, v8
	v_rcp_f32_e32 v11, v10
	v_div_scale_f32 v16, vcc, v8, v9, v8
	v_fma_f32 v17, -v10, v11, 1.0
	v_fmac_f32_e32 v11, v17, v11
	v_mul_f32_e32 v17, v16, v11
	v_fma_f32 v18, -v10, v17, v16
	v_fmac_f32_e32 v17, v18, v11
	v_fma_f32 v10, -v10, v17, v16
	v_div_fmas_f32 v10, v10, v11, v17
	v_div_fixup_f32 v11, v10, v9, v8
	v_fma_f32 v10, v8, v11, v9
	v_div_scale_f32 v16, s[2:3], v10, v10, 1.0
	v_rcp_f32_e32 v17, v16
	v_fma_f32 v18, -v16, v17, 1.0
	v_fmac_f32_e32 v17, v18, v17
	v_div_scale_f32 v18, vcc, 1.0, v10, 1.0
	v_mul_f32_e32 v19, v18, v17
	v_fma_f32 v20, -v16, v19, v18
	v_fmac_f32_e32 v19, v20, v17
	v_fma_f32 v16, -v16, v19, v18
	v_div_fmas_f32 v16, v16, v17, v19
	v_div_fixup_f32 v16, v16, v10, 1.0
	v_fma_f32 v10, v11, v6, v7
	v_fma_f32 v11, v11, v7, -v6
	v_mul_f32_e32 v10, v10, v16
	v_mul_f32_e32 v11, v11, v16
	s_cbranch_execz .LBB167_56
	s_branch .LBB167_57
.LBB167_55:                             ;   in Loop: Header=BB167_46 Depth=1
                                        ; implicit-def: $vgpr11
.LBB167_56:                             ;   in Loop: Header=BB167_46 Depth=1
	v_div_scale_f32 v10, s[2:3], v8, v8, v9
	v_rcp_f32_e32 v11, v10
	v_div_scale_f32 v16, vcc, v9, v8, v9
	v_fma_f32 v17, -v10, v11, 1.0
	v_fmac_f32_e32 v11, v17, v11
	v_mul_f32_e32 v17, v16, v11
	v_fma_f32 v18, -v10, v17, v16
	v_fmac_f32_e32 v17, v18, v11
	v_fma_f32 v10, -v10, v17, v16
	v_div_fmas_f32 v10, v10, v11, v17
	v_div_fixup_f32 v11, v10, v8, v9
	v_fmac_f32_e32 v8, v9, v11
	v_div_scale_f32 v9, s[2:3], v8, v8, 1.0
	v_rcp_f32_e32 v10, v9
	v_fma_f32 v16, -v9, v10, 1.0
	v_fmac_f32_e32 v10, v16, v10
	v_div_scale_f32 v16, vcc, 1.0, v8, 1.0
	v_mul_f32_e32 v17, v16, v10
	v_fma_f32 v18, -v9, v17, v16
	v_fmac_f32_e32 v17, v18, v10
	v_fma_f32 v9, -v9, v17, v16
	v_div_fmas_f32 v9, v9, v10, v17
	v_div_fixup_f32 v8, v9, v8, 1.0
	v_fma_f32 v9, v11, v7, v6
	v_fma_f32 v6, -v11, v6, v7
	v_mul_f32_e32 v10, v9, v8
	v_mul_f32_e32 v11, v6, v8
.LBB167_57:                             ;   in Loop: Header=BB167_46 Depth=1
	v_mov_b32_e32 v6, s8
	ds_read2_b64 v[6:9], v6 offset0:2 offset1:58
	s_add_i32 s7, s7, s5
	s_lshl_b32 s7, s7, 3
	ds_write_b64 v15, v[10:11]
	v_mov_b32_e32 v15, s7
	s_waitcnt lgkmcnt(1)
	v_mul_f32_e32 v16, v13, v7
	v_fma_f32 v18, v12, v6, -v16
	ds_read_b64 v[16:17], v15 offset:16
	v_mul_f32_e32 v7, v12, v7
	v_fmac_f32_e32 v7, v13, v6
	v_sub_f32_e32 v2, v2, v18
	v_sub_f32_e32 v3, v3, v7
	s_waitcnt lgkmcnt(0)
	v_mul_f32_e32 v6, v11, v17
	v_fma_f32 v6, v10, v16, -v6
	v_mul_f32_e32 v7, v10, v17
	v_cmp_gt_f32_e32 vcc, 0, v9
	v_fmac_f32_e32 v7, v11, v16
	v_sub_f32_e32 v6, v2, v6
	v_cndmask_b32_e64 v2, v9, -v9, vcc
	v_cmp_gt_f32_e32 vcc, 0, v8
	v_sub_f32_e32 v7, v3, v7
	v_cndmask_b32_e64 v3, v8, -v8, vcc
	v_cmp_ngt_f32_e32 vcc, v3, v2
	s_cbranch_vccz .LBB167_59
; %bb.58:                               ;   in Loop: Header=BB167_46 Depth=1
	v_div_scale_f32 v2, s[2:3], v9, v9, v8
	v_rcp_f32_e32 v3, v2
	v_div_scale_f32 v15, vcc, v8, v9, v8
	v_fma_f32 v16, -v2, v3, 1.0
	v_fmac_f32_e32 v3, v16, v3
	v_mul_f32_e32 v16, v15, v3
	v_fma_f32 v17, -v2, v16, v15
	v_fmac_f32_e32 v16, v17, v3
	v_fma_f32 v2, -v2, v16, v15
	v_div_fmas_f32 v2, v2, v3, v16
	v_div_fixup_f32 v3, v2, v9, v8
	v_fma_f32 v2, v8, v3, v9
	v_div_scale_f32 v15, s[2:3], v2, v2, 1.0
	v_rcp_f32_e32 v16, v15
	v_fma_f32 v17, -v15, v16, 1.0
	v_fmac_f32_e32 v16, v17, v16
	v_div_scale_f32 v17, vcc, 1.0, v2, 1.0
	v_mul_f32_e32 v18, v17, v16
	v_fma_f32 v19, -v15, v18, v17
	v_fmac_f32_e32 v18, v19, v16
	v_fma_f32 v15, -v15, v18, v17
	v_div_fmas_f32 v15, v15, v16, v18
	v_div_fixup_f32 v15, v15, v2, 1.0
	v_fma_f32 v2, v3, v6, v7
	v_fma_f32 v3, v3, v7, -v6
	v_mul_f32_e32 v2, v2, v15
	v_mul_f32_e32 v3, v3, v15
	s_cbranch_execz .LBB167_60
	s_branch .LBB167_61
.LBB167_59:                             ;   in Loop: Header=BB167_46 Depth=1
                                        ; implicit-def: $vgpr3
.LBB167_60:                             ;   in Loop: Header=BB167_46 Depth=1
	v_div_scale_f32 v2, s[2:3], v8, v8, v9
	v_rcp_f32_e32 v3, v2
	v_div_scale_f32 v15, vcc, v9, v8, v9
	v_fma_f32 v16, -v2, v3, 1.0
	v_fmac_f32_e32 v3, v16, v3
	v_mul_f32_e32 v16, v15, v3
	v_fma_f32 v17, -v2, v16, v15
	v_fmac_f32_e32 v16, v17, v3
	v_fma_f32 v2, -v2, v16, v15
	v_div_fmas_f32 v2, v2, v3, v16
	v_div_fixup_f32 v3, v2, v8, v9
	v_fmac_f32_e32 v8, v9, v3
	v_div_scale_f32 v2, s[2:3], v8, v8, 1.0
	v_rcp_f32_e32 v9, v2
	v_fma_f32 v15, -v2, v9, 1.0
	v_fmac_f32_e32 v9, v15, v9
	v_div_scale_f32 v15, vcc, 1.0, v8, 1.0
	v_mul_f32_e32 v16, v15, v9
	v_fma_f32 v17, -v2, v16, v15
	v_fmac_f32_e32 v16, v17, v9
	v_fma_f32 v2, -v2, v16, v15
	v_div_fmas_f32 v2, v2, v9, v16
	v_div_fixup_f32 v8, v2, v8, 1.0
	v_fma_f32 v2, v3, v7, v6
	v_fma_f32 v3, -v3, v6, v7
	v_mul_f32_e32 v2, v2, v8
	v_mul_f32_e32 v3, v3, v8
.LBB167_61:                             ;   in Loop: Header=BB167_46 Depth=1
	v_mov_b32_e32 v6, s8
	ds_read2_b64 v[6:9], v6 offset0:3 offset1:87
	s_add_i32 s6, s6, s5
	s_lshl_b32 s2, s6, 3
	ds_write_b64 v14, v[2:3]
	s_waitcnt lgkmcnt(1)
	v_mul_f32_e32 v15, v13, v7
	v_mul_f32_e32 v7, v12, v7
	v_fma_f32 v12, v12, v6, -v15
	v_fmac_f32_e32 v7, v13, v6
	v_sub_f32_e32 v12, v4, v12
	v_mov_b32_e32 v4, s7
	v_sub_f32_e32 v13, v5, v7
	ds_read_b64 v[4:5], v4 offset:24
	v_mov_b32_e32 v6, s2
	ds_read_b64 v[6:7], v6 offset:24
	v_cmp_gt_f32_e32 vcc, 0, v9
	s_waitcnt lgkmcnt(1)
	v_mul_f32_e32 v15, v11, v5
	v_fma_f32 v15, v10, v4, -v15
	v_mul_f32_e32 v5, v10, v5
	s_waitcnt lgkmcnt(0)
	v_mul_f32_e32 v10, v3, v7
	v_fmac_f32_e32 v5, v11, v4
	v_fma_f32 v10, v2, v6, -v10
	v_mul_f32_e32 v2, v2, v7
	v_sub_f32_e32 v5, v13, v5
	v_fmac_f32_e32 v2, v3, v6
	v_sub_f32_e32 v5, v5, v2
	v_cndmask_b32_e64 v2, v9, -v9, vcc
	v_cmp_gt_f32_e32 vcc, 0, v8
	v_cndmask_b32_e64 v3, v8, -v8, vcc
	v_sub_f32_e32 v4, v12, v15
	v_cmp_ngt_f32_e32 vcc, v3, v2
	v_sub_f32_e32 v4, v4, v10
	s_cbranch_vccz .LBB167_63
; %bb.62:                               ;   in Loop: Header=BB167_46 Depth=1
	v_div_scale_f32 v2, s[2:3], v9, v9, v8
	v_rcp_f32_e32 v3, v2
	v_div_scale_f32 v6, vcc, v8, v9, v8
	v_fma_f32 v7, -v2, v3, 1.0
	v_fmac_f32_e32 v3, v7, v3
	v_mul_f32_e32 v7, v6, v3
	v_fma_f32 v10, -v2, v7, v6
	v_fmac_f32_e32 v7, v10, v3
	v_fma_f32 v2, -v2, v7, v6
	v_div_fmas_f32 v2, v2, v3, v7
	v_div_fixup_f32 v3, v2, v9, v8
	v_fma_f32 v2, v8, v3, v9
	v_div_scale_f32 v6, s[2:3], v2, v2, 1.0
	v_rcp_f32_e32 v7, v6
	v_fma_f32 v10, -v6, v7, 1.0
	v_fmac_f32_e32 v7, v10, v7
	v_div_scale_f32 v10, vcc, 1.0, v2, 1.0
	v_mul_f32_e32 v11, v10, v7
	v_fma_f32 v12, -v6, v11, v10
	v_fmac_f32_e32 v11, v12, v7
	v_fma_f32 v6, -v6, v11, v10
	v_div_fmas_f32 v6, v6, v7, v11
	v_div_fixup_f32 v6, v6, v2, 1.0
	v_fma_f32 v2, v3, v4, v5
	v_fma_f32 v3, v3, v5, -v4
	v_mul_f32_e32 v2, v2, v6
	v_mul_f32_e32 v3, v3, v6
	s_cbranch_execz .LBB167_64
	s_branch .LBB167_65
.LBB167_63:                             ;   in Loop: Header=BB167_46 Depth=1
                                        ; implicit-def: $vgpr3
.LBB167_64:                             ;   in Loop: Header=BB167_46 Depth=1
	v_div_scale_f32 v2, s[2:3], v8, v8, v9
	v_rcp_f32_e32 v3, v2
	v_div_scale_f32 v6, vcc, v9, v8, v9
	v_fma_f32 v7, -v2, v3, 1.0
	v_fmac_f32_e32 v3, v7, v3
	v_mul_f32_e32 v7, v6, v3
	v_fma_f32 v10, -v2, v7, v6
	v_fmac_f32_e32 v7, v10, v3
	v_fma_f32 v2, -v2, v7, v6
	v_div_fmas_f32 v2, v2, v3, v7
	v_div_fixup_f32 v3, v2, v8, v9
	v_fmac_f32_e32 v8, v9, v3
	v_div_scale_f32 v2, s[2:3], v8, v8, 1.0
	v_rcp_f32_e32 v6, v2
	v_fma_f32 v7, -v2, v6, 1.0
	v_fmac_f32_e32 v6, v7, v6
	v_div_scale_f32 v7, vcc, 1.0, v8, 1.0
	v_mul_f32_e32 v9, v7, v6
	v_fma_f32 v10, -v2, v9, v7
	v_fmac_f32_e32 v9, v10, v6
	v_fma_f32 v2, -v2, v9, v7
	v_div_fmas_f32 v2, v2, v6, v9
	v_div_fixup_f32 v6, v2, v8, 1.0
	v_fma_f32 v2, v3, v5, v4
	v_fma_f32 v3, -v3, v4, v5
	v_mul_f32_e32 v2, v2, v6
	v_mul_f32_e32 v3, v3, v6
.LBB167_65:                             ;   in Loop: Header=BB167_46 Depth=1
	s_add_i32 s6, s5, 4
	s_add_i32 s2, s5, 7
	;; [unrolled: 1-line block ×3, first 2 shown]
	s_cmp_ge_i32 s2, s33
	ds_write_b64 v14, v[2:3] offset:224
	s_cbranch_scc1 .LBB167_67
; %bb.66:                               ;   in Loop: Header=BB167_46 Depth=1
	s_mov_b32 s5, s6
	s_branch .LBB167_46
.LBB167_67:
	s_cmp_ge_i32 s6, s33
	s_cbranch_scc1 .LBB167_82
; %bb.68:
	v_mov_b32_e32 v1, 0x1880
	s_add_i32 s4, s6, -1
	s_lshl_b32 s5, s6, 3
	v_lshl_add_u32 v1, v0, 3, v1
	s_mov_b32 s7, 0
	s_mov_b32 s8, s6
	s_branch .LBB167_70
.LBB167_69:                             ;   in Loop: Header=BB167_70 Depth=1
	s_add_i32 s6, s6, 1
	s_add_i32 s7, s7, 1
	;; [unrolled: 1-line block ×3, first 2 shown]
	v_add_u16_e64 v2, s8, 1
	s_cmp_ge_i32 s6, s33
	v_readfirstlane_b32 s8, v2
	ds_write_b64 v8, v[6:7]
	s_cbranch_scc1 .LBB167_82
.LBB167_70:                             ; =>This Loop Header: Depth=1
                                        ;     Child Loop BB167_73 Depth 2
                                        ;     Child Loop BB167_77 Depth 2
	s_mul_i32 s2, s6, 28
	v_add_lshl_u32 v4, s2, v0, 3
	ds_read_b64 v[2:3], v4 offset:6272
	s_cmp_eq_u32 s6, 0
	s_cbranch_scc1 .LBB167_78
; %bb.71:                               ;   in Loop: Header=BB167_70 Depth=1
	s_add_i32 s2, s4, s7
	s_cmp_lt_u32 s2, 7
	s_cbranch_scc1 .LBB167_75
; %bb.72:                               ;   in Loop: Header=BB167_70 Depth=1
	s_and_b32 s2, s6, -8
	s_mov_b32 s3, 0
	v_mov_b32_e32 v5, v1
	s_mov_b32 s9, s5
.LBB167_73:                             ;   Parent Loop BB167_70 Depth=1
                                        ; =>  This Inner Loop Header: Depth=2
	ds_read2_b64 v[6:9], v5 offset1:28
	v_mov_b32_e32 v34, s9
	ds_read2_b64 v[10:13], v5 offset0:56 offset1:84
	ds_read2_b64 v[14:17], v5 offset0:112 offset1:140
	;; [unrolled: 1-line block ×3, first 2 shown]
	ds_read2_b64 v[22:25], v34 offset1:28
	ds_read2_b64 v[26:29], v34 offset0:56 offset1:84
	ds_read2_b64 v[30:33], v34 offset0:112 offset1:140
	;; [unrolled: 1-line block ×3, first 2 shown]
	s_add_i32 s3, s3, 8
	s_waitcnt lgkmcnt(3)
	v_pk_mul_f32 v[38:39], v[22:23], v[6:7] op_sel:[0,1]
	v_pk_mul_f32 v[40:41], v[24:25], v[8:9] op_sel:[0,1]
	v_pk_fma_f32 v[54:55], v[22:23], v[6:7], v[38:39] op_sel:[0,0,1] op_sel_hi:[1,0,0]
	v_pk_fma_f32 v[6:7], v[22:23], v[6:7], v[38:39] op_sel:[0,0,1] op_sel_hi:[1,0,0] neg_lo:[0,0,1] neg_hi:[0,0,1]
	s_waitcnt lgkmcnt(2)
	v_pk_mul_f32 v[42:43], v[26:27], v[10:11] op_sel:[0,1]
	v_pk_fma_f32 v[22:23], v[24:25], v[8:9], v[40:41] op_sel:[0,0,1] op_sel_hi:[1,0,0]
	v_pk_fma_f32 v[8:9], v[24:25], v[8:9], v[40:41] op_sel:[0,0,1] op_sel_hi:[1,0,0] neg_lo:[0,0,1] neg_hi:[0,0,1]
	v_mov_b32_e32 v7, v55
	v_pk_mul_f32 v[44:45], v[28:29], v[12:13] op_sel:[0,1]
	v_pk_fma_f32 v[24:25], v[26:27], v[10:11], v[42:43] op_sel:[0,0,1] op_sel_hi:[1,0,0]
	v_pk_fma_f32 v[10:11], v[26:27], v[10:11], v[42:43] op_sel:[0,0,1] op_sel_hi:[1,0,0] neg_lo:[0,0,1] neg_hi:[0,0,1]
	v_mov_b32_e32 v9, v23
	v_pk_add_f32 v[2:3], v[2:3], v[6:7] neg_lo:[0,1] neg_hi:[0,1]
	s_waitcnt lgkmcnt(1)
	v_pk_mul_f32 v[46:47], v[30:31], v[14:15] op_sel:[0,1]
	v_pk_fma_f32 v[26:27], v[28:29], v[12:13], v[44:45] op_sel:[0,0,1] op_sel_hi:[1,0,0]
	v_pk_fma_f32 v[12:13], v[28:29], v[12:13], v[44:45] op_sel:[0,0,1] op_sel_hi:[1,0,0] neg_lo:[0,0,1] neg_hi:[0,0,1]
	v_mov_b32_e32 v11, v25
	v_pk_add_f32 v[2:3], v[2:3], v[8:9] neg_lo:[0,1] neg_hi:[0,1]
	v_pk_mul_f32 v[48:49], v[32:33], v[16:17] op_sel:[0,1]
	v_pk_fma_f32 v[28:29], v[30:31], v[14:15], v[46:47] op_sel:[0,0,1] op_sel_hi:[1,0,0]
	v_pk_fma_f32 v[14:15], v[30:31], v[14:15], v[46:47] op_sel:[0,0,1] op_sel_hi:[1,0,0] neg_lo:[0,0,1] neg_hi:[0,0,1]
	v_mov_b32_e32 v13, v27
	v_pk_add_f32 v[2:3], v[2:3], v[10:11] neg_lo:[0,1] neg_hi:[0,1]
	s_waitcnt lgkmcnt(0)
	v_pk_mul_f32 v[50:51], v[34:35], v[18:19] op_sel:[0,1]
	v_pk_fma_f32 v[30:31], v[32:33], v[16:17], v[48:49] op_sel:[0,0,1] op_sel_hi:[1,0,0]
	v_pk_fma_f32 v[16:17], v[32:33], v[16:17], v[48:49] op_sel:[0,0,1] op_sel_hi:[1,0,0] neg_lo:[0,0,1] neg_hi:[0,0,1]
	v_mov_b32_e32 v15, v29
	v_pk_add_f32 v[2:3], v[2:3], v[12:13] neg_lo:[0,1] neg_hi:[0,1]
	v_pk_mul_f32 v[52:53], v[36:37], v[20:21] op_sel:[0,1]
	v_pk_fma_f32 v[32:33], v[34:35], v[18:19], v[50:51] op_sel:[0,0,1] op_sel_hi:[1,0,0]
	v_pk_fma_f32 v[18:19], v[34:35], v[18:19], v[50:51] op_sel:[0,0,1] op_sel_hi:[1,0,0] neg_lo:[0,0,1] neg_hi:[0,0,1]
	v_mov_b32_e32 v17, v31
	v_pk_add_f32 v[2:3], v[2:3], v[14:15] neg_lo:[0,1] neg_hi:[0,1]
	v_pk_fma_f32 v[34:35], v[36:37], v[20:21], v[52:53] op_sel:[0,0,1] op_sel_hi:[1,0,0]
	v_pk_fma_f32 v[20:21], v[36:37], v[20:21], v[52:53] op_sel:[0,0,1] op_sel_hi:[1,0,0] neg_lo:[0,0,1] neg_hi:[0,0,1]
	v_mov_b32_e32 v19, v33
	v_pk_add_f32 v[2:3], v[2:3], v[16:17] neg_lo:[0,1] neg_hi:[0,1]
	s_addk_i32 s9, 0x700
	v_mov_b32_e32 v21, v35
	v_pk_add_f32 v[2:3], v[2:3], v[18:19] neg_lo:[0,1] neg_hi:[0,1]
	v_add_u32_e32 v5, 0x700, v5
	s_cmp_eq_u32 s2, s3
	v_pk_add_f32 v[2:3], v[2:3], v[20:21] neg_lo:[0,1] neg_hi:[0,1]
	s_cbranch_scc0 .LBB167_73
; %bb.74:                               ;   in Loop: Header=BB167_70 Depth=1
	s_and_b32 s3, s6, 7
	s_cmp_eq_u32 s3, 0
	s_cbranch_scc0 .LBB167_76
	s_branch .LBB167_78
.LBB167_75:                             ;   in Loop: Header=BB167_70 Depth=1
	s_mov_b32 s2, 0
	s_and_b32 s3, s6, 7
	s_cmp_eq_u32 s3, 0
	s_cbranch_scc1 .LBB167_78
.LBB167_76:                             ;   in Loop: Header=BB167_70 Depth=1
	s_and_b32 s3, s8, 7
	s_mulk_i32 s2, 0xe0
.LBB167_77:                             ;   Parent Loop BB167_70 Depth=1
                                        ; =>  This Inner Loop Header: Depth=2
	v_add_u32_e32 v5, s2, v1
	s_add_i32 s9, s5, s2
	ds_read_b64 v[6:7], v5
	v_mov_b32_e32 v5, s9
	ds_read_b64 v[8:9], v5
	s_addk_i32 s2, 0xe0
	s_add_i32 s3, s3, -1
	s_cmp_lg_u32 s3, 0
	s_waitcnt lgkmcnt(0)
	v_pk_mul_f32 v[10:11], v[8:9], v[6:7] op_sel:[0,1]
	v_pk_fma_f32 v[12:13], v[8:9], v[6:7], v[10:11] op_sel:[0,0,1] op_sel_hi:[1,0,0]
	v_pk_fma_f32 v[6:7], v[8:9], v[6:7], v[10:11] op_sel:[0,0,1] op_sel_hi:[1,0,0] neg_lo:[0,0,1] neg_hi:[0,0,1]
	v_mov_b32_e32 v7, v13
	v_pk_add_f32 v[2:3], v[2:3], v[6:7] neg_lo:[0,1] neg_hi:[0,1]
	s_cbranch_scc1 .LBB167_77
.LBB167_78:                             ;   in Loop: Header=BB167_70 Depth=1
	s_mul_i32 s2, s6, 0xe8
	v_add_u32_e32 v8, 0x1880, v4
	v_mov_b32_e32 v4, s2
	ds_read_b64 v[4:5], v4
	s_waitcnt lgkmcnt(0)
	v_cmp_gt_f32_e32 vcc, 0, v5
	v_cndmask_b32_e64 v6, v5, -v5, vcc
	v_cmp_gt_f32_e32 vcc, 0, v4
	v_cndmask_b32_e64 v7, v4, -v4, vcc
	v_cmp_ngt_f32_e32 vcc, v7, v6
	s_cbranch_vccz .LBB167_80
; %bb.79:                               ;   in Loop: Header=BB167_70 Depth=1
	v_div_scale_f32 v6, s[2:3], v5, v5, v4
	v_rcp_f32_e32 v7, v6
	v_div_scale_f32 v9, vcc, v4, v5, v4
	v_fma_f32 v10, -v6, v7, 1.0
	v_fmac_f32_e32 v7, v10, v7
	v_mul_f32_e32 v10, v9, v7
	v_fma_f32 v11, -v6, v10, v9
	v_fmac_f32_e32 v10, v11, v7
	v_fma_f32 v6, -v6, v10, v9
	v_div_fmas_f32 v6, v6, v7, v10
	v_div_fixup_f32 v6, v6, v5, v4
	v_fma_f32 v7, v4, v6, v5
	v_div_scale_f32 v9, s[2:3], v7, v7, 1.0
	v_rcp_f32_e32 v10, v9
	v_fma_f32 v11, -v9, v10, 1.0
	v_fmac_f32_e32 v10, v11, v10
	v_div_scale_f32 v11, vcc, 1.0, v7, 1.0
	v_mul_f32_e32 v12, v11, v10
	v_fma_f32 v13, -v9, v12, v11
	v_fmac_f32_e32 v12, v13, v10
	v_fma_f32 v9, -v9, v12, v11
	v_div_fmas_f32 v9, v9, v10, v12
	v_div_fixup_f32 v10, v9, v7, 1.0
	v_pk_fma_f32 v[12:13], v[2:3], v[6:7], v[2:3] op_sel:[0,0,1] op_sel_hi:[1,0,0] neg_lo:[0,0,1] neg_hi:[0,0,1]
	v_pk_fma_f32 v[6:7], v[2:3], v[6:7], v[2:3] op_sel:[0,0,1] op_sel_hi:[1,0,0]
	v_mov_b32_e32 v7, v13
	v_pk_mul_f32 v[6:7], v[6:7], v[10:11] op_sel_hi:[1,0]
	s_cbranch_execnz .LBB167_69
	s_branch .LBB167_81
.LBB167_80:                             ;   in Loop: Header=BB167_70 Depth=1
                                        ; implicit-def: $vgpr6_vgpr7
.LBB167_81:                             ;   in Loop: Header=BB167_70 Depth=1
	v_div_scale_f32 v6, s[2:3], v4, v4, v5
	v_rcp_f32_e32 v7, v6
	v_div_scale_f32 v9, vcc, v5, v4, v5
	v_fma_f32 v10, -v6, v7, 1.0
	v_fmac_f32_e32 v7, v10, v7
	v_mul_f32_e32 v10, v9, v7
	v_fma_f32 v11, -v6, v10, v9
	v_fmac_f32_e32 v10, v11, v7
	v_fma_f32 v6, -v6, v10, v9
	v_div_fmas_f32 v6, v6, v7, v10
	v_div_fixup_f32 v6, v6, v4, v5
	v_fmac_f32_e32 v4, v5, v6
	v_div_scale_f32 v5, s[2:3], v4, v4, 1.0
	v_rcp_f32_e32 v7, v5
	v_fma_f32 v9, -v5, v7, 1.0
	v_fmac_f32_e32 v7, v9, v7
	v_div_scale_f32 v9, vcc, 1.0, v4, 1.0
	v_mul_f32_e32 v10, v9, v7
	v_fma_f32 v11, -v5, v10, v9
	v_fmac_f32_e32 v10, v11, v7
	v_fma_f32 v5, -v5, v10, v9
	v_div_fmas_f32 v5, v5, v7, v10
	v_pk_mul_f32 v[6:7], v[2:3], v[6:7] op_sel_hi:[1,0]
	v_pk_add_f32 v[10:11], v[2:3], v[6:7] op_sel:[0,1] op_sel_hi:[1,0] neg_lo:[0,1] neg_hi:[0,1]
	v_pk_add_f32 v[2:3], v[2:3], v[6:7] op_sel:[0,1] op_sel_hi:[1,0]
	v_div_fixup_f32 v4, v5, v4, 1.0
	v_mov_b32_e32 v3, v11
	v_pk_mul_f32 v[6:7], v[2:3], v[4:5] op_sel_hi:[1,0]
	s_branch .LBB167_69
.LBB167_82:
	s_mov_b64 s[2:3], 0
.LBB167_83:
	s_and_b64 vcc, exec, s[2:3]
	s_cbranch_vccz .LBB167_115
; %bb.84:
	s_andn2_b64 vcc, exec, s[0:1]
	s_mov_b32 s6, s42
	s_cbranch_vccnz .LBB167_106
; %bb.85:
	s_mul_i32 s2, s33, 0xe0
	v_lshl_add_u32 v1, v0, 3, s2
	s_mul_i32 s2, s33, 0xe8
	v_add_u32_e32 v1, 0x16c0, v1
	s_add_i32 s4, s2, 0xfffffe20
	s_mov_b32 s5, s42
.LBB167_86:                             ; =>This Loop Header: Depth=1
                                        ;     Child Loop BB167_87 Depth 2
	s_mul_i32 s8, s5, 28
	s_sub_i32 s6, s8, 56
	v_add_lshl_u32 v12, s6, v0, 3
	v_add_lshl_u32 v6, s8, v0, 3
	s_sub_i32 s7, s8, 28
	v_add_u32_e32 v2, 0x1400, v12
	v_add_lshl_u32 v7, s7, v0, 3
	ds_read_b64 v[10:11], v6 offset:6272
	ds_read_b64 v[8:9], v7 offset:6272
	ds_read2_b64 v[2:5], v2 offset0:116 offset1:144
	s_cmp_le_i32 s42, s5
	s_mov_b32 s2, s4
	v_mov_b32_e32 v13, v1
	s_mov_b32 s3, s42
	s_cbranch_scc1 .LBB167_88
.LBB167_87:                             ;   Parent Loop BB167_86 Depth=1
                                        ; =>  This Inner Loop Header: Depth=2
	ds_read2_b64 v[14:17], v13 offset1:28
	v_mov_b32_e32 v30, s2
	ds_read2_b64 v[18:21], v30 offset0:30 offset1:31
	ds_read2_b64 v[22:25], v30 offset0:28 offset1:29
	;; [unrolled: 1-line block ×3, first 2 shown]
	ds_read2_b64 v[30:33], v30 offset1:1
	s_add_i32 s3, s3, -2
	s_addk_i32 s2, 0xfe40
	s_waitcnt lgkmcnt(3)
	v_mul_f32_e32 v34, v21, v17
	v_mul_f32_e32 v35, v20, v17
	v_mul_f32_e32 v36, v19, v17
	v_mul_f32_e32 v19, v19, v16
	s_waitcnt lgkmcnt(2)
	v_mul_f32_e32 v37, v25, v17
	v_mul_f32_e32 v25, v25, v16
	v_mul_f32_e32 v38, v23, v17
	v_mul_f32_e32 v23, v23, v16
	;; [unrolled: 5-line block ×4, first 2 shown]
	v_fma_f32 v20, v20, v16, -v34
	v_fmac_f32_e32 v35, v21, v16
	v_fma_f32 v21, v18, v16, -v36
	v_fmac_f32_e32 v19, v18, v17
	v_fma_f32 v18, v24, v16, -v37
	v_fmac_f32_e32 v25, v24, v17
	v_fma_f32 v16, v22, v16, -v38
	v_fmac_f32_e32 v23, v22, v17
	v_fma_f32 v17, v28, v14, -v39
	v_fmac_f32_e32 v40, v29, v14
	v_fma_f32 v22, v26, v14, -v41
	v_fmac_f32_e32 v27, v26, v15
	v_fma_f32 v24, v32, v14, -v42
	v_fmac_f32_e32 v33, v32, v15
	v_fma_f32 v14, v30, v14, -v43
	v_fmac_f32_e32 v31, v30, v15
	v_sub_f32_e32 v10, v10, v20
	v_sub_f32_e32 v11, v11, v35
	;; [unrolled: 1-line block ×8, first 2 shown]
	v_add_u32_e32 v13, 0xfffffe40, v13
	s_cmp_le_i32 s3, s5
	v_sub_f32_e32 v10, v10, v17
	v_sub_f32_e32 v11, v11, v40
	;; [unrolled: 1-line block ×8, first 2 shown]
	s_cbranch_scc0 .LBB167_87
.LBB167_88:                             ;   in Loop: Header=BB167_86 Depth=1
	s_mul_i32 s9, s5, 0xe8
	v_add_u32_e32 v17, 0x1880, v6
	v_mov_b32_e32 v6, s9
	v_add_u32_e32 v15, 0x1880, v12
	v_add_u32_e32 v14, 0x17a0, v12
	ds_read_b64 v[12:13], v6
	v_add_u32_e32 v16, 0x1880, v7
	s_waitcnt lgkmcnt(0)
	v_cmp_gt_f32_e32 vcc, 0, v13
	v_cndmask_b32_e64 v6, v13, -v13, vcc
	v_cmp_gt_f32_e32 vcc, 0, v12
	v_cndmask_b32_e64 v7, v12, -v12, vcc
	v_cmp_ngt_f32_e32 vcc, v7, v6
	s_cbranch_vccz .LBB167_90
; %bb.89:                               ;   in Loop: Header=BB167_86 Depth=1
	v_div_scale_f32 v6, s[2:3], v13, v13, v12
	v_rcp_f32_e32 v7, v6
	v_div_scale_f32 v18, vcc, v12, v13, v12
	v_fma_f32 v19, -v6, v7, 1.0
	v_fmac_f32_e32 v7, v19, v7
	v_mul_f32_e32 v19, v18, v7
	v_fma_f32 v20, -v6, v19, v18
	v_fmac_f32_e32 v19, v20, v7
	v_fma_f32 v6, -v6, v19, v18
	v_div_fmas_f32 v6, v6, v7, v19
	v_div_fixup_f32 v7, v6, v13, v12
	v_fma_f32 v6, v12, v7, v13
	v_div_scale_f32 v18, s[2:3], v6, v6, 1.0
	v_rcp_f32_e32 v19, v18
	v_fma_f32 v20, -v18, v19, 1.0
	v_fmac_f32_e32 v19, v20, v19
	v_div_scale_f32 v20, vcc, 1.0, v6, 1.0
	v_mul_f32_e32 v21, v20, v19
	v_fma_f32 v22, -v18, v21, v20
	v_fmac_f32_e32 v21, v22, v19
	v_fma_f32 v18, -v18, v21, v20
	v_div_fmas_f32 v18, v18, v19, v21
	v_div_fixup_f32 v18, v18, v6, 1.0
	v_fma_f32 v6, v10, v7, v11
	v_fma_f32 v7, v11, v7, -v10
	v_mul_f32_e32 v6, v6, v18
	v_mul_f32_e32 v7, v7, v18
	s_cbranch_execz .LBB167_91
	s_branch .LBB167_92
.LBB167_90:                             ;   in Loop: Header=BB167_86 Depth=1
                                        ; implicit-def: $vgpr7
.LBB167_91:                             ;   in Loop: Header=BB167_86 Depth=1
	v_div_scale_f32 v6, s[2:3], v12, v12, v13
	v_rcp_f32_e32 v7, v6
	v_div_scale_f32 v18, vcc, v13, v12, v13
	v_fma_f32 v19, -v6, v7, 1.0
	v_fmac_f32_e32 v7, v19, v7
	v_mul_f32_e32 v19, v18, v7
	v_fma_f32 v20, -v6, v19, v18
	v_fmac_f32_e32 v19, v20, v7
	v_fma_f32 v6, -v6, v19, v18
	v_div_fmas_f32 v6, v6, v7, v19
	v_div_fixup_f32 v7, v6, v12, v13
	v_fmac_f32_e32 v12, v13, v7
	v_div_scale_f32 v6, s[2:3], v12, v12, 1.0
	v_rcp_f32_e32 v13, v6
	v_fma_f32 v18, -v6, v13, 1.0
	v_fmac_f32_e32 v13, v18, v13
	v_div_scale_f32 v18, vcc, 1.0, v12, 1.0
	v_mul_f32_e32 v19, v18, v13
	v_fma_f32 v20, -v6, v19, v18
	v_fmac_f32_e32 v19, v20, v13
	v_fma_f32 v6, -v6, v19, v18
	v_div_fmas_f32 v6, v6, v13, v19
	v_div_fixup_f32 v12, v6, v12, 1.0
	v_fma_f32 v6, v11, v7, v10
	v_fma_f32 v7, -v10, v7, v11
	v_mul_f32_e32 v6, v6, v12
	v_mul_f32_e32 v7, v7, v12
.LBB167_92:                             ;   in Loop: Header=BB167_86 Depth=1
	s_add_i32 s2, s5, s8
	s_lshl_b32 s2, s2, 3
	s_add_i32 s2, s2, -8
	v_mov_b32_e32 v10, s2
	s_addk_i32 s9, 0xff18
	ds_read_b64 v[12:13], v10
	v_mov_b32_e32 v10, s9
	ds_read_b64 v[10:11], v10
	ds_write_b64 v17, v[6:7]
	s_waitcnt lgkmcnt(2)
	v_mul_f32_e32 v17, v7, v13
	v_fma_f32 v17, v6, v12, -v17
	v_mul_f32_e32 v13, v6, v13
	s_waitcnt lgkmcnt(1)
	v_cmp_gt_f32_e32 vcc, 0, v11
	v_fmac_f32_e32 v13, v7, v12
	v_sub_f32_e32 v12, v8, v17
	v_cndmask_b32_e64 v8, v11, -v11, vcc
	v_cmp_gt_f32_e32 vcc, 0, v10
	v_sub_f32_e32 v13, v9, v13
	v_cndmask_b32_e64 v9, v10, -v10, vcc
	v_cmp_ngt_f32_e32 vcc, v9, v8
	s_cbranch_vccz .LBB167_94
; %bb.93:                               ;   in Loop: Header=BB167_86 Depth=1
	v_div_scale_f32 v8, s[2:3], v11, v11, v10
	v_rcp_f32_e32 v9, v8
	v_div_scale_f32 v17, vcc, v10, v11, v10
	v_fma_f32 v18, -v8, v9, 1.0
	v_fmac_f32_e32 v9, v18, v9
	v_mul_f32_e32 v18, v17, v9
	v_fma_f32 v19, -v8, v18, v17
	v_fmac_f32_e32 v18, v19, v9
	v_fma_f32 v8, -v8, v18, v17
	v_div_fmas_f32 v8, v8, v9, v18
	v_div_fixup_f32 v9, v8, v11, v10
	v_fma_f32 v8, v10, v9, v11
	v_div_scale_f32 v17, s[2:3], v8, v8, 1.0
	v_rcp_f32_e32 v18, v17
	v_fma_f32 v19, -v17, v18, 1.0
	v_fmac_f32_e32 v18, v19, v18
	v_div_scale_f32 v19, vcc, 1.0, v8, 1.0
	v_mul_f32_e32 v20, v19, v18
	v_fma_f32 v21, -v17, v20, v19
	v_fmac_f32_e32 v20, v21, v18
	v_fma_f32 v17, -v17, v20, v19
	v_div_fmas_f32 v17, v17, v18, v20
	v_div_fixup_f32 v17, v17, v8, 1.0
	v_fma_f32 v8, v9, v12, v13
	v_fma_f32 v9, v9, v13, -v12
	v_mul_f32_e32 v8, v8, v17
	v_mul_f32_e32 v9, v9, v17
	s_cbranch_execz .LBB167_95
	s_branch .LBB167_96
.LBB167_94:                             ;   in Loop: Header=BB167_86 Depth=1
                                        ; implicit-def: $vgpr9
.LBB167_95:                             ;   in Loop: Header=BB167_86 Depth=1
	v_div_scale_f32 v8, s[2:3], v10, v10, v11
	v_rcp_f32_e32 v9, v8
	v_div_scale_f32 v17, vcc, v11, v10, v11
	v_fma_f32 v18, -v8, v9, 1.0
	v_fmac_f32_e32 v9, v18, v9
	v_mul_f32_e32 v18, v17, v9
	v_fma_f32 v19, -v8, v18, v17
	v_fmac_f32_e32 v18, v19, v9
	v_fma_f32 v8, -v8, v18, v17
	v_div_fmas_f32 v8, v8, v9, v18
	v_div_fixup_f32 v9, v8, v10, v11
	v_fmac_f32_e32 v10, v11, v9
	v_div_scale_f32 v8, s[2:3], v10, v10, 1.0
	v_rcp_f32_e32 v11, v8
	v_fma_f32 v17, -v8, v11, 1.0
	v_fmac_f32_e32 v11, v17, v11
	v_div_scale_f32 v17, vcc, 1.0, v10, 1.0
	v_mul_f32_e32 v18, v17, v11
	v_fma_f32 v19, -v8, v18, v17
	v_fmac_f32_e32 v18, v19, v11
	v_fma_f32 v8, -v8, v18, v17
	v_div_fmas_f32 v8, v8, v11, v18
	v_div_fixup_f32 v10, v8, v10, 1.0
	v_fma_f32 v8, v9, v13, v12
	v_fma_f32 v9, -v9, v12, v13
	v_mul_f32_e32 v8, v8, v10
	v_mul_f32_e32 v9, v9, v10
.LBB167_96:                             ;   in Loop: Header=BB167_86 Depth=1
	s_add_i32 s2, s5, -2
	s_add_i32 s3, s8, s2
	s_lshl_b32 s3, s3, 3
	v_mov_b32_e32 v10, s3
	s_add_i32 s2, s7, s2
	s_lshl_b32 s2, s2, 3
	ds_read_b64 v[12:13], v10
	s_addk_i32 s9, 0xff18
	ds_write_b64 v16, v[8:9]
	v_mov_b32_e32 v11, s2
	v_mov_b32_e32 v10, s9
	ds_read_b64 v[16:17], v11
	ds_read_b64 v[10:11], v10
	s_waitcnt lgkmcnt(3)
	v_mul_f32_e32 v18, v7, v13
	v_mul_f32_e32 v13, v6, v13
	v_fma_f32 v18, v6, v12, -v18
	v_fmac_f32_e32 v13, v7, v12
	s_waitcnt lgkmcnt(1)
	v_mul_f32_e32 v12, v9, v17
	v_sub_f32_e32 v4, v4, v18
	v_sub_f32_e32 v5, v5, v13
	v_fma_f32 v12, v8, v16, -v12
	v_mul_f32_e32 v13, v8, v17
	s_waitcnt lgkmcnt(0)
	v_cmp_gt_f32_e32 vcc, 0, v11
	v_fmac_f32_e32 v13, v9, v16
	v_sub_f32_e32 v4, v4, v12
	v_cndmask_b32_e64 v12, v11, -v11, vcc
	v_cmp_gt_f32_e32 vcc, 0, v10
	v_sub_f32_e32 v5, v5, v13
	v_cndmask_b32_e64 v13, v10, -v10, vcc
	v_cmp_ngt_f32_e32 vcc, v13, v12
	s_cbranch_vccz .LBB167_98
; %bb.97:                               ;   in Loop: Header=BB167_86 Depth=1
	v_div_scale_f32 v12, s[2:3], v11, v11, v10
	v_rcp_f32_e32 v13, v12
	v_div_scale_f32 v16, vcc, v10, v11, v10
	v_fma_f32 v17, -v12, v13, 1.0
	v_fmac_f32_e32 v13, v17, v13
	v_mul_f32_e32 v17, v16, v13
	v_fma_f32 v18, -v12, v17, v16
	v_fmac_f32_e32 v17, v18, v13
	v_fma_f32 v12, -v12, v17, v16
	v_div_fmas_f32 v12, v12, v13, v17
	v_div_fixup_f32 v13, v12, v11, v10
	v_fma_f32 v12, v10, v13, v11
	v_div_scale_f32 v16, s[2:3], v12, v12, 1.0
	v_rcp_f32_e32 v17, v16
	v_fma_f32 v18, -v16, v17, 1.0
	v_fmac_f32_e32 v17, v18, v17
	v_div_scale_f32 v18, vcc, 1.0, v12, 1.0
	v_mul_f32_e32 v19, v18, v17
	v_fma_f32 v20, -v16, v19, v18
	v_fmac_f32_e32 v19, v20, v17
	v_fma_f32 v16, -v16, v19, v18
	v_div_fmas_f32 v16, v16, v17, v19
	v_div_fixup_f32 v16, v16, v12, 1.0
	v_fma_f32 v12, v13, v4, v5
	v_fma_f32 v13, v13, v5, -v4
	v_mul_f32_e32 v12, v12, v16
	v_mul_f32_e32 v13, v13, v16
	s_cbranch_execz .LBB167_99
	s_branch .LBB167_100
.LBB167_98:                             ;   in Loop: Header=BB167_86 Depth=1
                                        ; implicit-def: $vgpr13
.LBB167_99:                             ;   in Loop: Header=BB167_86 Depth=1
	v_div_scale_f32 v12, s[2:3], v10, v10, v11
	v_rcp_f32_e32 v13, v12
	v_div_scale_f32 v16, vcc, v11, v10, v11
	v_fma_f32 v17, -v12, v13, 1.0
	v_fmac_f32_e32 v13, v17, v13
	v_mul_f32_e32 v17, v16, v13
	v_fma_f32 v18, -v12, v17, v16
	v_fmac_f32_e32 v17, v18, v13
	v_fma_f32 v12, -v12, v17, v16
	v_div_fmas_f32 v12, v12, v13, v17
	v_div_fixup_f32 v13, v12, v10, v11
	v_fmac_f32_e32 v10, v11, v13
	v_div_scale_f32 v11, s[2:3], v10, v10, 1.0
	v_rcp_f32_e32 v12, v11
	v_fma_f32 v16, -v11, v12, 1.0
	v_fmac_f32_e32 v12, v16, v12
	v_div_scale_f32 v16, vcc, 1.0, v10, 1.0
	v_mul_f32_e32 v17, v16, v12
	v_fma_f32 v18, -v11, v17, v16
	v_fmac_f32_e32 v17, v18, v12
	v_fma_f32 v11, -v11, v17, v16
	v_div_fmas_f32 v11, v11, v12, v17
	v_div_fixup_f32 v10, v11, v10, 1.0
	v_fma_f32 v11, v13, v5, v4
	v_fma_f32 v4, -v13, v4, v5
	v_mul_f32_e32 v12, v11, v10
	v_mul_f32_e32 v13, v4, v10
.LBB167_100:                            ;   in Loop: Header=BB167_86 Depth=1
	s_add_i32 s2, s5, -3
	s_add_i32 s8, s8, s2
	s_lshl_b32 s3, s8, 3
	v_mov_b32_e32 v4, s3
	ds_read_b64 v[10:11], v4
	s_add_i32 s6, s6, s2
	s_add_i32 s7, s7, s2
	s_lshl_b32 s2, s6, 3
	ds_write_b64 v15, v[12:13]
	s_lshl_b32 s3, s7, 3
	v_mov_b32_e32 v15, s2
	s_add_i32 s2, s9, 0xffffff18
	v_mov_b32_e32 v5, s3
	v_mov_b32_e32 v4, s2
	ds_read_b64 v[16:17], v5
	ds_read_b64 v[18:19], v15
	ds_read_b64 v[4:5], v4
	s_waitcnt lgkmcnt(4)
	v_mul_f32_e32 v15, v7, v11
	v_fma_f32 v15, v6, v10, -v15
	v_mul_f32_e32 v6, v6, v11
	v_fmac_f32_e32 v6, v7, v10
	v_sub_f32_e32 v3, v3, v6
	s_waitcnt lgkmcnt(2)
	v_mul_f32_e32 v6, v9, v17
	v_sub_f32_e32 v2, v2, v15
	v_fma_f32 v6, v8, v16, -v6
	v_mul_f32_e32 v7, v8, v17
	v_fmac_f32_e32 v7, v9, v16
	v_sub_f32_e32 v2, v2, v6
	s_waitcnt lgkmcnt(1)
	v_mul_f32_e32 v6, v13, v19
	v_sub_f32_e32 v3, v3, v7
	v_fma_f32 v6, v12, v18, -v6
	v_mul_f32_e32 v7, v12, v19
	s_waitcnt lgkmcnt(0)
	v_cmp_gt_f32_e32 vcc, 0, v5
	v_fmac_f32_e32 v7, v13, v18
	v_sub_f32_e32 v6, v2, v6
	v_cndmask_b32_e64 v2, v5, -v5, vcc
	v_cmp_gt_f32_e32 vcc, 0, v4
	v_sub_f32_e32 v7, v3, v7
	v_cndmask_b32_e64 v3, v4, -v4, vcc
	v_cmp_ngt_f32_e32 vcc, v3, v2
	s_cbranch_vccz .LBB167_102
; %bb.101:                              ;   in Loop: Header=BB167_86 Depth=1
	v_div_scale_f32 v2, s[2:3], v5, v5, v4
	v_rcp_f32_e32 v3, v2
	v_div_scale_f32 v8, vcc, v4, v5, v4
	v_fma_f32 v9, -v2, v3, 1.0
	v_fmac_f32_e32 v3, v9, v3
	v_mul_f32_e32 v9, v8, v3
	v_fma_f32 v10, -v2, v9, v8
	v_fmac_f32_e32 v9, v10, v3
	v_fma_f32 v2, -v2, v9, v8
	v_div_fmas_f32 v2, v2, v3, v9
	v_div_fixup_f32 v3, v2, v5, v4
	v_fma_f32 v2, v4, v3, v5
	v_div_scale_f32 v8, s[2:3], v2, v2, 1.0
	v_rcp_f32_e32 v9, v8
	v_fma_f32 v10, -v8, v9, 1.0
	v_fmac_f32_e32 v9, v10, v9
	v_div_scale_f32 v10, vcc, 1.0, v2, 1.0
	v_mul_f32_e32 v11, v10, v9
	v_fma_f32 v12, -v8, v11, v10
	v_fmac_f32_e32 v11, v12, v9
	v_fma_f32 v8, -v8, v11, v10
	v_div_fmas_f32 v8, v8, v9, v11
	v_div_fixup_f32 v8, v8, v2, 1.0
	v_fma_f32 v2, v3, v6, v7
	v_fma_f32 v3, v3, v7, -v6
	v_mul_f32_e32 v2, v2, v8
	v_mul_f32_e32 v3, v3, v8
	s_cbranch_execz .LBB167_103
	s_branch .LBB167_104
.LBB167_102:                            ;   in Loop: Header=BB167_86 Depth=1
                                        ; implicit-def: $vgpr3
.LBB167_103:                            ;   in Loop: Header=BB167_86 Depth=1
	v_div_scale_f32 v2, s[2:3], v4, v4, v5
	v_rcp_f32_e32 v3, v2
	v_div_scale_f32 v8, vcc, v5, v4, v5
	v_fma_f32 v9, -v2, v3, 1.0
	v_fmac_f32_e32 v3, v9, v3
	v_mul_f32_e32 v9, v8, v3
	v_fma_f32 v10, -v2, v9, v8
	v_fmac_f32_e32 v9, v10, v3
	v_fma_f32 v2, -v2, v9, v8
	v_div_fmas_f32 v2, v2, v3, v9
	v_div_fixup_f32 v3, v2, v4, v5
	v_fmac_f32_e32 v4, v5, v3
	v_div_scale_f32 v2, s[2:3], v4, v4, 1.0
	v_rcp_f32_e32 v5, v2
	v_fma_f32 v8, -v2, v5, 1.0
	v_fmac_f32_e32 v5, v8, v5
	v_div_scale_f32 v8, vcc, 1.0, v4, 1.0
	v_mul_f32_e32 v9, v8, v5
	v_fma_f32 v10, -v2, v9, v8
	v_fmac_f32_e32 v9, v10, v5
	v_fma_f32 v2, -v2, v9, v8
	v_div_fmas_f32 v2, v2, v5, v9
	v_div_fixup_f32 v4, v2, v4, 1.0
	v_fma_f32 v2, v3, v7, v6
	v_fma_f32 v3, -v3, v6, v7
	v_mul_f32_e32 v2, v2, v4
	v_mul_f32_e32 v3, v3, v4
.LBB167_104:                            ;   in Loop: Header=BB167_86 Depth=1
	s_add_i32 s6, s5, -4
	s_sub_i32 s4, s4, 32
	s_cmp_lt_i32 s5, 7
	ds_write_b64 v14, v[2:3]
	s_cbranch_scc1 .LBB167_106
; %bb.105:                              ;   in Loop: Header=BB167_86 Depth=1
	s_mov_b32 s5, s6
	s_branch .LBB167_86
.LBB167_106:
	s_cmp_lt_i32 s6, 0
	s_cbranch_scc1 .LBB167_115
; %bb.107:
	s_mul_i32 s2, s33, 0xe0
	s_lshl_b32 s3, s6, 3
	s_add_i32 s3, s2, s3
	v_lshl_add_u32 v1, v0, 3, s2
	s_add_i32 s4, s3, 0xffffff20
	v_add_u32_e32 v1, 0x17a0, v1
	s_branch .LBB167_109
.LBB167_108:                            ;   in Loop: Header=BB167_109 Depth=1
	s_add_i32 s2, s6, -1
	s_add_i32 s4, s4, -8
	s_cmp_lt_i32 s6, 1
	s_mov_b32 s6, s2
	ds_write_b64 v8, v[6:7]
	s_cbranch_scc1 .LBB167_115
.LBB167_109:                            ; =>This Loop Header: Depth=1
                                        ;     Child Loop BB167_110 Depth 2
	s_mul_i32 s2, s6, 28
	v_add_lshl_u32 v4, s2, v0, 3
	ds_read_b64 v[2:3], v4 offset:6272
	s_cmp_le_i32 s42, s6
	v_mov_b32_e32 v5, v1
	s_mov_b32 s2, s4
	s_mov_b32 s3, s42
	s_cbranch_scc1 .LBB167_111
.LBB167_110:                            ;   Parent Loop BB167_109 Depth=1
                                        ; =>  This Inner Loop Header: Depth=2
	v_mov_b32_e32 v8, s2
	ds_read_b64 v[6:7], v5
	ds_read_b64 v[8:9], v8
	s_add_i32 s3, s3, -1
	s_addk_i32 s2, 0xff20
	v_add_u32_e32 v5, 0xffffff20, v5
	s_cmp_le_i32 s3, s6
	s_waitcnt lgkmcnt(0)
	v_pk_mul_f32 v[10:11], v[8:9], v[6:7] op_sel:[0,1]
	v_pk_fma_f32 v[12:13], v[8:9], v[6:7], v[10:11] op_sel:[0,0,1] op_sel_hi:[1,0,0]
	v_pk_fma_f32 v[6:7], v[8:9], v[6:7], v[10:11] op_sel:[0,0,1] op_sel_hi:[1,0,0] neg_lo:[0,0,1] neg_hi:[0,0,1]
	v_mov_b32_e32 v7, v13
	v_pk_add_f32 v[2:3], v[2:3], v[6:7] neg_lo:[0,1] neg_hi:[0,1]
	s_cbranch_scc0 .LBB167_110
.LBB167_111:                            ;   in Loop: Header=BB167_109 Depth=1
	s_mul_i32 s2, s6, 0xe8
	v_add_u32_e32 v8, 0x1880, v4
	v_mov_b32_e32 v4, s2
	ds_read_b64 v[4:5], v4
	s_waitcnt lgkmcnt(0)
	v_cmp_gt_f32_e32 vcc, 0, v5
	v_cndmask_b32_e64 v6, v5, -v5, vcc
	v_cmp_gt_f32_e32 vcc, 0, v4
	v_cndmask_b32_e64 v7, v4, -v4, vcc
	v_cmp_ngt_f32_e32 vcc, v7, v6
	s_cbranch_vccz .LBB167_113
; %bb.112:                              ;   in Loop: Header=BB167_109 Depth=1
	v_div_scale_f32 v6, s[2:3], v5, v5, v4
	v_rcp_f32_e32 v7, v6
	v_div_scale_f32 v9, vcc, v4, v5, v4
	v_fma_f32 v10, -v6, v7, 1.0
	v_fmac_f32_e32 v7, v10, v7
	v_mul_f32_e32 v10, v9, v7
	v_fma_f32 v11, -v6, v10, v9
	v_fmac_f32_e32 v10, v11, v7
	v_fma_f32 v6, -v6, v10, v9
	v_div_fmas_f32 v6, v6, v7, v10
	v_div_fixup_f32 v6, v6, v5, v4
	v_fma_f32 v7, v4, v6, v5
	v_div_scale_f32 v9, s[2:3], v7, v7, 1.0
	v_rcp_f32_e32 v10, v9
	v_fma_f32 v11, -v9, v10, 1.0
	v_fmac_f32_e32 v10, v11, v10
	v_div_scale_f32 v11, vcc, 1.0, v7, 1.0
	v_mul_f32_e32 v12, v11, v10
	v_fma_f32 v13, -v9, v12, v11
	v_fmac_f32_e32 v12, v13, v10
	v_fma_f32 v9, -v9, v12, v11
	v_div_fmas_f32 v9, v9, v10, v12
	v_div_fixup_f32 v10, v9, v7, 1.0
	v_pk_fma_f32 v[12:13], v[2:3], v[6:7], v[2:3] op_sel:[0,0,1] op_sel_hi:[1,0,0] neg_lo:[0,0,1] neg_hi:[0,0,1]
	v_pk_fma_f32 v[6:7], v[2:3], v[6:7], v[2:3] op_sel:[0,0,1] op_sel_hi:[1,0,0]
	v_mov_b32_e32 v7, v13
	v_pk_mul_f32 v[6:7], v[6:7], v[10:11] op_sel_hi:[1,0]
	s_cbranch_execnz .LBB167_108
	s_branch .LBB167_114
.LBB167_113:                            ;   in Loop: Header=BB167_109 Depth=1
                                        ; implicit-def: $vgpr6_vgpr7
.LBB167_114:                            ;   in Loop: Header=BB167_109 Depth=1
	v_div_scale_f32 v6, s[2:3], v4, v4, v5
	v_rcp_f32_e32 v7, v6
	v_div_scale_f32 v9, vcc, v5, v4, v5
	v_fma_f32 v10, -v6, v7, 1.0
	v_fmac_f32_e32 v7, v10, v7
	v_mul_f32_e32 v10, v9, v7
	v_fma_f32 v11, -v6, v10, v9
	v_fmac_f32_e32 v10, v11, v7
	v_fma_f32 v6, -v6, v10, v9
	v_div_fmas_f32 v6, v6, v7, v10
	v_div_fixup_f32 v6, v6, v4, v5
	v_fmac_f32_e32 v4, v5, v6
	v_div_scale_f32 v5, s[2:3], v4, v4, 1.0
	v_rcp_f32_e32 v7, v5
	v_fma_f32 v9, -v5, v7, 1.0
	v_fmac_f32_e32 v7, v9, v7
	v_div_scale_f32 v9, vcc, 1.0, v4, 1.0
	v_mul_f32_e32 v10, v9, v7
	v_fma_f32 v11, -v5, v10, v9
	v_fmac_f32_e32 v10, v11, v7
	v_fma_f32 v5, -v5, v10, v9
	v_div_fmas_f32 v5, v5, v7, v10
	v_pk_mul_f32 v[6:7], v[2:3], v[6:7] op_sel_hi:[1,0]
	v_pk_add_f32 v[10:11], v[2:3], v[6:7] op_sel:[0,1] op_sel_hi:[1,0] neg_lo:[0,1] neg_hi:[0,1]
	v_pk_add_f32 v[2:3], v[2:3], v[6:7] op_sel:[0,1] op_sel_hi:[1,0]
	v_div_fixup_f32 v4, v5, v4, 1.0
	v_mov_b32_e32 v3, v11
	v_pk_mul_f32 v[6:7], v[2:3], v[4:5] op_sel_hi:[1,0]
	s_branch .LBB167_108
.LBB167_115:
	s_mov_b64 s[4:5], 0
.LBB167_116:
	s_andn2_b64 vcc, exec, s[4:5]
	s_cbranch_vccnz .LBB167_148
; %bb.117:
	s_andn2_b64 vcc, exec, s[0:1]
	s_mul_i32 s2, s33, 0xe0
	s_mov_b32 s5, s42
	s_cbranch_vccnz .LBB167_139
; %bb.118:
	v_lshl_add_u32 v1, v0, 3, s2
	s_mul_i32 s0, s33, 0xe8
	v_add_u32_e32 v1, 0x16c0, v1
	s_add_i32 s3, s0, 0xfffffc70
	s_mov_b32 s4, s42
.LBB167_119:                            ; =>This Loop Header: Depth=1
                                        ;     Child Loop BB167_120 Depth 2
	s_mul_i32 s5, s4, 28
	v_add_lshl_u32 v4, s5, v0, 3
	s_sub_i32 s0, s5, 28
	s_sub_i32 s6, s5, 56
	s_addk_i32 s5, 0xffac
	v_add_lshl_u32 v5, s0, v0, 3
	v_add_lshl_u32 v10, s6, v0, 3
	;; [unrolled: 1-line block ×3, first 2 shown]
	ds_read_b64 v[2:3], v4 offset:6272
	ds_read_b64 v[12:13], v5 offset:6272
	;; [unrolled: 1-line block ×4, first 2 shown]
	s_cmp_le_i32 s42, s4
	s_mov_b32 s0, s3
	v_mov_b32_e32 v14, v1
	s_mov_b32 s1, s42
	s_cbranch_scc1 .LBB167_121
.LBB167_120:                            ;   Parent Loop BB167_119 Depth=1
                                        ; =>  This Inner Loop Header: Depth=2
	v_mov_b32_e32 v15, s0
	ds_read2_b64 v[16:19], v14 offset1:28
	ds_read2_b64 v[20:23], v15 offset0:84 offset1:85
	ds_read2_b64 v[24:27], v15 offset0:56 offset1:57
	;; [unrolled: 1-line block ×3, first 2 shown]
	ds_read2_b64 v[32:35], v15 offset1:1
	s_add_i32 s1, s1, -2
	s_add_i32 s0, s0, -16
	v_add_u32_e32 v14, 0xfffffe40, v14
	s_waitcnt lgkmcnt(3)
	v_mul_f32_e32 v15, v23, v19
	v_mul_f32_e32 v36, v22, v19
	s_waitcnt lgkmcnt(2)
	v_mul_f32_e32 v37, v27, v19
	v_mul_f32_e32 v27, v27, v18
	;; [unrolled: 3-line block ×4, first 2 shown]
	v_mul_f32_e32 v40, v21, v17
	v_mul_f32_e32 v41, v20, v17
	;; [unrolled: 1-line block ×8, first 2 shown]
	v_fma_f32 v15, v22, v18, -v15
	v_fmac_f32_e32 v36, v23, v18
	v_fma_f32 v22, v26, v18, -v37
	v_fmac_f32_e32 v27, v26, v19
	;; [unrolled: 2-line block ×8, first 2 shown]
	v_sub_f32_e32 v2, v2, v15
	v_sub_f32_e32 v3, v3, v36
	;; [unrolled: 1-line block ×8, first 2 shown]
	s_cmp_le_i32 s1, s4
	v_sub_f32_e32 v2, v2, v19
	v_sub_f32_e32 v3, v3, v41
	;; [unrolled: 1-line block ×8, first 2 shown]
	s_cbranch_scc0 .LBB167_120
.LBB167_121:                            ;   in Loop: Header=BB167_119 Depth=1
	s_mul_i32 s7, s4, 0xe8
	v_add_u32_e32 v17, 0x1880, v4
	v_mov_b32_e32 v4, s7
	v_add_u32_e32 v16, 0x1880, v5
	ds_read_b64 v[4:5], v4
	v_add_u32_e32 v15, 0x1880, v10
	v_add_u32_e32 v14, 0x1880, v11
	s_waitcnt lgkmcnt(0)
	v_cmp_gt_f32_e32 vcc, 0, v5
	v_cndmask_b32_e64 v10, v5, -v5, vcc
	v_cmp_gt_f32_e32 vcc, 0, v4
	v_cndmask_b32_e64 v11, v4, -v4, vcc
	v_cmp_ngt_f32_e32 vcc, v11, v10
	s_cbranch_vccz .LBB167_123
; %bb.122:                              ;   in Loop: Header=BB167_119 Depth=1
	v_div_scale_f32 v10, s[0:1], v5, v5, v4
	v_rcp_f32_e32 v11, v10
	v_div_scale_f32 v18, vcc, v4, v5, v4
	v_fma_f32 v19, -v10, v11, 1.0
	v_fmac_f32_e32 v11, v19, v11
	v_mul_f32_e32 v19, v18, v11
	v_fma_f32 v20, -v10, v19, v18
	v_fmac_f32_e32 v19, v20, v11
	v_fma_f32 v10, -v10, v19, v18
	v_div_fmas_f32 v10, v10, v11, v19
	v_div_fixup_f32 v11, v10, v5, v4
	v_fma_f32 v10, v4, v11, v5
	v_div_scale_f32 v18, s[0:1], v10, v10, 1.0
	v_rcp_f32_e32 v19, v18
	v_fma_f32 v20, -v18, v19, 1.0
	v_fmac_f32_e32 v19, v20, v19
	v_div_scale_f32 v20, vcc, 1.0, v10, 1.0
	v_mul_f32_e32 v21, v20, v19
	v_fma_f32 v22, -v18, v21, v20
	v_fmac_f32_e32 v21, v22, v19
	v_fma_f32 v18, -v18, v21, v20
	v_div_fmas_f32 v18, v18, v19, v21
	v_div_fixup_f32 v18, v18, v10, 1.0
	v_fma_f32 v10, v2, v11, v3
	v_fma_f32 v11, v3, v11, -v2
	v_mul_f32_e32 v10, v10, v18
	v_mul_f32_e32 v11, v11, v18
	s_cbranch_execz .LBB167_124
	s_branch .LBB167_125
.LBB167_123:                            ;   in Loop: Header=BB167_119 Depth=1
                                        ; implicit-def: $vgpr11
.LBB167_124:                            ;   in Loop: Header=BB167_119 Depth=1
	v_div_scale_f32 v10, s[0:1], v4, v4, v5
	v_rcp_f32_e32 v11, v10
	v_div_scale_f32 v18, vcc, v5, v4, v5
	v_fma_f32 v19, -v10, v11, 1.0
	v_fmac_f32_e32 v11, v19, v11
	v_mul_f32_e32 v19, v18, v11
	v_fma_f32 v20, -v10, v19, v18
	v_fmac_f32_e32 v19, v20, v11
	v_fma_f32 v10, -v10, v19, v18
	v_div_fmas_f32 v10, v10, v11, v19
	v_div_fixup_f32 v11, v10, v4, v5
	v_fmac_f32_e32 v4, v5, v11
	v_div_scale_f32 v5, s[0:1], v4, v4, 1.0
	v_rcp_f32_e32 v10, v5
	v_fma_f32 v18, -v5, v10, 1.0
	v_fmac_f32_e32 v10, v18, v10
	v_div_scale_f32 v18, vcc, 1.0, v4, 1.0
	v_mul_f32_e32 v19, v18, v10
	v_fma_f32 v20, -v5, v19, v18
	v_fmac_f32_e32 v19, v20, v10
	v_fma_f32 v5, -v5, v19, v18
	v_div_fmas_f32 v5, v5, v10, v19
	v_div_fixup_f32 v4, v5, v4, 1.0
	v_fma_f32 v5, v3, v11, v2
	v_fma_f32 v2, -v2, v11, v3
	v_mul_f32_e32 v10, v5, v4
	v_mul_f32_e32 v11, v2, v4
.LBB167_125:                            ;   in Loop: Header=BB167_119 Depth=1
	s_addk_i32 s7, 0xff18
	v_mov_b32_e32 v2, s7
	ds_read2_b64 v[2:5], v2 offset1:1
	ds_write_b64 v17, v[10:11]
	s_waitcnt lgkmcnt(1)
	v_mul_f32_e32 v17, v11, v5
	v_mul_f32_e32 v5, v10, v5
	v_fma_f32 v17, v10, v4, -v17
	v_cmp_gt_f32_e32 vcc, 0, v3
	v_fmac_f32_e32 v5, v11, v4
	v_sub_f32_e32 v4, v12, v17
	v_cndmask_b32_e64 v12, v3, -v3, vcc
	v_cmp_gt_f32_e32 vcc, 0, v2
	v_sub_f32_e32 v5, v13, v5
	v_cndmask_b32_e64 v13, v2, -v2, vcc
	v_cmp_ngt_f32_e32 vcc, v13, v12
	s_cbranch_vccz .LBB167_127
; %bb.126:                              ;   in Loop: Header=BB167_119 Depth=1
	v_div_scale_f32 v12, s[0:1], v3, v3, v2
	v_rcp_f32_e32 v13, v12
	v_div_scale_f32 v17, vcc, v2, v3, v2
	v_fma_f32 v18, -v12, v13, 1.0
	v_fmac_f32_e32 v13, v18, v13
	v_mul_f32_e32 v18, v17, v13
	v_fma_f32 v19, -v12, v18, v17
	v_fmac_f32_e32 v18, v19, v13
	v_fma_f32 v12, -v12, v18, v17
	v_div_fmas_f32 v12, v12, v13, v18
	v_div_fixup_f32 v13, v12, v3, v2
	v_fma_f32 v12, v2, v13, v3
	v_div_scale_f32 v17, s[0:1], v12, v12, 1.0
	v_rcp_f32_e32 v18, v17
	v_fma_f32 v19, -v17, v18, 1.0
	v_fmac_f32_e32 v18, v19, v18
	v_div_scale_f32 v19, vcc, 1.0, v12, 1.0
	v_mul_f32_e32 v20, v19, v18
	v_fma_f32 v21, -v17, v20, v19
	v_fmac_f32_e32 v20, v21, v18
	v_fma_f32 v17, -v17, v20, v19
	v_div_fmas_f32 v17, v17, v18, v20
	v_div_fixup_f32 v17, v17, v12, 1.0
	v_fma_f32 v12, v13, v4, v5
	v_fma_f32 v13, v13, v5, -v4
	v_mul_f32_e32 v12, v12, v17
	v_mul_f32_e32 v13, v13, v17
	s_cbranch_execz .LBB167_128
	s_branch .LBB167_129
.LBB167_127:                            ;   in Loop: Header=BB167_119 Depth=1
                                        ; implicit-def: $vgpr13
.LBB167_128:                            ;   in Loop: Header=BB167_119 Depth=1
	v_div_scale_f32 v12, s[0:1], v2, v2, v3
	v_rcp_f32_e32 v13, v12
	v_div_scale_f32 v17, vcc, v3, v2, v3
	v_fma_f32 v18, -v12, v13, 1.0
	v_fmac_f32_e32 v13, v18, v13
	v_mul_f32_e32 v18, v17, v13
	v_fma_f32 v19, -v12, v18, v17
	v_fmac_f32_e32 v18, v19, v13
	v_fma_f32 v12, -v12, v18, v17
	v_div_fmas_f32 v12, v12, v13, v18
	v_div_fixup_f32 v13, v12, v2, v3
	v_fmac_f32_e32 v2, v3, v13
	v_div_scale_f32 v3, s[0:1], v2, v2, 1.0
	v_rcp_f32_e32 v12, v3
	v_fma_f32 v17, -v3, v12, 1.0
	v_fmac_f32_e32 v12, v17, v12
	v_div_scale_f32 v17, vcc, 1.0, v2, 1.0
	v_mul_f32_e32 v18, v17, v12
	v_fma_f32 v19, -v3, v18, v17
	v_fmac_f32_e32 v18, v19, v12
	v_fma_f32 v3, -v3, v18, v17
	v_div_fmas_f32 v3, v3, v12, v18
	v_div_fixup_f32 v2, v3, v2, 1.0
	v_fma_f32 v3, v13, v5, v4
	v_mul_f32_e32 v12, v3, v2
	v_fma_f32 v3, -v13, v4, v5
	v_mul_f32_e32 v13, v3, v2
.LBB167_129:                            ;   in Loop: Header=BB167_119 Depth=1
	s_add_i32 s6, s6, s4
	s_lshl_b32 s0, s6, 3
	v_mov_b32_e32 v2, s0
	ds_read_b64 v[18:19], v2
	s_add_i32 s6, s7, 0xffffff18
	v_mov_b32_e32 v2, s6
	ds_read2_b64 v[2:5], v2 offset1:1
	ds_write_b64 v16, v[12:13]
	s_waitcnt lgkmcnt(2)
	v_mul_f32_e32 v16, v11, v19
	v_fma_f32 v16, v10, v18, -v16
	v_mul_f32_e32 v17, v10, v19
	v_sub_f32_e32 v8, v8, v16
	s_waitcnt lgkmcnt(1)
	v_mul_f32_e32 v16, v13, v5
	v_fmac_f32_e32 v17, v11, v18
	v_fma_f32 v16, v12, v4, -v16
	v_mul_f32_e32 v5, v12, v5
	v_cmp_gt_f32_e32 vcc, 0, v3
	v_sub_f32_e32 v9, v9, v17
	v_fmac_f32_e32 v5, v13, v4
	v_sub_f32_e32 v4, v8, v16
	v_cndmask_b32_e64 v8, v3, -v3, vcc
	v_cmp_gt_f32_e32 vcc, 0, v2
	v_sub_f32_e32 v5, v9, v5
	v_cndmask_b32_e64 v9, v2, -v2, vcc
	v_cmp_ngt_f32_e32 vcc, v9, v8
	s_cbranch_vccz .LBB167_131
; %bb.130:                              ;   in Loop: Header=BB167_119 Depth=1
	v_div_scale_f32 v8, s[0:1], v3, v3, v2
	v_rcp_f32_e32 v9, v8
	v_div_scale_f32 v16, vcc, v2, v3, v2
	v_fma_f32 v17, -v8, v9, 1.0
	v_fmac_f32_e32 v9, v17, v9
	v_mul_f32_e32 v17, v16, v9
	v_fma_f32 v18, -v8, v17, v16
	v_fmac_f32_e32 v17, v18, v9
	v_fma_f32 v8, -v8, v17, v16
	v_div_fmas_f32 v8, v8, v9, v17
	v_div_fixup_f32 v9, v8, v3, v2
	v_fma_f32 v8, v2, v9, v3
	v_div_scale_f32 v16, s[0:1], v8, v8, 1.0
	v_rcp_f32_e32 v17, v16
	v_fma_f32 v18, -v16, v17, 1.0
	v_fmac_f32_e32 v17, v18, v17
	v_div_scale_f32 v18, vcc, 1.0, v8, 1.0
	v_mul_f32_e32 v19, v18, v17
	v_fma_f32 v20, -v16, v19, v18
	v_fmac_f32_e32 v19, v20, v17
	v_fma_f32 v16, -v16, v19, v18
	v_div_fmas_f32 v16, v16, v17, v19
	v_div_fixup_f32 v16, v16, v8, 1.0
	v_fma_f32 v8, v9, v4, v5
	v_fma_f32 v9, v9, v5, -v4
	v_mul_f32_e32 v8, v8, v16
	v_mul_f32_e32 v9, v9, v16
	s_cbranch_execz .LBB167_132
	s_branch .LBB167_133
.LBB167_131:                            ;   in Loop: Header=BB167_119 Depth=1
                                        ; implicit-def: $vgpr9
.LBB167_132:                            ;   in Loop: Header=BB167_119 Depth=1
	v_div_scale_f32 v8, s[0:1], v2, v2, v3
	v_rcp_f32_e32 v9, v8
	v_div_scale_f32 v16, vcc, v3, v2, v3
	v_fma_f32 v17, -v8, v9, 1.0
	v_fmac_f32_e32 v9, v17, v9
	v_mul_f32_e32 v17, v16, v9
	v_fma_f32 v18, -v8, v17, v16
	v_fmac_f32_e32 v17, v18, v9
	v_fma_f32 v8, -v8, v17, v16
	v_div_fmas_f32 v8, v8, v9, v17
	v_div_fixup_f32 v9, v8, v2, v3
	v_fmac_f32_e32 v2, v3, v9
	v_div_scale_f32 v3, s[0:1], v2, v2, 1.0
	v_rcp_f32_e32 v8, v3
	v_fma_f32 v16, -v3, v8, 1.0
	v_fmac_f32_e32 v8, v16, v8
	v_div_scale_f32 v16, vcc, 1.0, v2, 1.0
	v_mul_f32_e32 v17, v16, v8
	v_fma_f32 v18, -v3, v17, v16
	v_fmac_f32_e32 v17, v18, v8
	v_fma_f32 v3, -v3, v17, v16
	v_div_fmas_f32 v3, v3, v8, v17
	v_div_fixup_f32 v2, v3, v2, 1.0
	v_fma_f32 v3, v9, v5, v4
	v_mul_f32_e32 v8, v3, v2
	v_fma_f32 v3, -v9, v4, v5
	v_mul_f32_e32 v9, v3, v2
.LBB167_133:                            ;   in Loop: Header=BB167_119 Depth=1
	s_add_i32 s0, s4, s5
	s_lshl_b32 s0, s0, 3
	s_add_i32 s0, s0, -8
	v_mov_b32_e32 v2, s0
	ds_read2_b64 v[16:19], v2 offset1:1
	s_add_i32 s0, s6, 0xffffff18
	v_mov_b32_e32 v2, s0
	ds_write_b64 v15, v[8:9]
	ds_read2_b64 v[2:5], v2 offset1:1
	s_waitcnt lgkmcnt(2)
	v_mul_f32_e32 v15, v11, v19
	v_fma_f32 v15, v10, v18, -v15
	v_mul_f32_e32 v10, v10, v19
	v_fmac_f32_e32 v10, v11, v18
	v_sub_f32_e32 v7, v7, v10
	v_mul_f32_e32 v10, v13, v17
	v_sub_f32_e32 v6, v6, v15
	v_fma_f32 v10, v12, v16, -v10
	v_mul_f32_e32 v11, v12, v17
	v_fmac_f32_e32 v11, v13, v16
	v_sub_f32_e32 v6, v6, v10
	s_waitcnt lgkmcnt(0)
	v_mul_f32_e32 v10, v9, v5
	v_mul_f32_e32 v5, v8, v5
	v_cmp_gt_f32_e32 vcc, 0, v3
	v_sub_f32_e32 v7, v7, v11
	v_fma_f32 v10, v8, v4, -v10
	v_fmac_f32_e32 v5, v9, v4
	v_cndmask_b32_e64 v4, v3, -v3, vcc
	v_cmp_gt_f32_e32 vcc, 0, v2
	v_sub_f32_e32 v7, v7, v5
	v_cndmask_b32_e64 v5, v2, -v2, vcc
	v_cmp_ngt_f32_e32 vcc, v5, v4
	v_sub_f32_e32 v6, v6, v10
	s_cbranch_vccz .LBB167_135
; %bb.134:                              ;   in Loop: Header=BB167_119 Depth=1
	v_div_scale_f32 v4, s[0:1], v3, v3, v2
	v_rcp_f32_e32 v5, v4
	v_div_scale_f32 v8, vcc, v2, v3, v2
	v_fma_f32 v9, -v4, v5, 1.0
	v_fmac_f32_e32 v5, v9, v5
	v_mul_f32_e32 v9, v8, v5
	v_fma_f32 v10, -v4, v9, v8
	v_fmac_f32_e32 v9, v10, v5
	v_fma_f32 v4, -v4, v9, v8
	v_div_fmas_f32 v4, v4, v5, v9
	v_div_fixup_f32 v5, v4, v3, v2
	v_fma_f32 v4, v2, v5, v3
	v_div_scale_f32 v8, s[0:1], v4, v4, 1.0
	v_rcp_f32_e32 v9, v8
	v_fma_f32 v10, -v8, v9, 1.0
	v_fmac_f32_e32 v9, v10, v9
	v_div_scale_f32 v10, vcc, 1.0, v4, 1.0
	v_mul_f32_e32 v11, v10, v9
	v_fma_f32 v12, -v8, v11, v10
	v_fmac_f32_e32 v11, v12, v9
	v_fma_f32 v8, -v8, v11, v10
	v_div_fmas_f32 v8, v8, v9, v11
	v_div_fixup_f32 v8, v8, v4, 1.0
	v_fma_f32 v4, v5, v6, v7
	v_fma_f32 v5, v5, v7, -v6
	v_mul_f32_e32 v4, v4, v8
	v_mul_f32_e32 v5, v5, v8
	s_cbranch_execz .LBB167_136
	s_branch .LBB167_137
.LBB167_135:                            ;   in Loop: Header=BB167_119 Depth=1
                                        ; implicit-def: $vgpr5
.LBB167_136:                            ;   in Loop: Header=BB167_119 Depth=1
	v_div_scale_f32 v4, s[0:1], v2, v2, v3
	v_rcp_f32_e32 v5, v4
	v_div_scale_f32 v8, vcc, v3, v2, v3
	v_fma_f32 v9, -v4, v5, 1.0
	v_fmac_f32_e32 v5, v9, v5
	v_mul_f32_e32 v9, v8, v5
	v_fma_f32 v10, -v4, v9, v8
	v_fmac_f32_e32 v9, v10, v5
	v_fma_f32 v4, -v4, v9, v8
	v_div_fmas_f32 v4, v4, v5, v9
	v_div_fixup_f32 v5, v4, v2, v3
	v_fmac_f32_e32 v2, v3, v5
	v_div_scale_f32 v3, s[0:1], v2, v2, 1.0
	v_rcp_f32_e32 v4, v3
	v_fma_f32 v8, -v3, v4, 1.0
	v_fmac_f32_e32 v4, v8, v4
	v_div_scale_f32 v8, vcc, 1.0, v2, 1.0
	v_mul_f32_e32 v9, v8, v4
	v_fma_f32 v10, -v3, v9, v8
	v_fmac_f32_e32 v9, v10, v4
	v_fma_f32 v3, -v3, v9, v8
	v_div_fmas_f32 v3, v3, v4, v9
	v_div_fixup_f32 v2, v3, v2, 1.0
	v_fma_f32 v3, v5, v7, v6
	v_mul_f32_e32 v4, v3, v2
	v_fma_f32 v3, -v5, v6, v7
	v_mul_f32_e32 v5, v3, v2
.LBB167_137:                            ;   in Loop: Header=BB167_119 Depth=1
	s_add_i32 s5, s4, -4
	s_addk_i32 s3, 0xfc80
	s_cmp_lt_i32 s4, 7
	ds_write_b64 v14, v[4:5]
	s_cbranch_scc1 .LBB167_139
; %bb.138:                              ;   in Loop: Header=BB167_119 Depth=1
	s_mov_b32 s4, s5
	s_branch .LBB167_119
.LBB167_139:
	s_cmp_lt_i32 s5, 0
	s_cbranch_scc1 .LBB167_148
; %bb.140:
	s_mul_i32 s0, s5, 0xe0
	s_lshl_b32 s1, s33, 3
	s_add_i32 s0, s0, s1
	v_lshl_add_u32 v1, v0, 3, s2
	s_add_i32 s3, s0, -8
	v_add_u32_e32 v1, 0x17a0, v1
	s_branch .LBB167_142
.LBB167_141:                            ;   in Loop: Header=BB167_142 Depth=1
	s_add_i32 s0, s5, -1
	s_addk_i32 s3, 0xff20
	s_cmp_lt_i32 s5, 1
	s_mov_b32 s5, s0
	ds_write_b64 v8, v[6:7]
	s_cbranch_scc1 .LBB167_148
.LBB167_142:                            ; =>This Loop Header: Depth=1
                                        ;     Child Loop BB167_143 Depth 2
	s_mul_i32 s0, s5, 28
	v_add_lshl_u32 v4, s0, v0, 3
	ds_read_b64 v[2:3], v4 offset:6272
	s_cmp_le_i32 s42, s5
	v_mov_b32_e32 v5, v1
	s_mov_b32 s0, s3
	s_mov_b32 s1, s42
	s_cbranch_scc1 .LBB167_144
.LBB167_143:                            ;   Parent Loop BB167_142 Depth=1
                                        ; =>  This Inner Loop Header: Depth=2
	v_mov_b32_e32 v8, s0
	ds_read_b64 v[6:7], v5
	ds_read_b64 v[8:9], v8
	s_add_i32 s1, s1, -1
	s_add_i32 s0, s0, -8
	v_add_u32_e32 v5, 0xffffff20, v5
	s_cmp_le_i32 s1, s5
	s_waitcnt lgkmcnt(0)
	v_pk_mul_f32 v[10:11], v[8:9], v[6:7] op_sel:[0,1]
	v_pk_fma_f32 v[12:13], v[8:9], v[6:7], v[10:11] op_sel:[0,0,1] op_sel_hi:[1,0,0]
	v_pk_fma_f32 v[6:7], v[8:9], v[6:7], v[10:11] op_sel:[0,0,1] op_sel_hi:[1,0,0] neg_lo:[0,0,1] neg_hi:[0,0,1]
	v_mov_b32_e32 v7, v13
	v_pk_add_f32 v[2:3], v[2:3], v[6:7] neg_lo:[0,1] neg_hi:[0,1]
	s_cbranch_scc0 .LBB167_143
.LBB167_144:                            ;   in Loop: Header=BB167_142 Depth=1
	s_mul_i32 s0, s5, 0xe8
	v_add_u32_e32 v8, 0x1880, v4
	v_mov_b32_e32 v4, s0
	ds_read_b64 v[4:5], v4
	s_waitcnt lgkmcnt(0)
	v_cmp_gt_f32_e32 vcc, 0, v5
	v_cndmask_b32_e64 v6, v5, -v5, vcc
	v_cmp_gt_f32_e32 vcc, 0, v4
	v_cndmask_b32_e64 v7, v4, -v4, vcc
	v_cmp_ngt_f32_e32 vcc, v7, v6
	s_cbranch_vccz .LBB167_146
; %bb.145:                              ;   in Loop: Header=BB167_142 Depth=1
	v_div_scale_f32 v6, s[0:1], v5, v5, v4
	v_rcp_f32_e32 v7, v6
	v_div_scale_f32 v9, vcc, v4, v5, v4
	v_fma_f32 v10, -v6, v7, 1.0
	v_fmac_f32_e32 v7, v10, v7
	v_mul_f32_e32 v10, v9, v7
	v_fma_f32 v11, -v6, v10, v9
	v_fmac_f32_e32 v10, v11, v7
	v_fma_f32 v6, -v6, v10, v9
	v_div_fmas_f32 v6, v6, v7, v10
	v_div_fixup_f32 v6, v6, v5, v4
	v_fma_f32 v7, v4, v6, v5
	v_div_scale_f32 v9, s[0:1], v7, v7, 1.0
	v_rcp_f32_e32 v10, v9
	v_fma_f32 v11, -v9, v10, 1.0
	v_fmac_f32_e32 v10, v11, v10
	v_div_scale_f32 v11, vcc, 1.0, v7, 1.0
	v_mul_f32_e32 v12, v11, v10
	v_fma_f32 v13, -v9, v12, v11
	v_fmac_f32_e32 v12, v13, v10
	v_fma_f32 v9, -v9, v12, v11
	v_div_fmas_f32 v9, v9, v10, v12
	v_div_fixup_f32 v10, v9, v7, 1.0
	v_pk_fma_f32 v[12:13], v[2:3], v[6:7], v[2:3] op_sel:[0,0,1] op_sel_hi:[1,0,0] neg_lo:[0,0,1] neg_hi:[0,0,1]
	v_pk_fma_f32 v[6:7], v[2:3], v[6:7], v[2:3] op_sel:[0,0,1] op_sel_hi:[1,0,0]
	v_mov_b32_e32 v7, v13
	v_pk_mul_f32 v[6:7], v[6:7], v[10:11] op_sel_hi:[1,0]
	s_cbranch_execnz .LBB167_141
	s_branch .LBB167_147
.LBB167_146:                            ;   in Loop: Header=BB167_142 Depth=1
                                        ; implicit-def: $vgpr6_vgpr7
.LBB167_147:                            ;   in Loop: Header=BB167_142 Depth=1
	v_div_scale_f32 v6, s[0:1], v4, v4, v5
	v_rcp_f32_e32 v7, v6
	v_div_scale_f32 v9, vcc, v5, v4, v5
	v_fma_f32 v10, -v6, v7, 1.0
	v_fmac_f32_e32 v7, v10, v7
	v_mul_f32_e32 v10, v9, v7
	v_fma_f32 v11, -v6, v10, v9
	v_fmac_f32_e32 v10, v11, v7
	v_fma_f32 v6, -v6, v10, v9
	v_div_fmas_f32 v6, v6, v7, v10
	v_div_fixup_f32 v6, v6, v4, v5
	v_fmac_f32_e32 v4, v5, v6
	v_div_scale_f32 v5, s[0:1], v4, v4, 1.0
	v_rcp_f32_e32 v7, v5
	v_fma_f32 v9, -v5, v7, 1.0
	v_fmac_f32_e32 v7, v9, v7
	v_div_scale_f32 v9, vcc, 1.0, v4, 1.0
	v_mul_f32_e32 v10, v9, v7
	v_fma_f32 v11, -v5, v10, v9
	v_fmac_f32_e32 v10, v11, v7
	v_fma_f32 v5, -v5, v10, v9
	v_div_fmas_f32 v5, v5, v7, v10
	v_pk_mul_f32 v[6:7], v[2:3], v[6:7] op_sel_hi:[1,0]
	v_pk_add_f32 v[10:11], v[2:3], v[6:7] op_sel:[0,1] op_sel_hi:[1,0] neg_lo:[0,1] neg_hi:[0,1]
	v_pk_add_f32 v[2:3], v[2:3], v[6:7] op_sel:[0,1] op_sel_hi:[1,0]
	v_div_fixup_f32 v4, v5, v4, 1.0
	v_mov_b32_e32 v3, v11
	v_pk_mul_f32 v[6:7], v[2:3], v[4:5] op_sel_hi:[1,0]
	s_branch .LBB167_141
.LBB167_148:
	s_mov_b64 s[4:5], 0
.LBB167_149:
	s_andn2_b64 vcc, exec, s[4:5]
	s_cbranch_vccnz .LBB167_188
; %bb.150:
	s_cmp_lt_i32 s16, 4
	s_mov_b32 s4, 0
	s_cbranch_scc1 .LBB167_173
; %bb.151:
	v_mov_b32_e32 v1, 0x1880
	v_lshl_add_u32 v1, v0, 3, v1
	s_mov_b32 s2, 0
	s_mov_b32 s3, 0
.LBB167_152:                            ; =>This Loop Header: Depth=1
                                        ;     Child Loop BB167_154 Depth 2
	s_mul_i32 s4, s3, 28
	v_add_lshl_u32 v4, s4, v0, 3
	s_add_i32 s6, s4, 28
	s_add_i32 s5, s4, 56
	s_addk_i32 s4, 0x54
	v_add_lshl_u32 v5, s6, v0, 3
	v_add_lshl_u32 v12, s5, v0, 3
	;; [unrolled: 1-line block ×3, first 2 shown]
	ds_read_b64 v[2:3], v4 offset:6272
	ds_read_b64 v[10:11], v5 offset:6272
	;; [unrolled: 1-line block ×4, first 2 shown]
	s_cmp_eq_u32 s3, 0
	s_cbranch_scc1 .LBB167_155
; %bb.153:                              ;   in Loop: Header=BB167_152 Depth=1
	s_mov_b32 s0, 0
	v_mov_b32_e32 v14, v1
	s_mov_b32 s1, s2
.LBB167_154:                            ;   Parent Loop BB167_152 Depth=1
                                        ; =>  This Inner Loop Header: Depth=2
	v_mov_b32_e32 v15, s1
	ds_read2_b64 v[16:19], v14 offset1:28
	ds_read_b128 v[20:23], v15
	ds_read_b128 v[24:27], v15 offset:224
	ds_read_b128 v[28:31], v15 offset:448
	;; [unrolled: 1-line block ×3, first 2 shown]
	s_add_i32 s0, s0, 2
	s_add_i32 s1, s1, 16
	v_add_u32_e32 v14, 0x1c0, v14
	s_waitcnt lgkmcnt(3)
	v_mul_f32_e32 v15, v21, v17
	v_mul_f32_e32 v36, v20, v17
	s_waitcnt lgkmcnt(2)
	v_mul_f32_e32 v37, v25, v17
	v_mul_f32_e32 v25, v25, v16
	;; [unrolled: 3-line block ×4, first 2 shown]
	v_mul_f32_e32 v40, v23, v19
	v_mul_f32_e32 v41, v22, v19
	;; [unrolled: 1-line block ×8, first 2 shown]
	v_fma_f32 v15, v20, v16, -v15
	v_fmac_f32_e32 v36, v21, v16
	v_fma_f32 v20, v24, v16, -v37
	v_fmac_f32_e32 v25, v24, v17
	;; [unrolled: 2-line block ×8, first 2 shown]
	v_sub_f32_e32 v2, v2, v15
	v_sub_f32_e32 v3, v3, v36
	;; [unrolled: 1-line block ×8, first 2 shown]
	s_cmp_ge_u32 s0, s3
	v_sub_f32_e32 v2, v2, v17
	v_sub_f32_e32 v3, v3, v41
	;; [unrolled: 1-line block ×8, first 2 shown]
	s_cbranch_scc0 .LBB167_154
.LBB167_155:                            ;   in Loop: Header=BB167_152 Depth=1
	s_mul_i32 s7, s3, 0xe8
	v_add_u32_e32 v17, 0x1880, v4
	v_mov_b32_e32 v4, s7
	v_add_u32_e32 v16, 0x1880, v5
	ds_read_b64 v[4:5], v4
	v_add_u32_e32 v15, 0x1880, v12
	v_add_u32_e32 v14, 0x1880, v13
	s_waitcnt lgkmcnt(0)
	v_cmp_gt_f32_e32 vcc, 0, v5
	v_cndmask_b32_e64 v12, v5, -v5, vcc
	v_cmp_gt_f32_e32 vcc, 0, v4
	v_cndmask_b32_e64 v13, v4, -v4, vcc
	v_cmp_ngt_f32_e32 vcc, v13, v12
	s_cbranch_vccz .LBB167_157
; %bb.156:                              ;   in Loop: Header=BB167_152 Depth=1
	v_div_scale_f32 v12, s[0:1], v5, v5, v4
	v_rcp_f32_e32 v13, v12
	v_div_scale_f32 v18, vcc, v4, v5, v4
	v_fma_f32 v19, -v12, v13, 1.0
	v_fmac_f32_e32 v13, v19, v13
	v_mul_f32_e32 v19, v18, v13
	v_fma_f32 v20, -v12, v19, v18
	v_fmac_f32_e32 v19, v20, v13
	v_fma_f32 v12, -v12, v19, v18
	v_div_fmas_f32 v12, v12, v13, v19
	v_div_fixup_f32 v13, v12, v5, v4
	v_fma_f32 v12, v4, v13, v5
	v_div_scale_f32 v18, s[0:1], v12, v12, 1.0
	v_rcp_f32_e32 v19, v18
	v_fma_f32 v20, -v18, v19, 1.0
	v_fmac_f32_e32 v19, v20, v19
	v_div_scale_f32 v20, vcc, 1.0, v12, 1.0
	v_mul_f32_e32 v21, v20, v19
	v_fma_f32 v22, -v18, v21, v20
	v_fmac_f32_e32 v21, v22, v19
	v_fma_f32 v18, -v18, v21, v20
	v_div_fmas_f32 v18, v18, v19, v21
	v_div_fixup_f32 v18, v18, v12, 1.0
	v_fma_f32 v12, v2, v13, v3
	v_fma_f32 v13, v3, v13, -v2
	v_mul_f32_e32 v12, v12, v18
	v_mul_f32_e32 v13, v13, v18
	s_cbranch_execz .LBB167_158
	s_branch .LBB167_159
.LBB167_157:                            ;   in Loop: Header=BB167_152 Depth=1
                                        ; implicit-def: $vgpr13
.LBB167_158:                            ;   in Loop: Header=BB167_152 Depth=1
	v_div_scale_f32 v12, s[0:1], v4, v4, v5
	v_rcp_f32_e32 v13, v12
	v_div_scale_f32 v18, vcc, v5, v4, v5
	v_fma_f32 v19, -v12, v13, 1.0
	v_fmac_f32_e32 v13, v19, v13
	v_mul_f32_e32 v19, v18, v13
	v_fma_f32 v20, -v12, v19, v18
	v_fmac_f32_e32 v19, v20, v13
	v_fma_f32 v12, -v12, v19, v18
	v_div_fmas_f32 v12, v12, v13, v19
	v_div_fixup_f32 v13, v12, v4, v5
	v_fmac_f32_e32 v4, v5, v13
	v_div_scale_f32 v5, s[0:1], v4, v4, 1.0
	v_rcp_f32_e32 v12, v5
	v_fma_f32 v18, -v5, v12, 1.0
	v_fmac_f32_e32 v12, v18, v12
	v_div_scale_f32 v18, vcc, 1.0, v4, 1.0
	v_mul_f32_e32 v19, v18, v12
	v_fma_f32 v20, -v5, v19, v18
	v_fmac_f32_e32 v19, v20, v12
	v_fma_f32 v5, -v5, v19, v18
	v_div_fmas_f32 v5, v5, v12, v19
	v_div_fixup_f32 v4, v5, v4, 1.0
	v_fma_f32 v5, v3, v13, v2
	v_fma_f32 v2, -v2, v13, v3
	v_mul_f32_e32 v12, v5, v4
	v_mul_f32_e32 v13, v2, v4
.LBB167_159:                            ;   in Loop: Header=BB167_152 Depth=1
	s_add_i32 s6, s6, s3
	s_lshl_b32 s0, s6, 3
	v_mov_b32_e32 v2, s0
	ds_read_b128 v[2:5], v2
	ds_write_b64 v17, v[12:13]
	s_waitcnt lgkmcnt(1)
	v_mul_f32_e32 v17, v13, v3
	v_mul_f32_e32 v3, v12, v3
	v_fma_f32 v17, v12, v2, -v17
	v_cmp_gt_f32_e32 vcc, 0, v5
	v_fmac_f32_e32 v3, v13, v2
	v_sub_f32_e32 v2, v10, v17
	v_cndmask_b32_e64 v10, v5, -v5, vcc
	v_cmp_gt_f32_e32 vcc, 0, v4
	v_sub_f32_e32 v3, v11, v3
	v_cndmask_b32_e64 v11, v4, -v4, vcc
	v_cmp_ngt_f32_e32 vcc, v11, v10
	s_cbranch_vccz .LBB167_161
; %bb.160:                              ;   in Loop: Header=BB167_152 Depth=1
	v_div_scale_f32 v10, s[0:1], v5, v5, v4
	v_rcp_f32_e32 v11, v10
	v_div_scale_f32 v17, vcc, v4, v5, v4
	v_fma_f32 v18, -v10, v11, 1.0
	v_fmac_f32_e32 v11, v18, v11
	v_mul_f32_e32 v18, v17, v11
	v_fma_f32 v19, -v10, v18, v17
	v_fmac_f32_e32 v18, v19, v11
	v_fma_f32 v10, -v10, v18, v17
	v_div_fmas_f32 v10, v10, v11, v18
	v_div_fixup_f32 v11, v10, v5, v4
	v_fma_f32 v10, v4, v11, v5
	v_div_scale_f32 v17, s[0:1], v10, v10, 1.0
	v_rcp_f32_e32 v18, v17
	v_fma_f32 v19, -v17, v18, 1.0
	v_fmac_f32_e32 v18, v19, v18
	v_div_scale_f32 v19, vcc, 1.0, v10, 1.0
	v_mul_f32_e32 v20, v19, v18
	v_fma_f32 v21, -v17, v20, v19
	v_fmac_f32_e32 v20, v21, v18
	v_fma_f32 v17, -v17, v20, v19
	v_div_fmas_f32 v17, v17, v18, v20
	v_div_fixup_f32 v17, v17, v10, 1.0
	v_fma_f32 v10, v11, v2, v3
	v_fma_f32 v11, v11, v3, -v2
	v_mul_f32_e32 v10, v10, v17
	v_mul_f32_e32 v11, v11, v17
	s_cbranch_execz .LBB167_162
	s_branch .LBB167_163
.LBB167_161:                            ;   in Loop: Header=BB167_152 Depth=1
                                        ; implicit-def: $vgpr11
.LBB167_162:                            ;   in Loop: Header=BB167_152 Depth=1
	v_div_scale_f32 v10, s[0:1], v4, v4, v5
	v_rcp_f32_e32 v11, v10
	v_div_scale_f32 v17, vcc, v5, v4, v5
	v_fma_f32 v18, -v10, v11, 1.0
	v_fmac_f32_e32 v11, v18, v11
	v_mul_f32_e32 v18, v17, v11
	v_fma_f32 v19, -v10, v18, v17
	v_fmac_f32_e32 v18, v19, v11
	v_fma_f32 v10, -v10, v18, v17
	v_div_fmas_f32 v10, v10, v11, v18
	v_div_fixup_f32 v11, v10, v4, v5
	v_fmac_f32_e32 v4, v5, v11
	v_div_scale_f32 v5, s[0:1], v4, v4, 1.0
	v_rcp_f32_e32 v10, v5
	v_fma_f32 v17, -v5, v10, 1.0
	v_fmac_f32_e32 v10, v17, v10
	v_div_scale_f32 v17, vcc, 1.0, v4, 1.0
	v_mul_f32_e32 v18, v17, v10
	v_fma_f32 v19, -v5, v18, v17
	v_fmac_f32_e32 v18, v19, v10
	v_fma_f32 v5, -v5, v18, v17
	v_div_fmas_f32 v5, v5, v10, v18
	v_div_fixup_f32 v4, v5, v4, 1.0
	v_fma_f32 v5, v11, v3, v2
	v_fma_f32 v2, -v11, v2, v3
	v_mul_f32_e32 v10, v5, v4
	v_mul_f32_e32 v11, v2, v4
.LBB167_163:                            ;   in Loop: Header=BB167_152 Depth=1
	s_add_i32 s5, s5, s3
	s_lshl_b32 s0, s5, 3
	v_mov_b32_e32 v2, s0
	ds_read_b128 v[18:21], v2
	v_mov_b32_e32 v2, s7
	ds_read_b64 v[2:3], v2 offset:464
	ds_write_b64 v16, v[10:11]
	s_waitcnt lgkmcnt(2)
	v_mul_f32_e32 v4, v13, v19
	v_mul_f32_e32 v5, v12, v19
	v_fma_f32 v4, v12, v18, -v4
	v_fmac_f32_e32 v5, v13, v18
	v_sub_f32_e32 v4, v8, v4
	v_mul_f32_e32 v8, v11, v21
	v_sub_f32_e32 v5, v9, v5
	v_fma_f32 v8, v10, v20, -v8
	v_mul_f32_e32 v9, v10, v21
	s_waitcnt lgkmcnt(1)
	v_cmp_gt_f32_e32 vcc, 0, v3
	v_fmac_f32_e32 v9, v11, v20
	v_sub_f32_e32 v4, v4, v8
	v_cndmask_b32_e64 v8, v3, -v3, vcc
	v_cmp_gt_f32_e32 vcc, 0, v2
	v_sub_f32_e32 v5, v5, v9
	v_cndmask_b32_e64 v9, v2, -v2, vcc
	v_cmp_ngt_f32_e32 vcc, v9, v8
	s_cbranch_vccz .LBB167_165
; %bb.164:                              ;   in Loop: Header=BB167_152 Depth=1
	v_div_scale_f32 v8, s[0:1], v3, v3, v2
	v_rcp_f32_e32 v9, v8
	v_div_scale_f32 v16, vcc, v2, v3, v2
	v_fma_f32 v17, -v8, v9, 1.0
	v_fmac_f32_e32 v9, v17, v9
	v_mul_f32_e32 v17, v16, v9
	v_fma_f32 v18, -v8, v17, v16
	v_fmac_f32_e32 v17, v18, v9
	v_fma_f32 v8, -v8, v17, v16
	v_div_fmas_f32 v8, v8, v9, v17
	v_div_fixup_f32 v9, v8, v3, v2
	v_fma_f32 v8, v2, v9, v3
	v_div_scale_f32 v16, s[0:1], v8, v8, 1.0
	v_rcp_f32_e32 v17, v16
	v_fma_f32 v18, -v16, v17, 1.0
	v_fmac_f32_e32 v17, v18, v17
	v_div_scale_f32 v18, vcc, 1.0, v8, 1.0
	v_mul_f32_e32 v19, v18, v17
	v_fma_f32 v20, -v16, v19, v18
	v_fmac_f32_e32 v19, v20, v17
	v_fma_f32 v16, -v16, v19, v18
	v_div_fmas_f32 v16, v16, v17, v19
	v_div_fixup_f32 v16, v16, v8, 1.0
	v_fma_f32 v8, v9, v4, v5
	v_fma_f32 v9, v9, v5, -v4
	v_mul_f32_e32 v8, v8, v16
	v_mul_f32_e32 v9, v9, v16
	s_cbranch_execz .LBB167_166
	s_branch .LBB167_167
.LBB167_165:                            ;   in Loop: Header=BB167_152 Depth=1
                                        ; implicit-def: $vgpr9
.LBB167_166:                            ;   in Loop: Header=BB167_152 Depth=1
	v_div_scale_f32 v8, s[0:1], v2, v2, v3
	v_rcp_f32_e32 v9, v8
	v_div_scale_f32 v16, vcc, v3, v2, v3
	v_fma_f32 v17, -v8, v9, 1.0
	v_fmac_f32_e32 v9, v17, v9
	v_mul_f32_e32 v17, v16, v9
	v_fma_f32 v18, -v8, v17, v16
	v_fmac_f32_e32 v17, v18, v9
	v_fma_f32 v8, -v8, v17, v16
	v_div_fmas_f32 v8, v8, v9, v17
	v_div_fixup_f32 v9, v8, v2, v3
	v_fmac_f32_e32 v2, v3, v9
	v_div_scale_f32 v3, s[0:1], v2, v2, 1.0
	v_rcp_f32_e32 v8, v3
	v_fma_f32 v16, -v3, v8, 1.0
	v_fmac_f32_e32 v8, v16, v8
	v_div_scale_f32 v16, vcc, 1.0, v2, 1.0
	v_mul_f32_e32 v17, v16, v8
	v_fma_f32 v18, -v3, v17, v16
	v_fmac_f32_e32 v17, v18, v8
	v_fma_f32 v3, -v3, v17, v16
	v_div_fmas_f32 v3, v3, v8, v17
	v_div_fixup_f32 v2, v3, v2, 1.0
	v_fma_f32 v3, v9, v5, v4
	v_mul_f32_e32 v8, v3, v2
	v_fma_f32 v3, -v9, v4, v5
	v_mul_f32_e32 v9, v3, v2
.LBB167_167:                            ;   in Loop: Header=BB167_152 Depth=1
	s_add_i32 s4, s4, s3
	s_lshl_b32 s0, s4, 3
	v_mov_b32_e32 v2, s0
	ds_read_b128 v[16:19], v2
	ds_write_b64 v15, v[8:9]
	ds_read_b128 v[2:5], v2 offset:16
	s_waitcnt lgkmcnt(2)
	v_mul_f32_e32 v15, v13, v17
	v_mul_f32_e32 v17, v12, v17
	v_fma_f32 v12, v12, v16, -v15
	v_sub_f32_e32 v6, v6, v12
	v_mul_f32_e32 v12, v11, v19
	v_fmac_f32_e32 v17, v13, v16
	v_fma_f32 v12, v10, v18, -v12
	v_mul_f32_e32 v10, v10, v19
	v_sub_f32_e32 v7, v7, v17
	v_fmac_f32_e32 v10, v11, v18
	v_sub_f32_e32 v7, v7, v10
	s_waitcnt lgkmcnt(0)
	v_mul_f32_e32 v10, v9, v3
	v_mul_f32_e32 v3, v8, v3
	v_cmp_gt_f32_e32 vcc, 0, v5
	v_fma_f32 v10, v8, v2, -v10
	v_fmac_f32_e32 v3, v9, v2
	v_cndmask_b32_e64 v2, v5, -v5, vcc
	v_cmp_gt_f32_e32 vcc, 0, v4
	v_sub_f32_e32 v7, v7, v3
	v_cndmask_b32_e64 v3, v4, -v4, vcc
	v_sub_f32_e32 v6, v6, v12
	v_cmp_ngt_f32_e32 vcc, v3, v2
	v_sub_f32_e32 v6, v6, v10
	s_cbranch_vccz .LBB167_169
; %bb.168:                              ;   in Loop: Header=BB167_152 Depth=1
	v_div_scale_f32 v2, s[0:1], v5, v5, v4
	v_rcp_f32_e32 v3, v2
	v_div_scale_f32 v8, vcc, v4, v5, v4
	v_fma_f32 v9, -v2, v3, 1.0
	v_fmac_f32_e32 v3, v9, v3
	v_mul_f32_e32 v9, v8, v3
	v_fma_f32 v10, -v2, v9, v8
	v_fmac_f32_e32 v9, v10, v3
	v_fma_f32 v2, -v2, v9, v8
	v_div_fmas_f32 v2, v2, v3, v9
	v_div_fixup_f32 v3, v2, v5, v4
	v_fma_f32 v2, v4, v3, v5
	v_div_scale_f32 v8, s[0:1], v2, v2, 1.0
	v_rcp_f32_e32 v9, v8
	v_fma_f32 v10, -v8, v9, 1.0
	v_fmac_f32_e32 v9, v10, v9
	v_div_scale_f32 v10, vcc, 1.0, v2, 1.0
	v_mul_f32_e32 v11, v10, v9
	v_fma_f32 v12, -v8, v11, v10
	v_fmac_f32_e32 v11, v12, v9
	v_fma_f32 v8, -v8, v11, v10
	v_div_fmas_f32 v8, v8, v9, v11
	v_div_fixup_f32 v8, v8, v2, 1.0
	v_fma_f32 v2, v3, v6, v7
	v_fma_f32 v3, v3, v7, -v6
	v_mul_f32_e32 v2, v2, v8
	v_mul_f32_e32 v3, v3, v8
	s_cbranch_execz .LBB167_170
	s_branch .LBB167_171
.LBB167_169:                            ;   in Loop: Header=BB167_152 Depth=1
                                        ; implicit-def: $vgpr3
.LBB167_170:                            ;   in Loop: Header=BB167_152 Depth=1
	v_div_scale_f32 v2, s[0:1], v4, v4, v5
	v_rcp_f32_e32 v3, v2
	v_div_scale_f32 v8, vcc, v5, v4, v5
	v_fma_f32 v9, -v2, v3, 1.0
	v_fmac_f32_e32 v3, v9, v3
	v_mul_f32_e32 v9, v8, v3
	v_fma_f32 v10, -v2, v9, v8
	v_fmac_f32_e32 v9, v10, v3
	v_fma_f32 v2, -v2, v9, v8
	v_div_fmas_f32 v2, v2, v3, v9
	v_div_fixup_f32 v3, v2, v4, v5
	v_fmac_f32_e32 v4, v5, v3
	v_div_scale_f32 v2, s[0:1], v4, v4, 1.0
	v_rcp_f32_e32 v5, v2
	v_fma_f32 v8, -v2, v5, 1.0
	v_fmac_f32_e32 v5, v8, v5
	v_div_scale_f32 v8, vcc, 1.0, v4, 1.0
	v_mul_f32_e32 v9, v8, v5
	v_fma_f32 v10, -v2, v9, v8
	v_fmac_f32_e32 v9, v10, v5
	v_fma_f32 v2, -v2, v9, v8
	v_div_fmas_f32 v2, v2, v5, v9
	v_div_fixup_f32 v4, v2, v4, 1.0
	v_fma_f32 v2, v3, v7, v6
	v_fma_f32 v3, -v3, v6, v7
	v_mul_f32_e32 v2, v2, v4
	v_mul_f32_e32 v3, v3, v4
.LBB167_171:                            ;   in Loop: Header=BB167_152 Depth=1
	s_add_i32 s4, s3, 4
	s_add_i32 s0, s3, 7
	s_addk_i32 s2, 0x380
	s_cmp_ge_i32 s0, s33
	ds_write_b64 v14, v[2:3]
	s_cbranch_scc1 .LBB167_173
; %bb.172:                              ;   in Loop: Header=BB167_152 Depth=1
	s_mov_b32 s3, s4
	s_branch .LBB167_152
.LBB167_173:
	s_cmp_ge_i32 s4, s33
	s_cbranch_scc1 .LBB167_188
; %bb.174:
	v_mov_b32_e32 v1, 0x1880
	s_add_i32 s2, s4, -1
	s_mul_i32 s3, s4, 0xe0
	v_lshl_add_u32 v1, v0, 3, v1
	s_mov_b32 s5, 0
	s_mov_b32 s6, s4
	s_branch .LBB167_176
.LBB167_175:                            ;   in Loop: Header=BB167_176 Depth=1
	s_add_i32 s4, s4, 1
	s_add_i32 s5, s5, 1
	s_addk_i32 s3, 0xe0
	v_add_u16_e64 v2, s6, 1
	s_cmp_ge_i32 s4, s33
	v_readfirstlane_b32 s6, v2
	ds_write_b64 v8, v[6:7]
	s_cbranch_scc1 .LBB167_188
.LBB167_176:                            ; =>This Loop Header: Depth=1
                                        ;     Child Loop BB167_179 Depth 2
                                        ;     Child Loop BB167_183 Depth 2
	s_mul_i32 s0, s4, 28
	v_add_lshl_u32 v4, s0, v0, 3
	ds_read_b64 v[2:3], v4 offset:6272
	s_cmp_eq_u32 s4, 0
	s_cbranch_scc1 .LBB167_184
; %bb.177:                              ;   in Loop: Header=BB167_176 Depth=1
	s_add_i32 s0, s2, s5
	s_cmp_lt_u32 s0, 7
	s_cbranch_scc1 .LBB167_181
; %bb.178:                              ;   in Loop: Header=BB167_176 Depth=1
	s_and_b32 s0, s4, -8
	s_mov_b32 s1, 0
	v_mov_b32_e32 v5, v1
	s_mov_b32 s7, s3
.LBB167_179:                            ;   Parent Loop BB167_176 Depth=1
                                        ; =>  This Inner Loop Header: Depth=2
	ds_read2_b64 v[6:9], v5 offset1:28
	v_mov_b32_e32 v34, s7
	ds_read2_b64 v[10:13], v5 offset0:56 offset1:84
	ds_read2_b64 v[14:17], v5 offset0:112 offset1:140
	;; [unrolled: 1-line block ×3, first 2 shown]
	ds_read_b128 v[22:25], v34
	ds_read_b128 v[26:29], v34 offset:16
	ds_read_b128 v[30:33], v34 offset:32
	;; [unrolled: 1-line block ×3, first 2 shown]
	s_add_i32 s1, s1, 8
	s_waitcnt lgkmcnt(3)
	v_pk_mul_f32 v[38:39], v[22:23], v[6:7] op_sel:[0,1]
	v_pk_mul_f32 v[40:41], v[24:25], v[8:9] op_sel:[0,1]
	v_pk_fma_f32 v[54:55], v[22:23], v[6:7], v[38:39] op_sel:[0,0,1] op_sel_hi:[1,0,0]
	v_pk_fma_f32 v[6:7], v[22:23], v[6:7], v[38:39] op_sel:[0,0,1] op_sel_hi:[1,0,0] neg_lo:[0,0,1] neg_hi:[0,0,1]
	s_waitcnt lgkmcnt(2)
	v_pk_mul_f32 v[42:43], v[26:27], v[10:11] op_sel:[0,1]
	v_pk_fma_f32 v[22:23], v[24:25], v[8:9], v[40:41] op_sel:[0,0,1] op_sel_hi:[1,0,0]
	v_pk_fma_f32 v[8:9], v[24:25], v[8:9], v[40:41] op_sel:[0,0,1] op_sel_hi:[1,0,0] neg_lo:[0,0,1] neg_hi:[0,0,1]
	v_mov_b32_e32 v7, v55
	v_pk_mul_f32 v[44:45], v[28:29], v[12:13] op_sel:[0,1]
	v_pk_fma_f32 v[24:25], v[26:27], v[10:11], v[42:43] op_sel:[0,0,1] op_sel_hi:[1,0,0]
	v_pk_fma_f32 v[10:11], v[26:27], v[10:11], v[42:43] op_sel:[0,0,1] op_sel_hi:[1,0,0] neg_lo:[0,0,1] neg_hi:[0,0,1]
	v_mov_b32_e32 v9, v23
	v_pk_add_f32 v[2:3], v[2:3], v[6:7] neg_lo:[0,1] neg_hi:[0,1]
	s_waitcnt lgkmcnt(1)
	v_pk_mul_f32 v[46:47], v[30:31], v[14:15] op_sel:[0,1]
	v_pk_fma_f32 v[26:27], v[28:29], v[12:13], v[44:45] op_sel:[0,0,1] op_sel_hi:[1,0,0]
	v_pk_fma_f32 v[12:13], v[28:29], v[12:13], v[44:45] op_sel:[0,0,1] op_sel_hi:[1,0,0] neg_lo:[0,0,1] neg_hi:[0,0,1]
	v_mov_b32_e32 v11, v25
	v_pk_add_f32 v[2:3], v[2:3], v[8:9] neg_lo:[0,1] neg_hi:[0,1]
	v_pk_mul_f32 v[48:49], v[32:33], v[16:17] op_sel:[0,1]
	v_pk_fma_f32 v[28:29], v[30:31], v[14:15], v[46:47] op_sel:[0,0,1] op_sel_hi:[1,0,0]
	v_pk_fma_f32 v[14:15], v[30:31], v[14:15], v[46:47] op_sel:[0,0,1] op_sel_hi:[1,0,0] neg_lo:[0,0,1] neg_hi:[0,0,1]
	v_mov_b32_e32 v13, v27
	v_pk_add_f32 v[2:3], v[2:3], v[10:11] neg_lo:[0,1] neg_hi:[0,1]
	s_waitcnt lgkmcnt(0)
	v_pk_mul_f32 v[50:51], v[34:35], v[18:19] op_sel:[0,1]
	v_pk_fma_f32 v[30:31], v[32:33], v[16:17], v[48:49] op_sel:[0,0,1] op_sel_hi:[1,0,0]
	v_pk_fma_f32 v[16:17], v[32:33], v[16:17], v[48:49] op_sel:[0,0,1] op_sel_hi:[1,0,0] neg_lo:[0,0,1] neg_hi:[0,0,1]
	v_mov_b32_e32 v15, v29
	v_pk_add_f32 v[2:3], v[2:3], v[12:13] neg_lo:[0,1] neg_hi:[0,1]
	v_pk_mul_f32 v[52:53], v[36:37], v[20:21] op_sel:[0,1]
	v_pk_fma_f32 v[32:33], v[34:35], v[18:19], v[50:51] op_sel:[0,0,1] op_sel_hi:[1,0,0]
	v_pk_fma_f32 v[18:19], v[34:35], v[18:19], v[50:51] op_sel:[0,0,1] op_sel_hi:[1,0,0] neg_lo:[0,0,1] neg_hi:[0,0,1]
	v_mov_b32_e32 v17, v31
	v_pk_add_f32 v[2:3], v[2:3], v[14:15] neg_lo:[0,1] neg_hi:[0,1]
	v_pk_fma_f32 v[34:35], v[36:37], v[20:21], v[52:53] op_sel:[0,0,1] op_sel_hi:[1,0,0]
	v_pk_fma_f32 v[20:21], v[36:37], v[20:21], v[52:53] op_sel:[0,0,1] op_sel_hi:[1,0,0] neg_lo:[0,0,1] neg_hi:[0,0,1]
	v_mov_b32_e32 v19, v33
	v_pk_add_f32 v[2:3], v[2:3], v[16:17] neg_lo:[0,1] neg_hi:[0,1]
	s_add_i32 s7, s7, 64
	v_mov_b32_e32 v21, v35
	v_pk_add_f32 v[2:3], v[2:3], v[18:19] neg_lo:[0,1] neg_hi:[0,1]
	v_add_u32_e32 v5, 0x700, v5
	s_cmp_eq_u32 s0, s1
	v_pk_add_f32 v[2:3], v[2:3], v[20:21] neg_lo:[0,1] neg_hi:[0,1]
	s_cbranch_scc0 .LBB167_179
; %bb.180:                              ;   in Loop: Header=BB167_176 Depth=1
	s_and_b32 s1, s4, 7
	s_cmp_eq_u32 s1, 0
	s_cbranch_scc0 .LBB167_182
	s_branch .LBB167_184
.LBB167_181:                            ;   in Loop: Header=BB167_176 Depth=1
	s_mov_b32 s0, 0
	s_and_b32 s1, s4, 7
	s_cmp_eq_u32 s1, 0
	s_cbranch_scc1 .LBB167_184
.LBB167_182:                            ;   in Loop: Header=BB167_176 Depth=1
	s_lshl_b32 s7, s0, 3
	s_mulk_i32 s0, 0xe0
	s_and_b32 s1, s6, 7
	v_add_u32_e32 v5, s0, v1
.LBB167_183:                            ;   Parent Loop BB167_176 Depth=1
                                        ; =>  This Inner Loop Header: Depth=2
	s_add_i32 s0, s3, s7
	v_mov_b32_e32 v8, s0
	ds_read_b64 v[6:7], v5
	ds_read_b64 v[8:9], v8
	s_add_i32 s7, s7, 8
	s_add_i32 s1, s1, -1
	v_add_u32_e32 v5, 0xe0, v5
	s_cmp_lg_u32 s1, 0
	s_waitcnt lgkmcnt(0)
	v_pk_mul_f32 v[10:11], v[8:9], v[6:7] op_sel:[0,1]
	v_pk_fma_f32 v[12:13], v[8:9], v[6:7], v[10:11] op_sel:[0,0,1] op_sel_hi:[1,0,0]
	v_pk_fma_f32 v[6:7], v[8:9], v[6:7], v[10:11] op_sel:[0,0,1] op_sel_hi:[1,0,0] neg_lo:[0,0,1] neg_hi:[0,0,1]
	v_mov_b32_e32 v7, v13
	v_pk_add_f32 v[2:3], v[2:3], v[6:7] neg_lo:[0,1] neg_hi:[0,1]
	s_cbranch_scc1 .LBB167_183
.LBB167_184:                            ;   in Loop: Header=BB167_176 Depth=1
	s_mul_i32 s0, s4, 0xe8
	v_add_u32_e32 v8, 0x1880, v4
	v_mov_b32_e32 v4, s0
	ds_read_b64 v[4:5], v4
	s_waitcnt lgkmcnt(0)
	v_cmp_gt_f32_e32 vcc, 0, v5
	v_cndmask_b32_e64 v6, v5, -v5, vcc
	v_cmp_gt_f32_e32 vcc, 0, v4
	v_cndmask_b32_e64 v7, v4, -v4, vcc
	v_cmp_ngt_f32_e32 vcc, v7, v6
	s_cbranch_vccz .LBB167_186
; %bb.185:                              ;   in Loop: Header=BB167_176 Depth=1
	v_div_scale_f32 v6, s[0:1], v5, v5, v4
	v_rcp_f32_e32 v7, v6
	v_div_scale_f32 v9, vcc, v4, v5, v4
	v_fma_f32 v10, -v6, v7, 1.0
	v_fmac_f32_e32 v7, v10, v7
	v_mul_f32_e32 v10, v9, v7
	v_fma_f32 v11, -v6, v10, v9
	v_fmac_f32_e32 v10, v11, v7
	v_fma_f32 v6, -v6, v10, v9
	v_div_fmas_f32 v6, v6, v7, v10
	v_div_fixup_f32 v6, v6, v5, v4
	v_fma_f32 v7, v4, v6, v5
	v_div_scale_f32 v9, s[0:1], v7, v7, 1.0
	v_rcp_f32_e32 v10, v9
	v_fma_f32 v11, -v9, v10, 1.0
	v_fmac_f32_e32 v10, v11, v10
	v_div_scale_f32 v11, vcc, 1.0, v7, 1.0
	v_mul_f32_e32 v12, v11, v10
	v_fma_f32 v13, -v9, v12, v11
	v_fmac_f32_e32 v12, v13, v10
	v_fma_f32 v9, -v9, v12, v11
	v_div_fmas_f32 v9, v9, v10, v12
	v_div_fixup_f32 v10, v9, v7, 1.0
	v_pk_fma_f32 v[12:13], v[2:3], v[6:7], v[2:3] op_sel:[0,0,1] op_sel_hi:[1,0,0] neg_lo:[0,0,1] neg_hi:[0,0,1]
	v_pk_fma_f32 v[6:7], v[2:3], v[6:7], v[2:3] op_sel:[0,0,1] op_sel_hi:[1,0,0]
	v_mov_b32_e32 v7, v13
	v_pk_mul_f32 v[6:7], v[6:7], v[10:11] op_sel_hi:[1,0]
	s_cbranch_execnz .LBB167_175
	s_branch .LBB167_187
.LBB167_186:                            ;   in Loop: Header=BB167_176 Depth=1
                                        ; implicit-def: $vgpr6_vgpr7
.LBB167_187:                            ;   in Loop: Header=BB167_176 Depth=1
	v_div_scale_f32 v6, s[0:1], v4, v4, v5
	v_rcp_f32_e32 v7, v6
	v_div_scale_f32 v9, vcc, v5, v4, v5
	v_fma_f32 v10, -v6, v7, 1.0
	v_fmac_f32_e32 v7, v10, v7
	v_mul_f32_e32 v10, v9, v7
	v_fma_f32 v11, -v6, v10, v9
	v_fmac_f32_e32 v10, v11, v7
	v_fma_f32 v6, -v6, v10, v9
	v_div_fmas_f32 v6, v6, v7, v10
	v_div_fixup_f32 v6, v6, v4, v5
	v_fmac_f32_e32 v4, v5, v6
	v_div_scale_f32 v5, s[0:1], v4, v4, 1.0
	v_rcp_f32_e32 v7, v5
	v_fma_f32 v9, -v5, v7, 1.0
	v_fmac_f32_e32 v7, v9, v7
	v_div_scale_f32 v9, vcc, 1.0, v4, 1.0
	v_mul_f32_e32 v10, v9, v7
	v_fma_f32 v11, -v5, v10, v9
	v_fmac_f32_e32 v10, v11, v7
	v_fma_f32 v5, -v5, v10, v9
	v_div_fmas_f32 v5, v5, v7, v10
	v_pk_mul_f32 v[6:7], v[2:3], v[6:7] op_sel_hi:[1,0]
	v_pk_add_f32 v[10:11], v[2:3], v[6:7] op_sel:[0,1] op_sel_hi:[1,0] neg_lo:[0,1] neg_hi:[0,1]
	v_pk_add_f32 v[2:3], v[2:3], v[6:7] op_sel:[0,1] op_sel_hi:[1,0]
	v_div_fixup_f32 v4, v5, v4, 1.0
	v_mov_b32_e32 v3, v11
	v_pk_mul_f32 v[6:7], v[2:3], v[4:5] op_sel_hi:[1,0]
	s_branch .LBB167_175
.LBB167_188:
	s_and_saveexec_b64 s[0:1], s[26:27]
	s_cbranch_execz .LBB167_195
; %bb.189:
	s_ashr_i32 s15, s14, 31
	s_mov_b32 s6, 0
	s_cmp_lt_u32 s16, 4
	v_lshlrev_b32_e32 v1, 3, v0
	s_cbranch_scc1 .LBB167_192
; %bb.190:
	v_mov_b32_e32 v3, s41
	v_add_co_u32_e32 v2, vcc, s40, v1
	s_mul_hi_i32 s9, s14, 24
	s_lshl_b64 s[0:1], s[14:15], 5
	s_lshl_b64 s[2:3], s[14:15], 4
	;; [unrolled: 1-line block ×3, first 2 shown]
	v_mov_b32_e32 v4, 0x1880
	v_addc_co_u32_e32 v3, vcc, 0, v3, vcc
	s_and_b32 s6, s16, 0x7ffffffc
	s_mul_i32 s7, s14, 24
	v_lshl_add_u32 v4, v0, 3, v4
	s_mov_b32 s8, 0
	v_mov_b32_e32 v5, s5
	v_mov_b32_e32 v6, s3
	;; [unrolled: 1-line block ×4, first 2 shown]
.LBB167_191:                            ; =>This Inner Loop Header: Depth=1
	v_add_co_u32_e32 v18, vcc, s4, v2
	ds_read2_b64 v[10:13], v4 offset1:28
	v_addc_co_u32_e32 v19, vcc, v3, v5, vcc
	v_add_co_u32_e32 v20, vcc, s2, v2
	v_addc_co_u32_e32 v21, vcc, v3, v6, vcc
	ds_read2_b64 v[14:17], v4 offset0:56 offset1:84
	v_add_co_u32_e32 v22, vcc, s7, v2
	v_addc_co_u32_e32 v23, vcc, v3, v7, vcc
	s_add_i32 s8, s8, 4
	s_waitcnt lgkmcnt(1)
	global_store_dwordx2 v[2:3], v[10:11], off
	global_store_dwordx2 v[18:19], v[12:13], off
	s_waitcnt lgkmcnt(0)
	global_store_dwordx2 v[20:21], v[14:15], off
	global_store_dwordx2 v[22:23], v[16:17], off
	v_add_co_u32_e32 v2, vcc, s0, v2
	v_add_u32_e32 v4, 0x380, v4
	s_cmp_lg_u32 s6, s8
	v_addc_co_u32_e32 v3, vcc, v3, v8, vcc
	s_cbranch_scc1 .LBB167_191
.LBB167_192:
	s_and_b32 s2, s16, 3
	s_cmp_eq_u32 s2, 0
	s_cbranch_scc1 .LBB167_195
; %bb.193:
	s_mul_hi_i32 s1, s14, s6
	s_mul_i32 s0, s14, s6
	s_lshl_b64 s[0:1], s[0:1], 3
	s_add_u32 s0, s24, s0
	s_addc_u32 s1, s25, s1
	s_add_u32 s0, s0, s39
	s_addc_u32 s1, s1, s38
	;; [unrolled: 2-line block ×4, first 2 shown]
	s_mul_i32 s3, s6, 0xe0
	v_mov_b32_e32 v3, s1
	v_add_co_u32_e32 v2, vcc, s0, v1
	s_lshl_b64 s[0:1], s[14:15], 3
	v_lshl_add_u32 v0, v0, 3, s3
	v_addc_co_u32_e32 v3, vcc, 0, v3, vcc
	v_add_u32_e32 v0, 0x1880, v0
	v_mov_b32_e32 v1, s1
.LBB167_194:                            ; =>This Inner Loop Header: Depth=1
	ds_read_b64 v[4:5], v0
	s_add_i32 s2, s2, -1
	v_add_u32_e32 v0, 0xe0, v0
	s_cmp_lg_u32 s2, 0
	s_waitcnt lgkmcnt(0)
	global_store_dwordx2 v[2:3], v[4:5], off
	v_add_co_u32_e32 v2, vcc, s0, v2
	v_addc_co_u32_e32 v3, vcc, v3, v1, vcc
	s_cbranch_scc1 .LBB167_194
.LBB167_195:
	s_endpgm
	.section	.rodata,"a",@progbits
	.p2align	6, 0x0
	.amdhsa_kernel _ZL31rocblas_trsm_small_right_deviceI19rocblas_complex_numIfES1_PKS1_PS1_Li28EEv13rocblas_fill_18rocblas_operation_17rocblas_diagonal_iiT0_T1_lilT2_lili
		.amdhsa_group_segment_fixed_size 12544
		.amdhsa_private_segment_fixed_size 0
		.amdhsa_kernarg_size 360
		.amdhsa_user_sgpr_count 6
		.amdhsa_user_sgpr_private_segment_buffer 1
		.amdhsa_user_sgpr_dispatch_ptr 0
		.amdhsa_user_sgpr_queue_ptr 0
		.amdhsa_user_sgpr_kernarg_segment_ptr 1
		.amdhsa_user_sgpr_dispatch_id 0
		.amdhsa_user_sgpr_flat_scratch_init 0
		.amdhsa_user_sgpr_kernarg_preload_length 0
		.amdhsa_user_sgpr_kernarg_preload_offset 0
		.amdhsa_user_sgpr_private_segment_size 0
		.amdhsa_uses_dynamic_stack 0
		.amdhsa_system_sgpr_private_segment_wavefront_offset 0
		.amdhsa_system_sgpr_workgroup_id_x 1
		.amdhsa_system_sgpr_workgroup_id_y 0
		.amdhsa_system_sgpr_workgroup_id_z 1
		.amdhsa_system_sgpr_workgroup_info 0
		.amdhsa_system_vgpr_workitem_id 0
		.amdhsa_next_free_vgpr 56
		.amdhsa_next_free_sgpr 48
		.amdhsa_accum_offset 56
		.amdhsa_reserve_vcc 1
		.amdhsa_reserve_flat_scratch 0
		.amdhsa_float_round_mode_32 0
		.amdhsa_float_round_mode_16_64 0
		.amdhsa_float_denorm_mode_32 3
		.amdhsa_float_denorm_mode_16_64 3
		.amdhsa_dx10_clamp 1
		.amdhsa_ieee_mode 1
		.amdhsa_fp16_overflow 0
		.amdhsa_tg_split 0
		.amdhsa_exception_fp_ieee_invalid_op 0
		.amdhsa_exception_fp_denorm_src 0
		.amdhsa_exception_fp_ieee_div_zero 0
		.amdhsa_exception_fp_ieee_overflow 0
		.amdhsa_exception_fp_ieee_underflow 0
		.amdhsa_exception_fp_ieee_inexact 0
		.amdhsa_exception_int_div_zero 0
	.end_amdhsa_kernel
	.section	.text._ZL31rocblas_trsm_small_right_deviceI19rocblas_complex_numIfES1_PKS1_PS1_Li28EEv13rocblas_fill_18rocblas_operation_17rocblas_diagonal_iiT0_T1_lilT2_lili,"axG",@progbits,_ZL31rocblas_trsm_small_right_deviceI19rocblas_complex_numIfES1_PKS1_PS1_Li28EEv13rocblas_fill_18rocblas_operation_17rocblas_diagonal_iiT0_T1_lilT2_lili,comdat
.Lfunc_end167:
	.size	_ZL31rocblas_trsm_small_right_deviceI19rocblas_complex_numIfES1_PKS1_PS1_Li28EEv13rocblas_fill_18rocblas_operation_17rocblas_diagonal_iiT0_T1_lilT2_lili, .Lfunc_end167-_ZL31rocblas_trsm_small_right_deviceI19rocblas_complex_numIfES1_PKS1_PS1_Li28EEv13rocblas_fill_18rocblas_operation_17rocblas_diagonal_iiT0_T1_lilT2_lili
                                        ; -- End function
	.section	.AMDGPU.csdata,"",@progbits
; Kernel info:
; codeLenInByte = 15840
; NumSgprs: 52
; NumVgprs: 56
; NumAgprs: 0
; TotalNumVgprs: 56
; ScratchSize: 0
; MemoryBound: 0
; FloatMode: 240
; IeeeMode: 1
; LDSByteSize: 12544 bytes/workgroup (compile time only)
; SGPRBlocks: 6
; VGPRBlocks: 6
; NumSGPRsForWavesPerEU: 52
; NumVGPRsForWavesPerEU: 56
; AccumOffset: 56
; Occupancy: 2
; WaveLimiterHint : 0
; COMPUTE_PGM_RSRC2:SCRATCH_EN: 0
; COMPUTE_PGM_RSRC2:USER_SGPR: 6
; COMPUTE_PGM_RSRC2:TRAP_HANDLER: 0
; COMPUTE_PGM_RSRC2:TGID_X_EN: 1
; COMPUTE_PGM_RSRC2:TGID_Y_EN: 0
; COMPUTE_PGM_RSRC2:TGID_Z_EN: 1
; COMPUTE_PGM_RSRC2:TIDIG_COMP_CNT: 0
; COMPUTE_PGM_RSRC3_GFX90A:ACCUM_OFFSET: 13
; COMPUTE_PGM_RSRC3_GFX90A:TG_SPLIT: 0
	.section	.text._ZL38rocblas_trsm_small_left_device_sharedBILi32ELi32ELb0E19rocblas_complex_numIfES1_PKS1_PS1_Ev13rocblas_fill_18rocblas_operation_17rocblas_diagonal_iiT3_T4_lilT5_lili,"axG",@progbits,_ZL38rocblas_trsm_small_left_device_sharedBILi32ELi32ELb0E19rocblas_complex_numIfES1_PKS1_PS1_Ev13rocblas_fill_18rocblas_operation_17rocblas_diagonal_iiT3_T4_lilT5_lili,comdat
	.globl	_ZL38rocblas_trsm_small_left_device_sharedBILi32ELi32ELb0E19rocblas_complex_numIfES1_PKS1_PS1_Ev13rocblas_fill_18rocblas_operation_17rocblas_diagonal_iiT3_T4_lilT5_lili ; -- Begin function _ZL38rocblas_trsm_small_left_device_sharedBILi32ELi32ELb0E19rocblas_complex_numIfES1_PKS1_PS1_Ev13rocblas_fill_18rocblas_operation_17rocblas_diagonal_iiT3_T4_lilT5_lili
	.p2align	8
	.type	_ZL38rocblas_trsm_small_left_device_sharedBILi32ELi32ELb0E19rocblas_complex_numIfES1_PKS1_PS1_Ev13rocblas_fill_18rocblas_operation_17rocblas_diagonal_iiT3_T4_lilT5_lili,@function
_ZL38rocblas_trsm_small_left_device_sharedBILi32ELi32ELb0E19rocblas_complex_numIfES1_PKS1_PS1_Ev13rocblas_fill_18rocblas_operation_17rocblas_diagonal_iiT3_T4_lilT5_lili: ; @_ZL38rocblas_trsm_small_left_device_sharedBILi32ELi32ELb0E19rocblas_complex_numIfES1_PKS1_PS1_Ev13rocblas_fill_18rocblas_operation_17rocblas_diagonal_iiT3_T4_lilT5_lili
; %bb.0:
	s_add_u32 s0, s0, s10
	s_load_dwordx4 s[20:23], s[4:5], 0x4
	s_load_dwordx2 s[30:31], s[4:5], 0x14
	s_load_dwordx4 s[16:19], s[4:5], 0x38
	s_load_dwordx2 s[24:25], s[4:5], 0x48
	s_load_dword s42, s[4:5], 0x68
	s_addc_u32 s1, s1, 0
	s_waitcnt lgkmcnt(0)
	s_min_i32 s33, s22, 32
	s_mov_b32 s43, 0
	s_add_i32 s52, s33, -1
	v_cmp_gt_i32_e32 vcc, s33, v0
	s_and_saveexec_b64 s[26:27], vcc
	s_cbranch_execz .LBB168_35
; %bb.1:
	s_load_dword s28, s[4:5], 0x30
	s_load_dwordx4 s[12:15], s[4:5], 0x20
	s_mul_i32 s6, s9, s17
	s_mul_hi_u32 s7, s9, s16
	s_mul_i32 s16, s9, s16
	s_waitcnt lgkmcnt(0)
	s_ashr_i32 s29, s28, 31
	s_cmpk_lg_i32 s20, 0x71
	s_cselect_b64 s[34:35], -1, 0
	s_add_i32 s17, s7, s6
	v_cndmask_b32_e64 v1, 0, 1, s[34:35]
	s_cmp_lt_u32 s52, 3
	v_cmp_ne_u32_e64 s[6:7], 1, v1
	s_cbranch_scc1 .LBB168_20
; %bb.2:
	s_lshl_b64 s[10:11], s[16:17], 3
	s_add_u32 s36, s12, s10
	s_addc_u32 s37, s13, s11
	s_lshl_b64 s[10:11], s[14:15], 3
	s_add_u32 s10, s36, s10
	s_addc_u32 s11, s37, s11
	v_lshlrev_b32_e32 v1, 3, v0
	v_mov_b32_e32 v3, s11
	v_add_co_u32_e32 v2, vcc, s10, v1
	s_mul_hi_i32 s10, s28, 24
	s_lshl_b64 s[36:37], s[28:29], 5
	s_lshl_b64 s[38:39], s[28:29], 4
	;; [unrolled: 1-line block ×3, first 2 shown]
	v_addc_co_u32_e32 v3, vcc, 0, v3, vcc
	s_and_b32 s43, s33, -4
	s_mul_i32 s44, s28, 24
	s_mov_b32 s45, 0
	v_mov_b32_e32 v8, s41
	v_mov_b32_e32 v9, s39
	;; [unrolled: 1-line block ×4, first 2 shown]
	s_branch .LBB168_4
.LBB168_3:                              ;   in Loop: Header=BB168_4 Depth=1
	global_load_dword v4, v[6:7], off
	s_add_i32 s45, s45, 4
	v_add_co_u32_e32 v2, vcc, s36, v2
	v_addc_co_u32_e32 v3, vcc, v3, v11, vcc
	s_cmp_eq_u32 s43, s45
	s_waitcnt vmcnt(0)
	ds_write_b64 v1, v[4:5] offset:768
	v_add_u32_e32 v1, 0x400, v1
	s_cbranch_scc1 .LBB168_20
.LBB168_4:                              ; =>This Inner Loop Header: Depth=1
	s_and_b64 vcc, exec, s[34:35]
	s_cbranch_vccz .LBB168_6
; %bb.5:                                ;   in Loop: Header=BB168_4 Depth=1
	global_load_dword v5, v[2:3], off offset:4
	s_cbranch_execz .LBB168_7
	s_branch .LBB168_8
.LBB168_6:                              ;   in Loop: Header=BB168_4 Depth=1
                                        ; implicit-def: $vgpr5
.LBB168_7:                              ;   in Loop: Header=BB168_4 Depth=1
	global_load_dword v4, v[2:3], off offset:4
	s_waitcnt vmcnt(0)
	v_xor_b32_e32 v5, 0x80000000, v4
.LBB168_8:                              ;   in Loop: Header=BB168_4 Depth=1
	global_load_dword v4, v[2:3], off
	v_add_co_u32_e64 v6, s[10:11], s40, v2
	s_and_b64 vcc, exec, s[6:7]
	v_addc_co_u32_e64 v7, s[10:11], v3, v8, s[10:11]
	s_waitcnt vmcnt(0)
	ds_write_b64 v1, v[4:5]
	s_cbranch_vccnz .LBB168_10
; %bb.9:                                ;   in Loop: Header=BB168_4 Depth=1
	global_load_dword v5, v[6:7], off offset:4
	s_cbranch_execz .LBB168_11
	s_branch .LBB168_12
.LBB168_10:                             ;   in Loop: Header=BB168_4 Depth=1
                                        ; implicit-def: $vgpr5
.LBB168_11:                             ;   in Loop: Header=BB168_4 Depth=1
	global_load_dword v4, v[6:7], off offset:4
	s_waitcnt vmcnt(0)
	v_xor_b32_e32 v5, 0x80000000, v4
.LBB168_12:                             ;   in Loop: Header=BB168_4 Depth=1
	global_load_dword v4, v[6:7], off
	v_add_co_u32_e64 v6, s[10:11], s38, v2
	s_and_b64 vcc, exec, s[6:7]
	v_addc_co_u32_e64 v7, s[10:11], v3, v9, s[10:11]
	s_waitcnt vmcnt(0)
	ds_write_b64 v1, v[4:5] offset:256
	s_cbranch_vccnz .LBB168_14
; %bb.13:                               ;   in Loop: Header=BB168_4 Depth=1
	global_load_dword v5, v[6:7], off offset:4
	s_cbranch_execz .LBB168_15
	s_branch .LBB168_16
.LBB168_14:                             ;   in Loop: Header=BB168_4 Depth=1
                                        ; implicit-def: $vgpr5
.LBB168_15:                             ;   in Loop: Header=BB168_4 Depth=1
	global_load_dword v4, v[6:7], off offset:4
	s_waitcnt vmcnt(0)
	v_xor_b32_e32 v5, 0x80000000, v4
.LBB168_16:                             ;   in Loop: Header=BB168_4 Depth=1
	global_load_dword v4, v[6:7], off
	v_add_co_u32_e64 v6, s[10:11], s44, v2
	s_and_b64 vcc, exec, s[6:7]
	v_addc_co_u32_e64 v7, s[10:11], v3, v10, s[10:11]
	s_waitcnt vmcnt(0)
	ds_write_b64 v1, v[4:5] offset:512
	s_cbranch_vccnz .LBB168_18
; %bb.17:                               ;   in Loop: Header=BB168_4 Depth=1
	global_load_dword v5, v[6:7], off offset:4
	s_cbranch_execnz .LBB168_3
	s_branch .LBB168_19
.LBB168_18:                             ;   in Loop: Header=BB168_4 Depth=1
                                        ; implicit-def: $vgpr5
.LBB168_19:                             ;   in Loop: Header=BB168_4 Depth=1
	global_load_dword v4, v[6:7], off offset:4
	s_waitcnt vmcnt(0)
	v_xor_b32_e32 v5, 0x80000000, v4
	s_branch .LBB168_3
.LBB168_20:
	s_and_b32 s34, s33, 3
	s_cmp_eq_u32 s34, 0
	s_cbranch_scc1 .LBB168_27
; %bb.21:
	s_lshl_b64 s[10:11], s[16:17], 3
	s_mul_i32 s16, s29, s43
	s_mul_hi_u32 s17, s28, s43
	s_add_i32 s17, s17, s16
	s_mul_i32 s16, s28, s43
	s_lshl_b64 s[16:17], s[16:17], 3
	s_add_u32 s16, s10, s16
	s_addc_u32 s17, s11, s17
	s_lshl_b64 s[10:11], s[14:15], 3
	s_add_u32 s10, s16, s10
	s_addc_u32 s11, s17, s11
	s_add_u32 s10, s12, s10
	v_lshlrev_b32_e32 v2, 3, v0
	s_addc_u32 s11, s13, s11
	v_lshl_or_b32 v1, s43, 8, v2
	v_mov_b32_e32 v3, s11
	v_add_co_u32_e32 v2, vcc, s10, v2
	v_addc_co_u32_e32 v3, vcc, 0, v3, vcc
	v_add_co_u32_e32 v2, vcc, 4, v2
	s_lshl_b64 s[10:11], s[28:29], 3
	v_addc_co_u32_e32 v3, vcc, 0, v3, vcc
	v_mov_b32_e32 v6, s11
	s_branch .LBB168_23
.LBB168_22:                             ;   in Loop: Header=BB168_23 Depth=1
	global_load_dword v4, v[2:3], off offset:-4
	s_add_i32 s34, s34, -1
	v_add_co_u32_e32 v2, vcc, s10, v2
	s_cmp_lg_u32 s34, 0
	v_addc_co_u32_e32 v3, vcc, v3, v6, vcc
	s_waitcnt vmcnt(0)
	ds_write_b64 v1, v[4:5]
	v_add_u32_e32 v1, 0x100, v1
	s_cbranch_scc0 .LBB168_27
.LBB168_23:                             ; =>This Inner Loop Header: Depth=1
	s_and_b64 vcc, exec, s[6:7]
	s_cbranch_vccnz .LBB168_25
; %bb.24:                               ;   in Loop: Header=BB168_23 Depth=1
	global_load_dword v5, v[2:3], off
	s_cbranch_execnz .LBB168_22
	s_branch .LBB168_26
.LBB168_25:                             ;   in Loop: Header=BB168_23 Depth=1
                                        ; implicit-def: $vgpr5
.LBB168_26:                             ;   in Loop: Header=BB168_23 Depth=1
	global_load_dword v4, v[2:3], off
	s_waitcnt vmcnt(0)
	v_xor_b32_e32 v5, 0x80000000, v4
	s_branch .LBB168_22
.LBB168_27:
	v_mul_u32_u24_e32 v1, 33, v0
	s_cmpk_lg_i32 s21, 0x84
	v_lshlrev_b32_e32 v1, 3, v1
	s_mov_b64 s[6:7], -1
	s_cbranch_scc0 .LBB168_33
; %bb.28:
	ds_read_b64 v[2:3], v1
	s_mov_b32 s6, 0
	s_waitcnt lgkmcnt(0)
	v_cmp_gt_f32_e32 vcc, 0, v3
	v_cndmask_b32_e64 v4, v3, -v3, vcc
	v_cmp_gt_f32_e32 vcc, 0, v2
	v_cndmask_b32_e64 v5, v2, -v2, vcc
	v_cmp_ngt_f32_e32 vcc, v5, v4
                                        ; implicit-def: $vgpr4_vgpr5
	s_and_saveexec_b64 s[10:11], vcc
	s_xor_b64 s[10:11], exec, s[10:11]
	s_cbranch_execz .LBB168_30
; %bb.29:
	v_div_scale_f32 v4, s[12:13], v3, v3, v2
	v_rcp_f32_e32 v5, v4
	v_div_scale_f32 v6, vcc, v2, v3, v2
	s_mov_b32 s7, -1.0
	v_fma_f32 v7, -v4, v5, 1.0
	v_fmac_f32_e32 v5, v7, v5
	v_mul_f32_e32 v7, v6, v5
	v_fma_f32 v8, -v4, v7, v6
	v_fmac_f32_e32 v7, v8, v5
	v_fma_f32 v4, -v4, v7, v6
	v_div_fmas_f32 v4, v4, v5, v7
	v_div_fixup_f32 v4, v4, v3, v2
	v_fmac_f32_e32 v3, v2, v4
	v_div_scale_f32 v2, s[12:13], v3, v3, 1.0
	v_rcp_f32_e32 v5, v2
	v_fma_f32 v6, -v2, v5, 1.0
	v_fmac_f32_e32 v5, v6, v5
	v_div_scale_f32 v6, vcc, 1.0, v3, 1.0
	v_mul_f32_e32 v7, v6, v5
	v_fma_f32 v8, -v2, v7, v6
	v_fmac_f32_e32 v7, v8, v5
	v_fma_f32 v2, -v2, v7, v6
	v_div_fmas_f32 v2, v2, v5, v7
	v_mul_f32_e32 v5, 0, v4
	v_div_fixup_f32 v2, v2, v3, 1.0
	v_pk_add_f32 v[4:5], v[4:5], s[6:7]
	v_pk_mul_f32 v[4:5], v[4:5], v[2:3] op_sel_hi:[1,0]
                                        ; implicit-def: $vgpr2_vgpr3
.LBB168_30:
	s_andn2_saveexec_b64 s[6:7], s[10:11]
	s_cbranch_execz .LBB168_32
; %bb.31:
	v_div_scale_f32 v4, s[10:11], v2, v2, v3
	v_rcp_f32_e32 v5, v4
	v_div_scale_f32 v6, vcc, v3, v2, v3
	v_fma_f32 v7, -v4, v5, 1.0
	v_fmac_f32_e32 v5, v7, v5
	v_mul_f32_e32 v7, v6, v5
	v_fma_f32 v8, -v4, v7, v6
	v_fmac_f32_e32 v7, v8, v5
	v_fma_f32 v4, -v4, v7, v6
	v_div_fmas_f32 v4, v4, v5, v7
	v_div_fixup_f32 v5, v4, v2, v3
	v_fmac_f32_e32 v2, v3, v5
	v_div_scale_f32 v3, s[10:11], v2, v2, 1.0
	v_rcp_f32_e32 v4, v3
	s_mov_b32 s10, 1.0
	s_mov_b32 s11, 0
	v_fma_f32 v6, -v3, v4, 1.0
	v_fmac_f32_e32 v4, v6, v4
	v_div_scale_f32 v6, vcc, 1.0, v2, 1.0
	v_mul_f32_e32 v7, v6, v4
	v_fma_f32 v8, -v3, v7, v6
	v_fmac_f32_e32 v7, v8, v4
	v_fma_f32 v3, -v3, v7, v6
	v_div_fmas_f32 v3, v3, v4, v7
	v_mul_f32_e32 v4, 0, v5
	v_pk_add_f32 v[6:7], v[4:5], s[10:11]
	v_pk_add_f32 v[4:5], v[4:5], s[10:11] neg_lo:[1,0] neg_hi:[1,0]
	v_div_fixup_f32 v2, v3, v2, 1.0
	v_mov_b32_e32 v7, v5
	v_pk_mul_f32 v[4:5], v[6:7], v[2:3] op_sel_hi:[1,0]
.LBB168_32:
	s_or_b64 exec, exec, s[6:7]
	s_mov_b64 s[6:7], 0
	ds_write_b64 v1, v[4:5]
.LBB168_33:
	s_and_b64 vcc, exec, s[6:7]
	s_cbranch_vccz .LBB168_35
; %bb.34:
	v_mov_b32_e32 v2, 1.0
	v_mov_b32_e32 v3, 0
	ds_write_b64 v1, v[2:3]
.LBB168_35:
	s_or_b64 exec, exec, s[26:27]
	s_load_dword s21, s[4:5], 0x50
	s_load_dwordx2 s[6:7], s[4:5], 0x58
	s_waitcnt lgkmcnt(0)
	s_ashr_i32 s53, s21, 31
	s_mul_i32 s5, s9, s7
	s_mul_hi_u32 s7, s9, s6
	s_mul_i32 s4, s9, s6
	s_add_i32 s5, s7, s5
	s_lshl_b64 s[16:17], s[4:5], 3
	s_add_u32 s4, s18, s16
	s_addc_u32 s5, s19, s17
	s_lshl_b64 s[24:25], s[24:25], 3
	s_add_u32 s6, s4, s24
	s_addc_u32 s7, s5, s25
	s_lshl_b32 s26, s8, 5
	s_add_i32 s42, s42, -1
	s_sub_i32 s4, s23, s26
	s_cmp_ge_u32 s8, s42
	s_cselect_b32 s8, s4, 32
	s_mul_hi_i32 s5, s21, s26
	s_mul_i32 s4, s21, s26
	s_ashr_i32 s27, s26, 31
	s_lshl_b64 s[4:5], s[4:5], 3
	s_add_u32 s23, s6, s4
	s_addc_u32 s54, s7, s5
	s_cmp_gt_i32 s22, 0
	v_cmp_gt_i32_e32 vcc, s8, v0
	s_cselect_b64 s[4:5], -1, 0
	s_mov_b32 s6, 0
	s_and_b64 s[28:29], vcc, s[4:5]
	s_and_saveexec_b64 s[34:35], s[28:29]
	s_cbranch_execz .LBB168_48
; %bb.36:
	s_cmp_lt_i32 s22, 2
	s_mov_b64 s[4:5], -1
	s_cbranch_scc1 .LBB168_45
; %bb.37:
	v_mad_i64_i32 v[2:3], s[4:5], s21, v0, 0
	s_add_i32 s5, s33, -2
	v_lshlrev_b64 v[2:3], 3, v[2:3]
	s_lshr_b32 s55, s5, 1
	v_mov_b32_e32 v4, s54
	v_add_co_u32_e32 v1, vcc, s23, v2
	s_mov_b32 s40, 1
	s_add_i32 s55, s55, 1
	s_mov_b32 s43, 0
	v_addc_co_u32_e32 v2, vcc, v4, v3, vcc
	s_mov_b32 s36, s30
	s_mov_b32 s37, s30
	;; [unrolled: 1-line block ×5, first 2 shown]
	s_cmp_lt_u32 s5, 6
	s_mov_b32 s5, s40
	s_cbranch_scc1 .LBB168_41
; %bb.38:
	s_and_b32 s56, s55, -4
	v_lshlrev_b32_e32 v3, 3, v0
	s_mov_b32 s42, s43
.LBB168_39:                             ; =>This Inner Loop Header: Depth=1
	s_lshl_b64 s[4:5], s[42:43], 3
	s_mov_b32 s41, s43
	s_add_i32 s44, s40, 2
	s_add_i32 s46, s42, 2
	s_mov_b32 s47, s43
	s_mov_b32 s45, s43
	s_add_i32 s48, s40, 4
	s_add_i32 s50, s42, 4
	s_mov_b32 s51, s43
	;; [unrolled: 4-line block ×3, first 2 shown]
	s_mov_b32 s59, s43
	v_mov_b32_e32 v5, s5
	v_add_co_u32_e32 v4, vcc, s4, v1
	s_lshl_b64 s[14:15], s[40:41], 3
	s_lshl_b64 s[6:7], s[46:47], 3
	;; [unrolled: 1-line block ×7, first 2 shown]
	v_addc_co_u32_e32 v5, vcc, v2, v5, vcc
	v_mov_b32_e32 v7, s15
	v_mov_b32_e32 v9, s7
	v_add_co_u32_e32 v6, vcc, s6, v1
	v_mov_b32_e32 v11, s9
	v_add_co_u32_e64 v8, s[4:5], s8, v1
	v_mov_b32_e32 v13, s11
	v_add_co_u32_e64 v10, s[6:7], s10, v1
	;; [unrolled: 2-line block ×5, first 2 shown]
	v_add_co_u32_e64 v18, s[14:15], s14, v1
	v_addc_co_u32_e64 v19, s[14:15], v2, v7, s[14:15]
	v_addc_co_u32_e32 v7, vcc, v2, v9, vcc
	v_addc_co_u32_e64 v9, vcc, v2, v11, s[4:5]
	v_addc_co_u32_e64 v11, vcc, v2, v13, s[6:7]
	;; [unrolled: 1-line block ×5, first 2 shown]
	global_load_dwordx2 v[20:21], v[4:5], off
	global_load_dwordx2 v[22:23], v[18:19], off
	;; [unrolled: 1-line block ×8, first 2 shown]
	v_lshl_or_b32 v36, s42, 8, v3
	v_lshl_or_b32 v37, s40, 8, v3
	s_add_i32 s42, s42, 8
	s_add_i32 s56, s56, -4
	s_add_i32 s40, s40, 8
	s_cmp_lg_u32 s56, 0
	v_lshl_or_b32 v38, s46, 8, v3
	v_lshl_or_b32 v39, s44, 8, v3
	;; [unrolled: 1-line block ×6, first 2 shown]
	s_waitcnt vmcnt(7)
	v_mov_b32_e32 v4, v20
	s_waitcnt vmcnt(6)
	v_mov_b32_e32 v5, v22
	v_mov_b32_e32 v22, v21
	s_waitcnt vmcnt(4)
	v_mov_b32_e32 v7, v26
	;; [unrolled: 3-line block ×4, first 2 shown]
	v_mov_b32_e32 v34, v33
	v_pk_mul_f32 v[12:13], s[38:39], v[22:23]
	v_pk_mul_f32 v[14:15], s[36:37], v[22:23]
	v_mov_b32_e32 v6, v24
	v_mov_b32_e32 v8, v28
	;; [unrolled: 1-line block ×3, first 2 shown]
	v_pk_mul_f32 v[16:17], s[38:39], v[26:27]
	v_pk_mul_f32 v[18:19], s[36:37], v[26:27]
	;; [unrolled: 1-line block ×6, first 2 shown]
	v_pk_fma_f32 v[12:13], s[36:37], v[4:5], v[12:13] neg_lo:[0,0,1] neg_hi:[0,0,1]
	v_pk_fma_f32 v[4:5], s[38:39], v[4:5], v[14:15]
	v_pk_fma_f32 v[14:15], s[36:37], v[6:7], v[16:17] neg_lo:[0,0,1] neg_hi:[0,0,1]
	v_pk_fma_f32 v[6:7], s[38:39], v[6:7], v[18:19]
	;; [unrolled: 2-line block ×4, first 2 shown]
	v_mov_b32_e32 v20, v12
	v_mov_b32_e32 v21, v4
	;; [unrolled: 1-line block ×12, first 2 shown]
	ds_write_b64 v36, v[20:21] offset:8192
	ds_write_b64 v37, v[4:5] offset:8192
	;; [unrolled: 1-line block ×8, first 2 shown]
	s_cbranch_scc1 .LBB168_39
; %bb.40:
	s_mov_b32 s43, s40
	s_mov_b64 s[4:5], s[42:43]
.LBB168_41:
	s_and_b32 s6, s55, 3
	s_cmp_eq_u32 s6, 0
	s_mov_b32 s7, 0
	s_cbranch_scc1 .LBB168_44
; %bb.42:
	s_sub_i32 s6, 0, s6
	v_mov_b32_e32 v3, s6
	v_lshlrev_b32_e32 v4, 3, v0
.LBB168_43:                             ; =>This Inner Loop Header: Depth=1
	s_mov_b32 s6, s4
	s_lshl_b64 s[8:9], s[6:7], 3
	s_mov_b32 s6, s5
	v_mov_b32_e32 v5, s9
	v_add_co_u32_e32 v6, vcc, s8, v1
	s_lshl_b64 s[10:11], s[6:7], 3
	v_addc_co_u32_e32 v7, vcc, v2, v5, vcc
	v_mov_b32_e32 v5, s11
	v_add_co_u32_e32 v8, vcc, s10, v1
	v_addc_co_u32_e32 v9, vcc, v2, v5, vcc
	global_load_dwordx2 v[10:11], v[6:7], off
	global_load_dwordx2 v[12:13], v[8:9], off
	v_add_co_u32_e32 v3, vcc, 1, v3
	v_lshl_or_b32 v5, s4, 8, v4
	v_lshl_or_b32 v14, s5, 8, v4
	s_add_i32 s4, s4, 2
	s_add_i32 s5, s5, 2
	s_andn2_b64 vcc, exec, vcc
	s_waitcnt vmcnt(1)
	v_mov_b32_e32 v6, v10
	s_waitcnt vmcnt(0)
	v_mov_b32_e32 v7, v12
	v_mov_b32_e32 v12, v11
	v_pk_mul_f32 v[8:9], s[38:39], v[12:13]
	v_pk_mul_f32 v[10:11], s[36:37], v[12:13]
	v_pk_fma_f32 v[8:9], s[36:37], v[6:7], v[8:9] neg_lo:[0,0,1] neg_hi:[0,0,1]
	v_pk_fma_f32 v[6:7], s[38:39], v[6:7], v[10:11]
	v_mov_b32_e32 v10, v8
	v_mov_b32_e32 v11, v6
	;; [unrolled: 1-line block ×3, first 2 shown]
	ds_write_b64 v5, v[10:11] offset:8192
	ds_write_b64 v14, v[6:7] offset:8192
	s_cbranch_vccnz .LBB168_43
.LBB168_44:
	s_and_b32 s6, s33, 62
	s_cmp_lg_u32 s33, s6
	s_cselect_b64 s[4:5], -1, 0
.LBB168_45:
	s_and_b64 vcc, exec, s[4:5]
	s_cbranch_vccz .LBB168_48
; %bb.46:
	s_sub_i32 s4, s33, s6
	s_lshl_b64 s[8:9], s[26:27], 3
	s_lshl_b32 s5, s6, 3
	v_lshlrev_b32_e32 v2, 3, v0
	s_add_u32 s5, s18, s5
	v_lshl_or_b32 v1, s6, 8, v2
	s_addc_u32 s6, s19, 0
	s_add_u32 s5, s5, s24
	s_addc_u32 s7, s6, s25
	s_add_u32 s6, s5, s16
	v_mov_b32_e32 v3, s9
	v_add_co_u32_e32 v4, vcc, s8, v2
	s_addc_u32 s7, s7, s17
	v_addc_co_u32_e32 v5, vcc, 0, v3, vcc
	v_pk_mov_b32 v[2:3], s[6:7], s[6:7] op_sel:[0,1]
	v_mad_u64_u32 v[2:3], s[6:7], v4, s21, v[2:3]
	v_mul_lo_u32 v4, v4, s53
	v_mul_lo_u32 v5, v5, s21
	v_add3_u32 v3, v5, v3, v4
	v_add_co_u32_e32 v2, vcc, 4, v2
	v_add_u32_e32 v1, 0x2000, v1
	v_addc_co_u32_e32 v3, vcc, 0, v3, vcc
.LBB168_47:                             ; =>This Inner Loop Header: Depth=1
	global_load_dwordx2 v[4:5], v[2:3], off offset:-4
	s_add_i32 s4, s4, -1
	v_add_co_u32_e32 v2, vcc, 8, v2
	v_addc_co_u32_e32 v3, vcc, 0, v3, vcc
	s_cmp_lg_u32 s4, 0
	s_waitcnt vmcnt(0)
	v_mul_f32_e32 v6, s31, v5
	v_mul_f32_e32 v7, s30, v5
	v_fma_f32 v6, s30, v4, -v6
	v_fmac_f32_e32 v7, s31, v4
	ds_write_b64 v1, v[6:7]
	v_add_u32_e32 v1, 0x100, v1
	s_cbranch_scc1 .LBB168_47
.LBB168_48:
	s_or_b64 exec, exec, s[34:35]
	s_cmpk_eq_i32 s20, 0x6f
	s_mov_b64 s[4:5], -1
	s_waitcnt lgkmcnt(0)
	; wave barrier
	s_waitcnt lgkmcnt(0)
	s_cbranch_scc1 .LBB168_77
; %bb.49:
	v_mov_b32_e32 v1, 0x2000
	s_mov_b32 s5, 0
	v_lshl_or_b32 v1, v0, 3, v1
	v_lshlrev_b32_e32 v10, 3, v0
	v_mov_b32_e32 v11, 0
	s_mov_b32 s4, s5
	s_mov_b32 s14, s5
	s_branch .LBB168_51
.LBB168_50:                             ;   in Loop: Header=BB168_51 Depth=1
	s_cmp_ge_i32 s14, s33
	s_cselect_b64 s[6:7], -1, 0
	s_add_i32 s4, s4, 1
	s_cmp_eq_u32 s4, 3
	s_cselect_b64 s[8:9], -1, 0
	s_or_b64 s[6:7], s[6:7], s[8:9]
	s_andn2_b64 vcc, exec, s[6:7]
	s_cbranch_vccz .LBB168_76
.LBB168_51:                             ; =>This Loop Header: Depth=1
                                        ;     Child Loop BB168_54 Depth 2
                                        ;       Child Loop BB168_55 Depth 3
                                        ;       Child Loop BB168_59 Depth 3
                                        ;         Child Loop BB168_61 Depth 4
                                        ;         Child Loop BB168_67 Depth 4
                                        ;       Child Loop BB168_70 Depth 3
                                        ;         Child Loop BB168_72 Depth 4
	s_lshl_b64 s[6:7], s[4:5], 2
	s_getpc_b64 s[8:9]
	s_add_u32 s8, s8, __const._ZL38rocblas_trsm_small_left_device_sharedBILi32ELi32ELb0E19rocblas_complex_numIfES1_PKS1_PS1_Ev13rocblas_fill_18rocblas_operation_17rocblas_diagonal_iiT3_T4_lilT5_lili.step_sizes@rel32@lo+4
	s_addc_u32 s9, s9, __const._ZL38rocblas_trsm_small_left_device_sharedBILi32ELi32ELb0E19rocblas_complex_numIfES1_PKS1_PS1_Ev13rocblas_fill_18rocblas_operation_17rocblas_diagonal_iiT3_T4_lilT5_lili.step_sizes@rel32@hi+12
	s_add_u32 s6, s6, s8
	s_addc_u32 s7, s7, s9
	s_load_dword s15, s[6:7], 0x0
	s_waitcnt lgkmcnt(0)
	s_add_i32 s20, s15, -1
	s_add_i32 s6, s20, s14
	s_cmp_ge_i32 s6, s33
	s_cbranch_scc1 .LBB168_50
; %bb.52:                               ;   in Loop: Header=BB168_51 Depth=1
	s_max_i32 s30, s15, 1
	s_cmp_lg_u32 s4, 2
	s_cselect_b64 s[6:7], -1, 0
	s_and_b32 s31, s30, 0x7ffffffe
	s_cmp_lg_u32 s30, s31
	s_cselect_b64 s[8:9], -1, 0
	v_lshl_add_u32 v12, s14, 8, v1
	s_lshl_b32 s34, s15, 8
	s_mul_i32 s35, s14, 0x108
	s_mul_i32 s36, s15, 0x108
	s_branch .LBB168_54
.LBB168_53:                             ;   in Loop: Header=BB168_54 Depth=2
	s_add_i32 s14, s14, s15
	s_add_i32 s10, s20, s14
	;; [unrolled: 1-line block ×3, first 2 shown]
	s_cmp_ge_i32 s10, s33
	v_add_u32_e32 v12, s34, v12
	s_cbranch_scc1 .LBB168_50
.LBB168_54:                             ;   Parent Loop BB168_51 Depth=1
                                        ; =>  This Loop Header: Depth=2
                                        ;       Child Loop BB168_55 Depth 3
                                        ;       Child Loop BB168_59 Depth 3
                                        ;         Child Loop BB168_61 Depth 4
                                        ;         Child Loop BB168_67 Depth 4
                                        ;       Child Loop BB168_70 Depth 3
                                        ;         Child Loop BB168_72 Depth 4
	v_mov_b32_e32 v2, 0
	v_mov_b32_e32 v3, v12
	s_mov_b32 s10, s30
.LBB168_55:                             ;   Parent Loop BB168_51 Depth=1
                                        ;     Parent Loop BB168_54 Depth=2
                                        ; =>    This Inner Loop Header: Depth=3
	ds_read_b64 v[4:5], v3
	s_add_i32 s10, s10, -1
	v_add_u32_e32 v3, 0x100, v3
	s_cmp_eq_u32 s10, 0
	s_waitcnt lgkmcnt(0)
	buffer_store_dword v5, v2, s[0:3], 0 offen offset:4
	buffer_store_dword v4, v2, s[0:3], 0 offen
	v_add_u32_e32 v2, 8, v2
	s_cbranch_scc0 .LBB168_55
; %bb.56:                               ;   in Loop: Header=BB168_54 Depth=2
	s_cmp_lt_i32 s14, 1
	s_cbranch_scc1 .LBB168_68
; %bb.57:                               ;   in Loop: Header=BB168_54 Depth=2
	s_mov_b32 s37, s14
	s_mov_b32 s38, 0
	;; [unrolled: 1-line block ×3, first 2 shown]
	s_branch .LBB168_59
.LBB168_58:                             ;   in Loop: Header=BB168_59 Depth=3
	s_add_i32 s39, s39, 1
	s_add_i32 s38, s38, 8
	s_cmp_ge_i32 s39, s14
	s_cbranch_scc1 .LBB168_68
.LBB168_59:                             ;   Parent Loop BB168_51 Depth=1
                                        ;     Parent Loop BB168_54 Depth=2
                                        ; =>    This Loop Header: Depth=3
                                        ;         Child Loop BB168_61 Depth 4
                                        ;         Child Loop BB168_67 Depth 4
	s_waitcnt lgkmcnt(0)
	v_lshl_or_b32 v2, s39, 8, v10
	ds_read_b64 v[2:3], v2 offset:8192
	s_and_b64 vcc, exec, s[6:7]
	s_cbranch_vccz .LBB168_63
; %bb.60:                               ;   in Loop: Header=BB168_59 Depth=3
	s_mov_b32 s10, s39
	s_waitcnt lgkmcnt(0)
	v_mov_b32_e32 v6, v2
	v_mov_b32_e32 v7, v2
	;; [unrolled: 1-line block ×6, first 2 shown]
	s_mov_b32 s11, 1
	s_mov_b32 s12, 0
	;; [unrolled: 1-line block ×3, first 2 shown]
.LBB168_61:                             ;   Parent Loop BB168_51 Depth=1
                                        ;     Parent Loop BB168_54 Depth=2
                                        ;       Parent Loop BB168_59 Depth=3
                                        ; =>      This Inner Loop Header: Depth=4
	buffer_load_dword v14, v5, s[0:3], 0 offen
	buffer_load_dword v16, v5, s[0:3], 0 offen offset:4
	buffer_load_dword v15, v5, s[0:3], 0 offen offset:8
	;; [unrolled: 1-line block ×3, first 2 shown]
	s_add_i32 s40, s11, s37
	s_add_i32 s41, s12, s14
	s_lshl_b32 s41, s41, 5
	s_lshl_b32 s40, s40, 5
	s_add_i32 s40, s40, s10
	s_add_i32 s41, s41, s39
	s_lshl_b32 s41, s41, 3
	s_lshl_b32 s40, s40, 3
	v_mov_b32_e32 v13, s41
	v_mov_b32_e32 v20, s40
	ds_read_b64 v[18:19], v13
	ds_read_b64 v[20:21], v20
	s_add_i32 s12, s12, 2
	s_add_i32 s11, s11, 2
	s_add_i32 s13, s13, -2
	s_waitcnt lgkmcnt(1)
	v_mov_b32_e32 v22, v18
	s_waitcnt lgkmcnt(0)
	v_mov_b32_e32 v23, v20
	v_mov_b32_e32 v20, v19
	v_pk_mul_f32 v[18:19], v[20:21], v[8:9]
	v_pk_mul_f32 v[20:21], v[20:21], v[6:7]
	v_pk_fma_f32 v[18:19], v[22:23], v[6:7], v[18:19] neg_lo:[0,0,1] neg_hi:[0,0,1]
	v_pk_fma_f32 v[20:21], v[22:23], v[8:9], v[20:21]
	s_cmp_lg_u32 s13, 0
	s_waitcnt vmcnt(1)
	v_pk_add_f32 v[14:15], v[14:15], v[18:19] neg_lo:[0,1] neg_hi:[0,1]
	s_waitcnt vmcnt(0)
	v_pk_add_f32 v[16:17], v[16:17], v[20:21] neg_lo:[0,1] neg_hi:[0,1]
	buffer_store_dword v14, v5, s[0:3], 0 offen
	buffer_store_dword v16, v5, s[0:3], 0 offen offset:4
	buffer_store_dword v15, v5, s[0:3], 0 offen offset:8
	;; [unrolled: 1-line block ×3, first 2 shown]
	v_add_u32_e32 v5, 16, v5
	s_cbranch_scc1 .LBB168_61
; %bb.62:                               ;   in Loop: Header=BB168_59 Depth=3
	s_mov_b64 s[10:11], s[8:9]
	s_mov_b32 s12, s31
	s_branch .LBB168_65
.LBB168_63:                             ;   in Loop: Header=BB168_59 Depth=3
	s_mov_b64 s[10:11], 0
                                        ; implicit-def: $vgpr4_vgpr5
	s_mov_b32 s12, s31
	s_cbranch_execz .LBB168_65
; %bb.64:                               ;   in Loop: Header=BB168_59 Depth=3
	s_waitcnt lgkmcnt(0)
	v_mov_b32_e32 v4, v3
	s_mov_b64 s[10:11], -1
	s_mov_b32 s12, 0
.LBB168_65:                             ;   in Loop: Header=BB168_59 Depth=3
	s_andn2_b64 vcc, exec, s[10:11]
	s_cbranch_vccnz .LBB168_58
; %bb.66:                               ;   in Loop: Header=BB168_59 Depth=3
	s_add_i32 s11, s14, s12
	s_sub_i32 s10, s30, s12
	s_lshl_b32 s11, s11, 8
	s_lshl_b32 s12, s12, 3
	s_waitcnt lgkmcnt(0)
	v_mov_b32_e32 v5, v3
	v_mov_b32_e32 v3, v2
	s_add_i32 s11, s38, s11
	v_add_u32_e32 v6, s12, v11
.LBB168_67:                             ;   Parent Loop BB168_51 Depth=1
                                        ;     Parent Loop BB168_54 Depth=2
                                        ;       Parent Loop BB168_59 Depth=3
                                        ; =>      This Inner Loop Header: Depth=4
	buffer_load_dword v8, v6, s[0:3], 0 offen
	buffer_load_dword v9, v6, s[0:3], 0 offen offset:4
	v_mov_b32_e32 v7, s11
	ds_read_b64 v[14:15], v7
	s_add_i32 s10, s10, -1
	s_addk_i32 s11, 0x100
	s_cmp_eq_u32 s10, 0
	s_waitcnt lgkmcnt(0)
	v_pk_mul_f32 v[16:17], v[14:15], v[4:5]
	v_pk_fma_f32 v[18:19], v[14:15], v[2:3], v[16:17] op_sel:[0,0,1] op_sel_hi:[1,1,0] neg_lo:[0,0,1] neg_hi:[0,0,1]
	v_pk_fma_f32 v[14:15], v[14:15], v[2:3], v[16:17] op_sel:[0,0,1] op_sel_hi:[1,1,0]
	v_mov_b32_e32 v19, v15
	s_waitcnt vmcnt(0)
	v_pk_add_f32 v[8:9], v[8:9], v[18:19] neg_lo:[0,1] neg_hi:[0,1]
	buffer_store_dword v8, v6, s[0:3], 0 offen
	buffer_store_dword v9, v6, s[0:3], 0 offen offset:4
	v_add_u32_e32 v6, 8, v6
	s_cbranch_scc0 .LBB168_67
	s_branch .LBB168_58
.LBB168_68:                             ;   in Loop: Header=BB168_54 Depth=2
	s_lshl_b32 s12, s14, 5
	s_mov_b32 s13, 0
	s_mov_b32 s37, s35
	s_branch .LBB168_70
.LBB168_69:                             ;   in Loop: Header=BB168_70 Depth=3
	s_mul_i32 s10, s39, 0x108
	v_mov_b32_e32 v4, s10
	ds_read_b64 v[4:5], v4
	s_lshl_b32 s10, s13, 3
	s_add_i32 s13, s13, 1
	s_addk_i32 s37, 0x100
	v_add_u32_e32 v8, s10, v11
	s_waitcnt vmcnt(0) lgkmcnt(0)
	v_mul_f32_e32 v6, v5, v3
	v_mul_f32_e32 v7, v4, v3
	v_fma_f32 v6, v4, v2, -v6
	v_fmac_f32_e32 v7, v5, v2
	v_add_lshl_u32 v2, s38, v0, 3
	s_cmp_eq_u32 s13, s30
	buffer_store_dword v6, v8, s[0:3], 0 offen
	buffer_store_dword v7, v8, s[0:3], 0 offen offset:4
	ds_write_b64 v2, v[6:7] offset:8192
	s_cbranch_scc1 .LBB168_53
.LBB168_70:                             ;   Parent Loop BB168_51 Depth=1
                                        ;     Parent Loop BB168_54 Depth=2
                                        ; =>    This Loop Header: Depth=3
                                        ;         Child Loop BB168_72 Depth 4
	s_cmp_lg_u32 s13, 0
	s_cbranch_scc0 .LBB168_74
; %bb.71:                               ;   in Loop: Header=BB168_70 Depth=3
	s_lshl_b32 s10, s13, 3
	v_add_u32_e32 v4, s10, v11
	s_waitcnt lgkmcnt(0)
	buffer_load_dword v2, v4, s[0:3], 0 offen
	buffer_load_dword v3, v4, s[0:3], 0 offen offset:4
	v_mov_b32_e32 v5, 0
	s_mov_b32 s10, 0
	s_mov_b32 s11, s37
.LBB168_72:                             ;   Parent Loop BB168_51 Depth=1
                                        ;     Parent Loop BB168_54 Depth=2
                                        ;       Parent Loop BB168_70 Depth=3
                                        ; =>      This Inner Loop Header: Depth=4
	buffer_load_dword v7, v5, s[0:3], 0 offen offset:4
	buffer_load_dword v6, v5, s[0:3], 0 offen
	v_mov_b32_e32 v8, s11
	ds_read_b64 v[8:9], v8
	s_add_i32 s10, s10, 1
	s_add_i32 s11, s11, 8
	v_add_u32_e32 v5, 8, v5
	s_cmp_ge_u32 s10, s13
	s_waitcnt vmcnt(1)
	v_mov_b32_e32 v14, v7
	s_waitcnt lgkmcnt(0)
	v_pk_mul_f32 v[14:15], v[8:9], v[14:15] op_sel_hi:[1,0]
	s_waitcnt vmcnt(0)
	v_pk_fma_f32 v[16:17], v[8:9], v[6:7], v[14:15] op_sel:[0,0,1] op_sel_hi:[1,1,0] neg_lo:[0,0,1] neg_hi:[0,0,1]
	v_pk_fma_f32 v[6:7], v[8:9], v[6:7], v[14:15] op_sel:[0,0,1] op_sel_hi:[1,0,0]
	v_mov_b32_e32 v17, v7
	v_pk_add_f32 v[2:3], v[2:3], v[16:17] neg_lo:[0,1] neg_hi:[0,1]
	buffer_store_dword v2, v4, s[0:3], 0 offen
	buffer_store_dword v3, v4, s[0:3], 0 offen offset:4
	s_cbranch_scc0 .LBB168_72
; %bb.73:                               ;   in Loop: Header=BB168_70 Depth=3
	s_add_i32 s39, s13, s14
	s_lshl_b32 s38, s39, 5
	s_branch .LBB168_69
.LBB168_74:                             ;   in Loop: Header=BB168_70 Depth=3
                                        ; implicit-def: $vgpr2
                                        ; implicit-def: $sgpr39
                                        ; implicit-def: $sgpr38
	s_cbranch_execz .LBB168_69
; %bb.75:                               ;   in Loop: Header=BB168_70 Depth=3
	s_waitcnt lgkmcnt(0)
	buffer_load_dword v2, off, s[0:3], 0
	buffer_load_dword v3, off, s[0:3], 0 offset:4
	s_mov_b32 s38, s12
	s_mov_b32 s39, s14
	s_branch .LBB168_69
.LBB168_76:
	s_mov_b64 s[4:5], 0
.LBB168_77:
	s_and_b64 vcc, exec, s[4:5]
	s_cbranch_vccz .LBB168_104
; %bb.78:
	v_mov_b32_e32 v1, 0x2000
	s_lshl_b32 s14, s33, 8
	s_mov_b32 s5, 0
	v_lshl_or_b32 v1, v0, 3, v1
	s_addk_i32 s14, 0xff00
	v_mov_b32_e32 v10, 0
	v_lshlrev_b32_e32 v11, 3, v0
	s_mov_b32 s4, s5
	s_mov_b32 s15, s52
	s_branch .LBB168_80
.LBB168_79:                             ;   in Loop: Header=BB168_80 Depth=1
	s_cmp_lt_i32 s15, 0
	s_cselect_b64 s[6:7], -1, 0
	s_add_i32 s4, s4, 1
	s_cmp_eq_u32 s4, 3
	s_cselect_b64 s[8:9], -1, 0
	s_or_b64 s[6:7], s[6:7], s[8:9]
	s_and_b64 vcc, exec, s[6:7]
	s_cbranch_vccnz .LBB168_104
.LBB168_80:                             ; =>This Loop Header: Depth=1
                                        ;     Child Loop BB168_83 Depth 2
                                        ;       Child Loop BB168_84 Depth 3
                                        ;       Child Loop BB168_95 Depth 3
                                        ;         Child Loop BB168_97 Depth 4
                                        ;         Child Loop BB168_103 Depth 4
                                        ;       Child Loop BB168_88 Depth 3
                                        ;         Child Loop BB168_90 Depth 4
	s_lshl_b64 s[6:7], s[4:5], 2
	s_getpc_b64 s[8:9]
	s_add_u32 s8, s8, __const._ZL38rocblas_trsm_small_left_device_sharedBILi32ELi32ELb0E19rocblas_complex_numIfES1_PKS1_PS1_Ev13rocblas_fill_18rocblas_operation_17rocblas_diagonal_iiT3_T4_lilT5_lili.step_sizes@rel32@lo+4
	s_addc_u32 s9, s9, __const._ZL38rocblas_trsm_small_left_device_sharedBILi32ELi32ELb0E19rocblas_complex_numIfES1_PKS1_PS1_Ev13rocblas_fill_18rocblas_operation_17rocblas_diagonal_iiT3_T4_lilT5_lili.step_sizes@rel32@hi+12
	s_add_u32 s6, s6, s8
	s_addc_u32 s7, s7, s9
	s_load_dword s20, s[6:7], 0x0
	s_waitcnt lgkmcnt(0)
	s_add_i32 s30, s20, -1
	s_cmp_lt_i32 s15, s30
	s_cbranch_scc1 .LBB168_79
; %bb.81:                               ;   in Loop: Header=BB168_80 Depth=1
	s_max_i32 s31, s20, 1
	s_cmp_lg_u32 s4, 2
	s_cselect_b64 s[6:7], -1, 0
	s_and_b32 s34, s31, 0x7ffffffe
	s_cmp_lg_u32 s31, s34
	s_cselect_b64 s[8:9], -1, 0
	s_lshl_b32 s10, s20, 8
	s_sub_i32 s35, 0, s10
	s_lshl_b32 s10, s15, 3
	s_add_i32 s36, s14, s10
	s_lshl_b32 s10, s20, 3
	v_lshl_add_u32 v12, s15, 8, v1
	s_sub_i32 s37, 0, s10
	s_mul_i32 s38, s15, 0x108
	s_mul_i32 s39, s20, 0xfffffef8
	s_branch .LBB168_83
.LBB168_82:                             ;   in Loop: Header=BB168_83 Depth=2
	s_sub_i32 s15, s15, s20
	s_add_i32 s36, s36, s37
	s_add_i32 s38, s38, s39
	s_cmp_lt_i32 s15, s30
	v_add_u32_e32 v12, s35, v12
	s_cbranch_scc1 .LBB168_79
.LBB168_83:                             ;   Parent Loop BB168_80 Depth=1
                                        ; =>  This Loop Header: Depth=2
                                        ;       Child Loop BB168_84 Depth 3
                                        ;       Child Loop BB168_95 Depth 3
                                        ;         Child Loop BB168_97 Depth 4
                                        ;         Child Loop BB168_103 Depth 4
                                        ;       Child Loop BB168_88 Depth 3
                                        ;         Child Loop BB168_90 Depth 4
	v_mov_b32_e32 v2, 0
	v_mov_b32_e32 v3, v12
	s_mov_b32 s10, s31
.LBB168_84:                             ;   Parent Loop BB168_80 Depth=1
                                        ;     Parent Loop BB168_83 Depth=2
                                        ; =>    This Inner Loop Header: Depth=3
	ds_read_b64 v[4:5], v3
	s_add_i32 s10, s10, -1
	v_add_u32_e32 v3, 0xffffff00, v3
	s_cmp_eq_u32 s10, 0
	s_waitcnt lgkmcnt(0)
	buffer_store_dword v5, v2, s[0:3], 0 offen offset:4
	buffer_store_dword v4, v2, s[0:3], 0 offen
	v_add_u32_e32 v2, 8, v2
	s_cbranch_scc0 .LBB168_84
; %bb.85:                               ;   in Loop: Header=BB168_83 Depth=2
	s_cmp_le_i32 s52, s15
	s_mov_b32 s40, s36
	s_mov_b32 s41, s52
	s_cbranch_scc0 .LBB168_95
.LBB168_86:                             ;   in Loop: Header=BB168_83 Depth=2
	s_mov_b32 s12, 0
	s_mov_b32 s13, s38
	s_branch .LBB168_88
.LBB168_87:                             ;   in Loop: Header=BB168_88 Depth=3
	s_mul_i32 s10, s40, 0x108
	v_mov_b32_e32 v4, s10
	ds_read_b64 v[4:5], v4
	s_lshl_b32 s10, s12, 3
	s_add_i32 s12, s12, 1
	s_add_i32 s13, s13, -8
	v_add_u32_e32 v8, s10, v10
	s_waitcnt vmcnt(0) lgkmcnt(0)
	v_mul_f32_e32 v6, v5, v3
	v_mul_f32_e32 v7, v4, v3
	v_fma_f32 v6, v4, v2, -v6
	v_fmac_f32_e32 v7, v5, v2
	v_lshl_or_b32 v2, s40, 8, v11
	s_cmp_eq_u32 s12, s31
	buffer_store_dword v6, v8, s[0:3], 0 offen
	buffer_store_dword v7, v8, s[0:3], 0 offen offset:4
	ds_write_b64 v2, v[6:7] offset:8192
	s_cbranch_scc1 .LBB168_82
.LBB168_88:                             ;   Parent Loop BB168_80 Depth=1
                                        ;     Parent Loop BB168_83 Depth=2
                                        ; =>    This Loop Header: Depth=3
                                        ;         Child Loop BB168_90 Depth 4
	s_cmp_lg_u32 s12, 0
	s_cbranch_scc0 .LBB168_92
; %bb.89:                               ;   in Loop: Header=BB168_88 Depth=3
	s_lshl_b32 s10, s12, 3
	v_add_u32_e32 v4, s10, v10
	s_waitcnt lgkmcnt(0)
	buffer_load_dword v2, v4, s[0:3], 0 offen
	buffer_load_dword v3, v4, s[0:3], 0 offen offset:4
	v_mov_b32_e32 v5, 0
	s_mov_b32 s10, 0
	s_mov_b32 s11, s13
.LBB168_90:                             ;   Parent Loop BB168_80 Depth=1
                                        ;     Parent Loop BB168_83 Depth=2
                                        ;       Parent Loop BB168_88 Depth=3
                                        ; =>      This Inner Loop Header: Depth=4
	buffer_load_dword v7, v5, s[0:3], 0 offen offset:4
	buffer_load_dword v6, v5, s[0:3], 0 offen
	v_mov_b32_e32 v8, s11
	ds_read_b64 v[8:9], v8
	s_add_i32 s10, s10, 1
	s_addk_i32 s11, 0xff00
	v_add_u32_e32 v5, 8, v5
	s_cmp_ge_u32 s10, s12
	s_waitcnt vmcnt(1)
	v_mov_b32_e32 v14, v7
	s_waitcnt lgkmcnt(0)
	v_pk_mul_f32 v[14:15], v[8:9], v[14:15] op_sel_hi:[1,0]
	s_waitcnt vmcnt(0)
	v_pk_fma_f32 v[16:17], v[8:9], v[6:7], v[14:15] op_sel:[0,0,1] op_sel_hi:[1,1,0] neg_lo:[0,0,1] neg_hi:[0,0,1]
	v_pk_fma_f32 v[6:7], v[8:9], v[6:7], v[14:15] op_sel:[0,0,1] op_sel_hi:[1,0,0]
	v_mov_b32_e32 v17, v7
	v_pk_add_f32 v[2:3], v[2:3], v[16:17] neg_lo:[0,1] neg_hi:[0,1]
	buffer_store_dword v2, v4, s[0:3], 0 offen
	buffer_store_dword v3, v4, s[0:3], 0 offen offset:4
	s_cbranch_scc0 .LBB168_90
; %bb.91:                               ;   in Loop: Header=BB168_88 Depth=3
	s_sub_i32 s40, s15, s12
	s_branch .LBB168_87
.LBB168_92:                             ;   in Loop: Header=BB168_88 Depth=3
                                        ; implicit-def: $vgpr2
                                        ; implicit-def: $sgpr40
	s_cbranch_execz .LBB168_87
; %bb.93:                               ;   in Loop: Header=BB168_88 Depth=3
	s_waitcnt lgkmcnt(0)
	buffer_load_dword v2, off, s[0:3], 0
	buffer_load_dword v3, off, s[0:3], 0 offset:4
	s_mov_b32 s40, s15
	s_branch .LBB168_87
.LBB168_94:                             ;   in Loop: Header=BB168_95 Depth=3
	s_add_i32 s41, s41, -1
	s_addk_i32 s40, 0xff00
	s_cmp_le_i32 s41, s15
	s_cbranch_scc1 .LBB168_86
.LBB168_95:                             ;   Parent Loop BB168_80 Depth=1
                                        ;     Parent Loop BB168_83 Depth=2
                                        ; =>    This Loop Header: Depth=3
                                        ;         Child Loop BB168_97 Depth 4
                                        ;         Child Loop BB168_103 Depth 4
	s_lshl_b32 s10, s41, 5
	s_waitcnt lgkmcnt(0)
	v_or_b32_e32 v2, s10, v0
	v_lshlrev_b32_e32 v2, 3, v2
	ds_read_b64 v[2:3], v2 offset:8192
	s_and_b64 vcc, exec, s[6:7]
	s_cbranch_vccz .LBB168_99
; %bb.96:                               ;   in Loop: Header=BB168_95 Depth=3
	s_add_i32 s10, s10, s15
	s_mov_b32 s11, s10
	s_waitcnt lgkmcnt(0)
	v_mov_b32_e32 v6, v2
	v_mov_b32_e32 v7, v2
	;; [unrolled: 1-line block ×6, first 2 shown]
	s_mov_b32 s12, 1
	s_mov_b32 s13, 0
	;; [unrolled: 1-line block ×3, first 2 shown]
.LBB168_97:                             ;   Parent Loop BB168_80 Depth=1
                                        ;     Parent Loop BB168_83 Depth=2
                                        ;       Parent Loop BB168_95 Depth=3
                                        ; =>      This Inner Loop Header: Depth=4
	buffer_load_dword v14, v5, s[0:3], 0 offen
	buffer_load_dword v16, v5, s[0:3], 0 offen offset:4
	buffer_load_dword v15, v5, s[0:3], 0 offen offset:8
	;; [unrolled: 1-line block ×3, first 2 shown]
	s_sub_i32 s43, s11, s12
	s_sub_i32 s44, s10, s13
	s_lshl_b32 s44, s44, 3
	s_lshl_b32 s43, s43, 3
	v_mov_b32_e32 v13, s44
	v_mov_b32_e32 v20, s43
	ds_read_b64 v[18:19], v13
	ds_read_b64 v[20:21], v20
	s_add_i32 s13, s13, 2
	s_add_i32 s12, s12, 2
	s_add_i32 s42, s42, -2
	s_waitcnt lgkmcnt(1)
	v_mov_b32_e32 v22, v18
	s_waitcnt lgkmcnt(0)
	v_mov_b32_e32 v23, v20
	v_mov_b32_e32 v20, v19
	v_pk_mul_f32 v[18:19], v[20:21], v[8:9]
	v_pk_mul_f32 v[20:21], v[20:21], v[6:7]
	v_pk_fma_f32 v[18:19], v[22:23], v[6:7], v[18:19] neg_lo:[0,0,1] neg_hi:[0,0,1]
	v_pk_fma_f32 v[20:21], v[22:23], v[8:9], v[20:21]
	s_cmp_lg_u32 s42, 0
	s_waitcnt vmcnt(1)
	v_pk_add_f32 v[14:15], v[14:15], v[18:19] neg_lo:[0,1] neg_hi:[0,1]
	s_waitcnt vmcnt(0)
	v_pk_add_f32 v[16:17], v[16:17], v[20:21] neg_lo:[0,1] neg_hi:[0,1]
	buffer_store_dword v14, v5, s[0:3], 0 offen
	buffer_store_dword v16, v5, s[0:3], 0 offen offset:4
	buffer_store_dword v15, v5, s[0:3], 0 offen offset:8
	;; [unrolled: 1-line block ×3, first 2 shown]
	v_add_u32_e32 v5, 16, v5
	s_cbranch_scc1 .LBB168_97
; %bb.98:                               ;   in Loop: Header=BB168_95 Depth=3
	s_mov_b64 s[10:11], s[8:9]
	s_mov_b32 s12, s34
	s_branch .LBB168_101
.LBB168_99:                             ;   in Loop: Header=BB168_95 Depth=3
	s_mov_b64 s[10:11], 0
                                        ; implicit-def: $vgpr4_vgpr5
	s_mov_b32 s12, s34
	s_cbranch_execz .LBB168_101
; %bb.100:                              ;   in Loop: Header=BB168_95 Depth=3
	s_waitcnt lgkmcnt(0)
	v_mov_b32_e32 v4, v3
	s_mov_b64 s[10:11], -1
	s_mov_b32 s12, 0
.LBB168_101:                            ;   in Loop: Header=BB168_95 Depth=3
	s_andn2_b64 vcc, exec, s[10:11]
	s_cbranch_vccnz .LBB168_94
; %bb.102:                              ;   in Loop: Header=BB168_95 Depth=3
	s_lshl_b32 s13, s12, 3
	s_waitcnt lgkmcnt(0)
	v_mov_b32_e32 v5, v3
	v_mov_b32_e32 v3, v2
	s_sub_i32 s10, s40, s13
	s_sub_i32 s11, s31, s12
	v_add_u32_e32 v6, s13, v10
.LBB168_103:                            ;   Parent Loop BB168_80 Depth=1
                                        ;     Parent Loop BB168_83 Depth=2
                                        ;       Parent Loop BB168_95 Depth=3
                                        ; =>      This Inner Loop Header: Depth=4
	buffer_load_dword v8, v6, s[0:3], 0 offen
	buffer_load_dword v9, v6, s[0:3], 0 offen offset:4
	v_mov_b32_e32 v7, s10
	ds_read_b64 v[14:15], v7
	s_add_i32 s10, s10, -8
	s_add_i32 s11, s11, -1
	s_cmp_eq_u32 s11, 0
	s_waitcnt lgkmcnt(0)
	v_pk_mul_f32 v[16:17], v[14:15], v[4:5]
	v_pk_fma_f32 v[18:19], v[14:15], v[2:3], v[16:17] op_sel:[0,0,1] op_sel_hi:[1,1,0] neg_lo:[0,0,1] neg_hi:[0,0,1]
	v_pk_fma_f32 v[14:15], v[14:15], v[2:3], v[16:17] op_sel:[0,0,1] op_sel_hi:[1,1,0]
	v_mov_b32_e32 v19, v15
	s_waitcnt vmcnt(0)
	v_pk_add_f32 v[8:9], v[8:9], v[18:19] neg_lo:[0,1] neg_hi:[0,1]
	buffer_store_dword v8, v6, s[0:3], 0 offen
	buffer_store_dword v9, v6, s[0:3], 0 offen offset:4
	v_add_u32_e32 v6, 8, v6
	s_cbranch_scc0 .LBB168_103
	s_branch .LBB168_94
.LBB168_104:
	s_waitcnt lgkmcnt(0)
	; wave barrier
	s_waitcnt lgkmcnt(0)
	s_and_saveexec_b64 s[4:5], s[28:29]
	s_cbranch_execz .LBB168_111
; %bb.105:
	s_cmp_lt_i32 s22, 8
	s_mov_b32 s4, 0
	s_cbranch_scc1 .LBB168_108
; %bb.106:
	v_mad_i64_i32 v[2:3], s[4:5], s21, v0, 0
	v_lshlrev_b64 v[2:3], 3, v[2:3]
	v_mov_b32_e32 v4, s54
	v_add_co_u32_e32 v1, vcc, s23, v2
	v_addc_co_u32_e32 v2, vcc, v4, v3, vcc
	v_mov_b32_e32 v3, 0x2000
	s_lshl_b32 s4, s33, 3
	v_lshl_or_b32 v3, v0, 3, v3
	s_and_b32 s5, s4, 0x1c0
	s_mov_b32 s4, 0
	s_mov_b64 s[6:7], 0
.LBB168_107:                            ; =>This Inner Loop Header: Depth=1
	ds_read2_b64 v[4:7], v3 offset1:32
	ds_read2_b64 v[8:11], v3 offset0:64 offset1:96
	ds_read2_b64 v[12:15], v3 offset0:128 offset1:160
	;; [unrolled: 1-line block ×3, first 2 shown]
	s_add_i32 s4, s4, 8
	v_add_co_u32_e32 v20, vcc, s6, v1
	s_add_u32 s6, s6, 64
	v_mov_b32_e32 v21, s7
	s_addc_u32 s7, s7, 0
	v_add_u32_e32 v3, 0x800, v3
	v_addc_co_u32_e32 v21, vcc, v2, v21, vcc
	s_cmp_lg_u32 s5, s6
	s_waitcnt lgkmcnt(3)
	global_store_dwordx4 v[20:21], v[4:7], off
	s_waitcnt lgkmcnt(2)
	global_store_dwordx4 v[20:21], v[8:11], off offset:16
	s_waitcnt lgkmcnt(1)
	global_store_dwordx4 v[20:21], v[12:15], off offset:32
	;; [unrolled: 2-line block ×3, first 2 shown]
	s_cbranch_scc1 .LBB168_107
.LBB168_108:
	s_and_b32 s6, s33, 7
	s_cmp_eq_u32 s6, 0
	s_mov_b32 s5, 0
	s_cbranch_scc1 .LBB168_111
; %bb.109:
	s_lshl_b64 s[8:9], s[26:27], 3
	v_lshlrev_b32_e32 v2, 3, v0
	v_mov_b32_e32 v0, s9
	v_add_co_u32_e32 v3, vcc, s8, v2
	s_lshl_b64 s[8:9], s[4:5], 3
	s_add_u32 s5, s18, s8
	s_addc_u32 s7, s19, s9
	s_add_u32 s5, s5, s24
	s_addc_u32 s7, s7, s25
	;; [unrolled: 2-line block ×3, first 2 shown]
	v_addc_co_u32_e32 v4, vcc, 0, v0, vcc
	v_pk_mov_b32 v[0:1], s[8:9], s[8:9] op_sel:[0,1]
	v_mad_u64_u32 v[0:1], s[8:9], v3, s21, v[0:1]
	v_mul_lo_u32 v3, v3, s53
	v_mul_lo_u32 v4, v4, s21
	v_lshl_or_b32 v2, s4, 8, v2
	v_add3_u32 v1, v4, v1, v3
	v_add_u32_e32 v2, 0x2000, v2
.LBB168_110:                            ; =>This Inner Loop Header: Depth=1
	ds_read_b64 v[4:5], v2
	s_add_i32 s6, s6, -1
	v_add_u32_e32 v2, 0x100, v2
	s_cmp_lg_u32 s6, 0
	s_waitcnt lgkmcnt(0)
	global_store_dwordx2 v[0:1], v[4:5], off
	v_add_co_u32_e32 v0, vcc, 8, v0
	v_addc_co_u32_e32 v1, vcc, 0, v1, vcc
	s_cbranch_scc1 .LBB168_110
.LBB168_111:
	s_endpgm
	.section	.rodata,"a",@progbits
	.p2align	6, 0x0
	.amdhsa_kernel _ZL38rocblas_trsm_small_left_device_sharedBILi32ELi32ELb0E19rocblas_complex_numIfES1_PKS1_PS1_Ev13rocblas_fill_18rocblas_operation_17rocblas_diagonal_iiT3_T4_lilT5_lili
		.amdhsa_group_segment_fixed_size 16384
		.amdhsa_private_segment_fixed_size 272
		.amdhsa_kernarg_size 360
		.amdhsa_user_sgpr_count 8
		.amdhsa_user_sgpr_private_segment_buffer 1
		.amdhsa_user_sgpr_dispatch_ptr 0
		.amdhsa_user_sgpr_queue_ptr 0
		.amdhsa_user_sgpr_kernarg_segment_ptr 1
		.amdhsa_user_sgpr_dispatch_id 0
		.amdhsa_user_sgpr_flat_scratch_init 1
		.amdhsa_user_sgpr_kernarg_preload_length 0
		.amdhsa_user_sgpr_kernarg_preload_offset 0
		.amdhsa_user_sgpr_private_segment_size 0
		.amdhsa_uses_dynamic_stack 0
		.amdhsa_system_sgpr_private_segment_wavefront_offset 1
		.amdhsa_system_sgpr_workgroup_id_x 1
		.amdhsa_system_sgpr_workgroup_id_y 0
		.amdhsa_system_sgpr_workgroup_id_z 1
		.amdhsa_system_sgpr_workgroup_info 0
		.amdhsa_system_vgpr_workitem_id 0
		.amdhsa_next_free_vgpr 44
		.amdhsa_next_free_sgpr 66
		.amdhsa_accum_offset 44
		.amdhsa_reserve_vcc 1
		.amdhsa_reserve_flat_scratch 0
		.amdhsa_float_round_mode_32 0
		.amdhsa_float_round_mode_16_64 0
		.amdhsa_float_denorm_mode_32 3
		.amdhsa_float_denorm_mode_16_64 3
		.amdhsa_dx10_clamp 1
		.amdhsa_ieee_mode 1
		.amdhsa_fp16_overflow 0
		.amdhsa_tg_split 0
		.amdhsa_exception_fp_ieee_invalid_op 0
		.amdhsa_exception_fp_denorm_src 0
		.amdhsa_exception_fp_ieee_div_zero 0
		.amdhsa_exception_fp_ieee_overflow 0
		.amdhsa_exception_fp_ieee_underflow 0
		.amdhsa_exception_fp_ieee_inexact 0
		.amdhsa_exception_int_div_zero 0
	.end_amdhsa_kernel
	.section	.text._ZL38rocblas_trsm_small_left_device_sharedBILi32ELi32ELb0E19rocblas_complex_numIfES1_PKS1_PS1_Ev13rocblas_fill_18rocblas_operation_17rocblas_diagonal_iiT3_T4_lilT5_lili,"axG",@progbits,_ZL38rocblas_trsm_small_left_device_sharedBILi32ELi32ELb0E19rocblas_complex_numIfES1_PKS1_PS1_Ev13rocblas_fill_18rocblas_operation_17rocblas_diagonal_iiT3_T4_lilT5_lili,comdat
.Lfunc_end168:
	.size	_ZL38rocblas_trsm_small_left_device_sharedBILi32ELi32ELb0E19rocblas_complex_numIfES1_PKS1_PS1_Ev13rocblas_fill_18rocblas_operation_17rocblas_diagonal_iiT3_T4_lilT5_lili, .Lfunc_end168-_ZL38rocblas_trsm_small_left_device_sharedBILi32ELi32ELb0E19rocblas_complex_numIfES1_PKS1_PS1_Ev13rocblas_fill_18rocblas_operation_17rocblas_diagonal_iiT3_T4_lilT5_lili
                                        ; -- End function
	.section	.AMDGPU.csdata,"",@progbits
; Kernel info:
; codeLenInByte = 5280
; NumSgprs: 70
; NumVgprs: 44
; NumAgprs: 0
; TotalNumVgprs: 44
; ScratchSize: 272
; MemoryBound: 0
; FloatMode: 240
; IeeeMode: 1
; LDSByteSize: 16384 bytes/workgroup (compile time only)
; SGPRBlocks: 8
; VGPRBlocks: 5
; NumSGPRsForWavesPerEU: 70
; NumVGPRsForWavesPerEU: 44
; AccumOffset: 44
; Occupancy: 1
; WaveLimiterHint : 0
; COMPUTE_PGM_RSRC2:SCRATCH_EN: 1
; COMPUTE_PGM_RSRC2:USER_SGPR: 8
; COMPUTE_PGM_RSRC2:TRAP_HANDLER: 0
; COMPUTE_PGM_RSRC2:TGID_X_EN: 1
; COMPUTE_PGM_RSRC2:TGID_Y_EN: 0
; COMPUTE_PGM_RSRC2:TGID_Z_EN: 1
; COMPUTE_PGM_RSRC2:TIDIG_COMP_CNT: 0
; COMPUTE_PGM_RSRC3_GFX90A:ACCUM_OFFSET: 10
; COMPUTE_PGM_RSRC3_GFX90A:TG_SPLIT: 0
	.section	.text._ZL30rocblas_trsm_small_left_deviceILi32ELi32ELb0E19rocblas_complex_numIfES1_PKS1_PS1_Ev13rocblas_fill_18rocblas_operation_17rocblas_diagonal_iiT3_T4_lilT5_lili,"axG",@progbits,_ZL30rocblas_trsm_small_left_deviceILi32ELi32ELb0E19rocblas_complex_numIfES1_PKS1_PS1_Ev13rocblas_fill_18rocblas_operation_17rocblas_diagonal_iiT3_T4_lilT5_lili,comdat
	.globl	_ZL30rocblas_trsm_small_left_deviceILi32ELi32ELb0E19rocblas_complex_numIfES1_PKS1_PS1_Ev13rocblas_fill_18rocblas_operation_17rocblas_diagonal_iiT3_T4_lilT5_lili ; -- Begin function _ZL30rocblas_trsm_small_left_deviceILi32ELi32ELb0E19rocblas_complex_numIfES1_PKS1_PS1_Ev13rocblas_fill_18rocblas_operation_17rocblas_diagonal_iiT3_T4_lilT5_lili
	.p2align	8
	.type	_ZL30rocblas_trsm_small_left_deviceILi32ELi32ELb0E19rocblas_complex_numIfES1_PKS1_PS1_Ev13rocblas_fill_18rocblas_operation_17rocblas_diagonal_iiT3_T4_lilT5_lili,@function
_ZL30rocblas_trsm_small_left_deviceILi32ELi32ELb0E19rocblas_complex_numIfES1_PKS1_PS1_Ev13rocblas_fill_18rocblas_operation_17rocblas_diagonal_iiT3_T4_lilT5_lili: ; @_ZL30rocblas_trsm_small_left_deviceILi32ELi32ELb0E19rocblas_complex_numIfES1_PKS1_PS1_Ev13rocblas_fill_18rocblas_operation_17rocblas_diagonal_iiT3_T4_lilT5_lili
; %bb.0:
	s_add_u32 s0, s0, s10
	s_load_dwordx4 s[16:19], s[4:5], 0x4
	s_load_dwordx2 s[24:25], s[4:5], 0x14
	s_load_dwordx4 s[12:15], s[4:5], 0x38
	s_load_dwordx2 s[26:27], s[4:5], 0x48
	s_load_dword s43, s[4:5], 0x68
	s_addc_u32 s1, s1, 0
	s_waitcnt lgkmcnt(0)
	s_min_i32 s42, s18, 32
	s_mov_b32 s44, 0
	s_add_i32 s33, s42, -1
	v_cmp_gt_i32_e32 vcc, s42, v0
	s_and_saveexec_b64 s[28:29], vcc
	s_cbranch_execz .LBB169_35
; %bb.1:
	s_load_dword s30, s[4:5], 0x30
	s_load_dwordx4 s[20:23], s[4:5], 0x20
	s_mul_i32 s6, s9, s13
	s_mul_hi_u32 s7, s9, s12
	s_mul_i32 s12, s9, s12
	s_waitcnt lgkmcnt(0)
	s_ashr_i32 s31, s30, 31
	s_cmpk_lg_i32 s16, 0x71
	s_cselect_b64 s[34:35], -1, 0
	s_add_i32 s13, s7, s6
	v_cndmask_b32_e64 v2, 0, 1, s[34:35]
	s_cmp_lt_u32 s33, 3
	v_lshlrev_b32_e32 v1, 3, v0
	v_cmp_ne_u32_e64 s[6:7], 1, v2
	s_cbranch_scc1 .LBB169_20
; %bb.2:
	s_lshl_b64 s[10:11], s[12:13], 3
	s_add_u32 s18, s20, s10
	s_addc_u32 s36, s21, s11
	s_lshl_b64 s[10:11], s[22:23], 3
	s_add_u32 s10, s18, s10
	s_addc_u32 s11, s36, s11
	v_mov_b32_e32 v3, s11
	v_add_co_u32_e32 v2, vcc, s10, v1
	s_mul_hi_i32 s10, s30, 24
	s_lshl_b64 s[36:37], s[30:31], 5
	s_lshl_b64 s[38:39], s[30:31], 4
	;; [unrolled: 1-line block ×3, first 2 shown]
	v_addc_co_u32_e32 v3, vcc, 0, v3, vcc
	s_and_b32 s44, s42, -4
	s_mul_i32 s18, s30, 24
	s_mov_b32 s45, 0
	v_mov_b32_e32 v8, s41
	v_mov_b32_e32 v9, s39
	;; [unrolled: 1-line block ×5, first 2 shown]
	s_branch .LBB169_4
.LBB169_3:                              ;   in Loop: Header=BB169_4 Depth=1
	global_load_dword v4, v[6:7], off
	s_add_i32 s45, s45, 4
	v_add_co_u32_e32 v2, vcc, s36, v2
	v_addc_co_u32_e32 v3, vcc, v3, v11, vcc
	s_cmp_eq_u32 s44, s45
	s_waitcnt vmcnt(0)
	ds_write_b64 v12, v[4:5] offset:768
	v_add_u32_e32 v12, 0x400, v12
	s_cbranch_scc1 .LBB169_20
.LBB169_4:                              ; =>This Inner Loop Header: Depth=1
	s_and_b64 vcc, exec, s[34:35]
	s_cbranch_vccz .LBB169_6
; %bb.5:                                ;   in Loop: Header=BB169_4 Depth=1
	global_load_dword v5, v[2:3], off offset:4
	s_cbranch_execz .LBB169_7
	s_branch .LBB169_8
.LBB169_6:                              ;   in Loop: Header=BB169_4 Depth=1
                                        ; implicit-def: $vgpr5
.LBB169_7:                              ;   in Loop: Header=BB169_4 Depth=1
	global_load_dword v4, v[2:3], off offset:4
	s_waitcnt vmcnt(0)
	v_xor_b32_e32 v5, 0x80000000, v4
.LBB169_8:                              ;   in Loop: Header=BB169_4 Depth=1
	global_load_dword v4, v[2:3], off
	v_add_co_u32_e64 v6, s[10:11], s40, v2
	s_and_b64 vcc, exec, s[6:7]
	v_addc_co_u32_e64 v7, s[10:11], v3, v8, s[10:11]
	s_waitcnt vmcnt(0)
	ds_write_b64 v12, v[4:5]
	s_cbranch_vccnz .LBB169_10
; %bb.9:                                ;   in Loop: Header=BB169_4 Depth=1
	global_load_dword v5, v[6:7], off offset:4
	s_cbranch_execz .LBB169_11
	s_branch .LBB169_12
.LBB169_10:                             ;   in Loop: Header=BB169_4 Depth=1
                                        ; implicit-def: $vgpr5
.LBB169_11:                             ;   in Loop: Header=BB169_4 Depth=1
	global_load_dword v4, v[6:7], off offset:4
	s_waitcnt vmcnt(0)
	v_xor_b32_e32 v5, 0x80000000, v4
.LBB169_12:                             ;   in Loop: Header=BB169_4 Depth=1
	global_load_dword v4, v[6:7], off
	v_add_co_u32_e64 v6, s[10:11], s38, v2
	s_and_b64 vcc, exec, s[6:7]
	v_addc_co_u32_e64 v7, s[10:11], v3, v9, s[10:11]
	s_waitcnt vmcnt(0)
	ds_write_b64 v12, v[4:5] offset:256
	s_cbranch_vccnz .LBB169_14
; %bb.13:                               ;   in Loop: Header=BB169_4 Depth=1
	global_load_dword v5, v[6:7], off offset:4
	s_cbranch_execz .LBB169_15
	s_branch .LBB169_16
.LBB169_14:                             ;   in Loop: Header=BB169_4 Depth=1
                                        ; implicit-def: $vgpr5
.LBB169_15:                             ;   in Loop: Header=BB169_4 Depth=1
	global_load_dword v4, v[6:7], off offset:4
	s_waitcnt vmcnt(0)
	v_xor_b32_e32 v5, 0x80000000, v4
.LBB169_16:                             ;   in Loop: Header=BB169_4 Depth=1
	global_load_dword v4, v[6:7], off
	v_add_co_u32_e64 v6, s[10:11], s18, v2
	s_and_b64 vcc, exec, s[6:7]
	v_addc_co_u32_e64 v7, s[10:11], v3, v10, s[10:11]
	s_waitcnt vmcnt(0)
	ds_write_b64 v12, v[4:5] offset:512
	s_cbranch_vccnz .LBB169_18
; %bb.17:                               ;   in Loop: Header=BB169_4 Depth=1
	global_load_dword v5, v[6:7], off offset:4
	s_cbranch_execnz .LBB169_3
	s_branch .LBB169_19
.LBB169_18:                             ;   in Loop: Header=BB169_4 Depth=1
                                        ; implicit-def: $vgpr5
.LBB169_19:                             ;   in Loop: Header=BB169_4 Depth=1
	global_load_dword v4, v[6:7], off offset:4
	s_waitcnt vmcnt(0)
	v_xor_b32_e32 v5, 0x80000000, v4
	s_branch .LBB169_3
.LBB169_20:
	s_and_b32 s18, s42, 3
	s_cmp_eq_u32 s18, 0
	s_cbranch_scc1 .LBB169_27
; %bb.21:
	s_lshl_b64 s[10:11], s[12:13], 3
	s_mul_i32 s12, s31, s44
	s_mul_hi_u32 s13, s30, s44
	s_add_i32 s13, s13, s12
	s_mul_i32 s12, s30, s44
	s_lshl_b64 s[12:13], s[12:13], 3
	s_add_u32 s12, s10, s12
	s_addc_u32 s13, s11, s13
	s_lshl_b64 s[10:11], s[22:23], 3
	s_add_u32 s10, s12, s10
	s_addc_u32 s11, s13, s11
	s_add_u32 s10, s20, s10
	s_addc_u32 s11, s21, s11
	v_lshl_or_b32 v6, s44, 8, v1
	v_mov_b32_e32 v2, s11
	v_add_co_u32_e32 v1, vcc, s10, v1
	v_addc_co_u32_e32 v3, vcc, 0, v2, vcc
	v_add_co_u32_e32 v2, vcc, 4, v1
	s_lshl_b64 s[10:11], s[30:31], 3
	v_addc_co_u32_e32 v3, vcc, 0, v3, vcc
	v_mov_b32_e32 v1, s11
	s_branch .LBB169_23
.LBB169_22:                             ;   in Loop: Header=BB169_23 Depth=1
	global_load_dword v4, v[2:3], off offset:-4
	s_add_i32 s18, s18, -1
	v_add_co_u32_e32 v2, vcc, s10, v2
	s_cmp_lg_u32 s18, 0
	v_addc_co_u32_e32 v3, vcc, v3, v1, vcc
	s_waitcnt vmcnt(0)
	ds_write_b64 v6, v[4:5]
	v_add_u32_e32 v6, 0x100, v6
	s_cbranch_scc0 .LBB169_27
.LBB169_23:                             ; =>This Inner Loop Header: Depth=1
	s_and_b64 vcc, exec, s[6:7]
	s_cbranch_vccnz .LBB169_25
; %bb.24:                               ;   in Loop: Header=BB169_23 Depth=1
	global_load_dword v5, v[2:3], off
	s_cbranch_execnz .LBB169_22
	s_branch .LBB169_26
.LBB169_25:                             ;   in Loop: Header=BB169_23 Depth=1
                                        ; implicit-def: $vgpr5
.LBB169_26:                             ;   in Loop: Header=BB169_23 Depth=1
	global_load_dword v4, v[2:3], off
	s_waitcnt vmcnt(0)
	v_xor_b32_e32 v5, 0x80000000, v4
	s_branch .LBB169_22
.LBB169_27:
	v_mul_u32_u24_e32 v1, 33, v0
	s_cmpk_lg_i32 s17, 0x84
	v_lshlrev_b32_e32 v1, 3, v1
	s_mov_b64 s[6:7], -1
	s_cbranch_scc0 .LBB169_33
; %bb.28:
	ds_read_b64 v[2:3], v1
	s_mov_b32 s6, 0
	s_waitcnt lgkmcnt(0)
	v_cmp_gt_f32_e32 vcc, 0, v3
	v_cndmask_b32_e64 v4, v3, -v3, vcc
	v_cmp_gt_f32_e32 vcc, 0, v2
	v_cndmask_b32_e64 v5, v2, -v2, vcc
	v_cmp_ngt_f32_e32 vcc, v5, v4
                                        ; implicit-def: $vgpr4_vgpr5
	s_and_saveexec_b64 s[10:11], vcc
	s_xor_b64 s[10:11], exec, s[10:11]
	s_cbranch_execz .LBB169_30
; %bb.29:
	v_div_scale_f32 v4, s[12:13], v3, v3, v2
	v_rcp_f32_e32 v5, v4
	v_div_scale_f32 v6, vcc, v2, v3, v2
	s_mov_b32 s7, -1.0
	v_fma_f32 v7, -v4, v5, 1.0
	v_fmac_f32_e32 v5, v7, v5
	v_mul_f32_e32 v7, v6, v5
	v_fma_f32 v8, -v4, v7, v6
	v_fmac_f32_e32 v7, v8, v5
	v_fma_f32 v4, -v4, v7, v6
	v_div_fmas_f32 v4, v4, v5, v7
	v_div_fixup_f32 v4, v4, v3, v2
	v_fmac_f32_e32 v3, v2, v4
	v_div_scale_f32 v2, s[12:13], v3, v3, 1.0
	v_rcp_f32_e32 v5, v2
	v_fma_f32 v6, -v2, v5, 1.0
	v_fmac_f32_e32 v5, v6, v5
	v_div_scale_f32 v6, vcc, 1.0, v3, 1.0
	v_mul_f32_e32 v7, v6, v5
	v_fma_f32 v8, -v2, v7, v6
	v_fmac_f32_e32 v7, v8, v5
	v_fma_f32 v2, -v2, v7, v6
	v_div_fmas_f32 v2, v2, v5, v7
	v_mul_f32_e32 v5, 0, v4
	v_div_fixup_f32 v2, v2, v3, 1.0
	v_pk_add_f32 v[4:5], v[4:5], s[6:7]
	v_pk_mul_f32 v[4:5], v[4:5], v[2:3] op_sel_hi:[1,0]
                                        ; implicit-def: $vgpr2_vgpr3
.LBB169_30:
	s_andn2_saveexec_b64 s[6:7], s[10:11]
	s_cbranch_execz .LBB169_32
; %bb.31:
	v_div_scale_f32 v4, s[10:11], v2, v2, v3
	v_rcp_f32_e32 v5, v4
	v_div_scale_f32 v6, vcc, v3, v2, v3
	v_fma_f32 v7, -v4, v5, 1.0
	v_fmac_f32_e32 v5, v7, v5
	v_mul_f32_e32 v7, v6, v5
	v_fma_f32 v8, -v4, v7, v6
	v_fmac_f32_e32 v7, v8, v5
	v_fma_f32 v4, -v4, v7, v6
	v_div_fmas_f32 v4, v4, v5, v7
	v_div_fixup_f32 v5, v4, v2, v3
	v_fmac_f32_e32 v2, v3, v5
	v_div_scale_f32 v3, s[10:11], v2, v2, 1.0
	v_rcp_f32_e32 v4, v3
	s_mov_b32 s10, 1.0
	s_mov_b32 s11, 0
	v_fma_f32 v6, -v3, v4, 1.0
	v_fmac_f32_e32 v4, v6, v4
	v_div_scale_f32 v6, vcc, 1.0, v2, 1.0
	v_mul_f32_e32 v7, v6, v4
	v_fma_f32 v8, -v3, v7, v6
	v_fmac_f32_e32 v7, v8, v4
	v_fma_f32 v3, -v3, v7, v6
	v_div_fmas_f32 v3, v3, v4, v7
	v_mul_f32_e32 v4, 0, v5
	v_pk_add_f32 v[6:7], v[4:5], s[10:11]
	v_pk_add_f32 v[4:5], v[4:5], s[10:11] neg_lo:[1,0] neg_hi:[1,0]
	v_div_fixup_f32 v2, v3, v2, 1.0
	v_mov_b32_e32 v7, v5
	v_pk_mul_f32 v[4:5], v[6:7], v[2:3] op_sel_hi:[1,0]
.LBB169_32:
	s_or_b64 exec, exec, s[6:7]
	s_mov_b64 s[6:7], 0
	ds_write_b64 v1, v[4:5]
.LBB169_33:
	s_and_b64 vcc, exec, s[6:7]
	s_cbranch_vccz .LBB169_35
; %bb.34:
	v_mov_b32_e32 v2, 1.0
	v_mov_b32_e32 v3, 0
	ds_write_b64 v1, v[2:3]
.LBB169_35:
	s_or_b64 exec, exec, s[28:29]
	s_lshl_b32 s10, s8, 5
	s_add_i32 s43, s43, -1
	s_sub_i32 s6, s19, s10
	s_cmp_ge_u32 s8, s43
	s_cselect_b32 s6, s6, 32
	v_cmp_gt_i32_e32 vcc, s6, v0
	s_waitcnt lgkmcnt(0)
	; wave barrier
	s_waitcnt lgkmcnt(0)
	s_and_saveexec_b64 s[6:7], vcc
	s_cbranch_execz .LBB169_102
; %bb.36:
	s_load_dwordx2 s[6:7], s[4:5], 0x58
	s_load_dword s11, s[4:5], 0x50
	v_add_u32_e32 v0, s10, v0
	s_waitcnt lgkmcnt(0)
	s_mul_i32 s5, s9, s7
	s_mul_hi_u32 s7, s9, s6
	s_mul_i32 s4, s9, s6
	s_add_i32 s5, s7, s5
	s_lshl_b64 s[6:7], s[4:5], 3
	s_add_u32 s4, s14, s6
	s_addc_u32 s5, s15, s7
	s_lshl_b64 s[8:9], s[26:27], 3
	s_add_u32 s12, s4, s8
	s_addc_u32 s13, s5, s9
	v_mad_i64_i32 v[0:1], s[4:5], s11, v0, 0
	v_lshlrev_b64 v[0:1], 3, v[0:1]
	v_mov_b32_e32 v2, s13
	v_add_co_u32_e32 v10, vcc, s12, v0
	v_addc_co_u32_e32 v11, vcc, v2, v1, vcc
	s_cmpk_eq_i32 s16, 0x6f
	s_mov_b64 s[4:5], -1
	s_cbranch_scc1 .LBB169_70
; %bb.37:
	s_add_u32 s4, s14, s8
	s_addc_u32 s5, s15, s9
	s_add_u32 s4, s4, s6
	s_addc_u32 s5, s5, s7
	v_mov_b32_e32 v2, s5
	v_add_co_u32_e32 v3, vcc, s4, v0
	v_addc_co_u32_e32 v2, vcc, v2, v1, vcc
	v_add_co_u32_e32 v12, vcc, 4, v3
	s_mov_b32 s17, 0
	s_mov_b32 s10, s24
	s_mov_b32 s11, s24
	s_mov_b32 s12, s25
	s_mov_b32 s13, s25
	v_addc_co_u32_e32 v13, vcc, 0, v2, vcc
	v_mov_b32_e32 v14, 0
	s_mov_b32 s16, s17
	s_mov_b32 s28, s17
	s_branch .LBB169_39
.LBB169_38:                             ;   in Loop: Header=BB169_39 Depth=1
	s_cmp_ge_i32 s28, s42
	s_cselect_b64 s[4:5], -1, 0
	s_add_i32 s16, s16, 1
	s_cmp_eq_u32 s16, 3
	s_cselect_b64 s[18:19], -1, 0
	s_or_b64 s[4:5], s[4:5], s[18:19]
	s_andn2_b64 vcc, exec, s[4:5]
	s_cbranch_vccz .LBB169_69
.LBB169_39:                             ; =>This Loop Header: Depth=1
                                        ;     Child Loop BB169_42 Depth 2
                                        ;       Child Loop BB169_44 Depth 3
                                        ;       Child Loop BB169_48 Depth 3
	;; [unrolled: 1-line block ×3, first 2 shown]
                                        ;         Child Loop BB169_54 Depth 4
                                        ;         Child Loop BB169_60 Depth 4
                                        ;       Child Loop BB169_63 Depth 3
                                        ;         Child Loop BB169_65 Depth 4
	s_lshl_b64 s[4:5], s[16:17], 2
	s_getpc_b64 s[18:19]
	s_add_u32 s18, s18, __const._ZL30rocblas_trsm_small_left_deviceILi32ELi32ELb0E19rocblas_complex_numIfES1_PKS1_PS1_Ev13rocblas_fill_18rocblas_operation_17rocblas_diagonal_iiT3_T4_lilT5_lili.step_sizes@rel32@lo+4
	s_addc_u32 s19, s19, __const._ZL30rocblas_trsm_small_left_deviceILi32ELi32ELb0E19rocblas_complex_numIfES1_PKS1_PS1_Ev13rocblas_fill_18rocblas_operation_17rocblas_diagonal_iiT3_T4_lilT5_lili.step_sizes@rel32@hi+12
	s_add_u32 s4, s4, s18
	s_addc_u32 s5, s5, s19
	s_load_dword s29, s[4:5], 0x0
	s_waitcnt lgkmcnt(0)
	s_add_i32 s30, s29, -1
	s_add_i32 s4, s30, s28
	s_cmp_ge_i32 s4, s42
	s_cbranch_scc1 .LBB169_38
; %bb.40:                               ;   in Loop: Header=BB169_39 Depth=1
	s_max_i32 s31, s29, 1
	s_cmp_lg_u32 s16, 2
	s_cselect_b64 s[18:19], -1, 0
	s_and_b32 s34, s31, 0x7ffffffe
	s_cmp_lg_u32 s31, s34
	s_cselect_b64 s[20:21], -1, 0
	s_ashr_i32 s35, s28, 31
	s_ashr_i32 s36, s29, 31
	s_mul_i32 s37, s28, 0x108
	s_mul_i32 s38, s29, 0x108
	s_branch .LBB169_42
.LBB169_41:                             ;   in Loop: Header=BB169_42 Depth=2
	s_add_u32 s28, s28, s29
	s_addc_u32 s35, s35, s36
	s_add_i32 s4, s30, s28
	s_add_i32 s37, s37, s38
	s_cmp_ge_i32 s4, s42
	s_cbranch_scc1 .LBB169_38
.LBB169_42:                             ;   Parent Loop BB169_39 Depth=1
                                        ; =>  This Loop Header: Depth=2
                                        ;       Child Loop BB169_44 Depth 3
                                        ;       Child Loop BB169_48 Depth 3
	;; [unrolled: 1-line block ×3, first 2 shown]
                                        ;         Child Loop BB169_54 Depth 4
                                        ;         Child Loop BB169_60 Depth 4
                                        ;       Child Loop BB169_63 Depth 3
                                        ;         Child Loop BB169_65 Depth 4
	s_and_b64 vcc, exec, s[18:19]
	s_cbranch_vccz .LBB169_46
; %bb.43:                               ;   in Loop: Header=BB169_42 Depth=2
	v_mov_b32_e32 v2, 0
	s_mov_b32 s22, s28
	s_mov_b32 s23, s28
	;; [unrolled: 1-line block ×5, first 2 shown]
.LBB169_44:                             ;   Parent Loop BB169_39 Depth=1
                                        ;     Parent Loop BB169_42 Depth=2
                                        ; =>    This Inner Loop Header: Depth=3
	s_add_i32 s4, s27, s22
	s_add_i32 s40, s26, s23
	s_ashr_i32 s5, s4, 31
	s_ashr_i32 s41, s40, 31
	s_lshl_b64 s[4:5], s[4:5], 3
	s_lshl_b64 s[40:41], s[40:41], 3
	v_mov_b32_e32 v3, s5
	v_add_co_u32_e64 v6, s[4:5], s4, v10
	v_mov_b32_e32 v5, s41
	v_add_co_u32_e32 v4, vcc, s40, v10
	v_addc_co_u32_e64 v7, s[4:5], v11, v3, s[4:5]
	v_addc_co_u32_e32 v5, vcc, v11, v5, vcc
	global_load_dwordx2 v[8:9], v[6:7], off
	global_load_dwordx2 v[16:17], v[4:5], off
	s_add_i32 s27, s27, 2
	s_add_i32 s26, s26, 2
	s_add_i32 s39, s39, -2
	s_mov_b32 s40, s34
	s_mov_b64 s[4:5], s[20:21]
	s_cmp_lg_u32 s39, 0
	s_waitcnt vmcnt(1)
	v_mov_b32_e32 v4, v8
	s_waitcnt vmcnt(0)
	v_mov_b32_e32 v5, v16
	v_mov_b32_e32 v16, v9
	v_pk_mul_f32 v[6:7], v[16:17], s[12:13]
	v_pk_mul_f32 v[8:9], v[16:17], s[10:11]
	v_pk_fma_f32 v[6:7], v[4:5], s[10:11], v[6:7] neg_lo:[0,0,1] neg_hi:[0,0,1]
	v_pk_fma_f32 v[4:5], v[4:5], s[12:13], v[8:9]
	buffer_store_dword v4, v2, s[0:3], 0 offen offset:4
	buffer_store_dword v6, v2, s[0:3], 0 offen
	buffer_store_dword v5, v2, s[0:3], 0 offen offset:12
	buffer_store_dword v7, v2, s[0:3], 0 offen offset:8
	v_add_u32_e32 v2, 16, v2
	s_cbranch_scc1 .LBB169_44
; %bb.45:                               ;   in Loop: Header=BB169_42 Depth=2
	s_and_b64 vcc, exec, s[4:5]
	s_cbranch_vccnz .LBB169_47
	s_branch .LBB169_49
.LBB169_46:                             ;   in Loop: Header=BB169_42 Depth=2
	s_mov_b32 s40, 0
	s_cbranch_execz .LBB169_49
.LBB169_47:                             ;   in Loop: Header=BB169_42 Depth=2
	s_sub_i32 s4, s31, s40
	s_add_u32 s22, s28, s40
	s_addc_u32 s23, s35, 0
	s_lshl_b64 s[22:23], s[22:23], 3
	v_mov_b32_e32 v3, s23
	v_add_co_u32_e32 v2, vcc, s22, v12
	s_lshl_b32 s5, s40, 3
	v_addc_co_u32_e32 v3, vcc, v13, v3, vcc
	v_add_u32_e32 v4, s5, v14
.LBB169_48:                             ;   Parent Loop BB169_39 Depth=1
                                        ;     Parent Loop BB169_42 Depth=2
                                        ; =>    This Inner Loop Header: Depth=3
	global_load_dwordx2 v[6:7], v[2:3], off offset:-4
	s_add_i32 s4, s4, -1
	v_add_co_u32_e32 v2, vcc, 8, v2
	v_addc_co_u32_e32 v3, vcc, 0, v3, vcc
	s_cmp_eq_u32 s4, 0
	s_waitcnt vmcnt(0)
	v_mul_f32_e32 v5, s25, v7
	v_mul_f32_e32 v7, s24, v7
	v_fma_f32 v5, v6, s24, -v5
	v_fmac_f32_e32 v7, s25, v6
	buffer_store_dword v5, v4, s[0:3], 0 offen
	buffer_store_dword v7, v4, s[0:3], 0 offen offset:4
	v_add_u32_e32 v4, 8, v4
	s_cbranch_scc0 .LBB169_48
.LBB169_49:                             ;   in Loop: Header=BB169_42 Depth=2
	s_cmp_lt_i32 s28, 1
	s_cbranch_scc1 .LBB169_61
; %bb.50:                               ;   in Loop: Header=BB169_42 Depth=2
	s_mov_b32 s39, s28
	s_mov_b32 s40, s28
	;; [unrolled: 1-line block ×4, first 2 shown]
	s_branch .LBB169_52
.LBB169_51:                             ;   in Loop: Header=BB169_52 Depth=3
	s_add_i32 s4, s4, 1
	s_add_i32 s41, s41, 8
	s_cmp_ge_i32 s4, s28
	s_cbranch_scc1 .LBB169_61
.LBB169_52:                             ;   Parent Loop BB169_39 Depth=1
                                        ;     Parent Loop BB169_42 Depth=2
                                        ; =>    This Loop Header: Depth=3
                                        ;         Child Loop BB169_54 Depth 4
                                        ;         Child Loop BB169_60 Depth 4
	s_mov_b32 s5, s17
	s_lshl_b64 s[22:23], s[4:5], 3
	s_waitcnt vmcnt(0)
	v_mov_b32_e32 v3, s23
	v_add_co_u32_e32 v2, vcc, s22, v10
	v_addc_co_u32_e32 v3, vcc, v11, v3, vcc
	global_load_dwordx2 v[2:3], v[2:3], off
	s_and_b64 vcc, exec, s[18:19]
	s_cbranch_vccz .LBB169_56
; %bb.53:                               ;   in Loop: Header=BB169_52 Depth=3
	s_mov_b32 s5, s4
	s_waitcnt vmcnt(0)
	v_mov_b32_e32 v6, v2
	v_mov_b32_e32 v7, v2
	v_mov_b32_e32 v4, v3
	v_mov_b32_e32 v5, 0
	v_mov_b32_e32 v8, v3
	v_mov_b32_e32 v9, v3
	s_mov_b32 s22, 1
	s_mov_b32 s23, 0
	;; [unrolled: 1-line block ×3, first 2 shown]
.LBB169_54:                             ;   Parent Loop BB169_39 Depth=1
                                        ;     Parent Loop BB169_42 Depth=2
                                        ;       Parent Loop BB169_52 Depth=3
                                        ; =>      This Inner Loop Header: Depth=4
	buffer_load_dword v16, v5, s[0:3], 0 offen
	buffer_load_dword v18, v5, s[0:3], 0 offen offset:4
	buffer_load_dword v17, v5, s[0:3], 0 offen offset:8
	;; [unrolled: 1-line block ×3, first 2 shown]
	s_add_i32 s27, s22, s40
	s_add_i32 s43, s23, s39
	s_lshl_b32 s43, s43, 5
	s_lshl_b32 s27, s27, 5
	s_add_i32 s27, s27, s5
	s_add_i32 s43, s43, s4
	s_lshl_b32 s43, s43, 3
	s_lshl_b32 s27, s27, 3
	v_mov_b32_e32 v15, s43
	v_mov_b32_e32 v22, s27
	ds_read_b64 v[20:21], v15
	ds_read_b64 v[22:23], v22
	s_add_i32 s23, s23, 2
	s_add_i32 s22, s22, 2
	s_add_i32 s26, s26, -2
	s_waitcnt lgkmcnt(1)
	v_mov_b32_e32 v24, v20
	s_waitcnt lgkmcnt(0)
	v_mov_b32_e32 v25, v22
	v_mov_b32_e32 v22, v21
	v_pk_mul_f32 v[20:21], v[22:23], v[8:9]
	v_pk_mul_f32 v[22:23], v[22:23], v[6:7]
	v_pk_fma_f32 v[20:21], v[24:25], v[6:7], v[20:21] neg_lo:[0,0,1] neg_hi:[0,0,1]
	v_pk_fma_f32 v[22:23], v[24:25], v[8:9], v[22:23]
	s_cmp_lg_u32 s26, 0
	s_waitcnt vmcnt(1)
	v_pk_add_f32 v[16:17], v[16:17], v[20:21] neg_lo:[0,1] neg_hi:[0,1]
	s_waitcnt vmcnt(0)
	v_pk_add_f32 v[18:19], v[18:19], v[22:23] neg_lo:[0,1] neg_hi:[0,1]
	buffer_store_dword v16, v5, s[0:3], 0 offen
	buffer_store_dword v18, v5, s[0:3], 0 offen offset:4
	buffer_store_dword v17, v5, s[0:3], 0 offen offset:8
	;; [unrolled: 1-line block ×3, first 2 shown]
	v_add_u32_e32 v5, 16, v5
	s_cbranch_scc1 .LBB169_54
; %bb.55:                               ;   in Loop: Header=BB169_52 Depth=3
	s_mov_b64 s[22:23], s[20:21]
	s_mov_b32 s26, s34
	s_branch .LBB169_58
.LBB169_56:                             ;   in Loop: Header=BB169_52 Depth=3
	s_mov_b64 s[22:23], 0
                                        ; implicit-def: $vgpr4_vgpr5
	s_mov_b32 s26, s34
	s_cbranch_execz .LBB169_58
; %bb.57:                               ;   in Loop: Header=BB169_52 Depth=3
	s_waitcnt vmcnt(0)
	v_mov_b32_e32 v4, v3
	s_mov_b64 s[22:23], -1
	s_mov_b32 s26, 0
.LBB169_58:                             ;   in Loop: Header=BB169_52 Depth=3
	s_andn2_b64 vcc, exec, s[22:23]
	s_cbranch_vccnz .LBB169_51
; %bb.59:                               ;   in Loop: Header=BB169_52 Depth=3
	s_add_i32 s22, s28, s26
	s_lshl_b32 s22, s22, 8
	s_lshl_b32 s23, s26, 3
	s_waitcnt vmcnt(0)
	v_mov_b32_e32 v5, v3
	v_mov_b32_e32 v3, v2
	s_sub_i32 s5, s31, s26
	s_add_i32 s22, s41, s22
	v_add_u32_e32 v6, s23, v14
.LBB169_60:                             ;   Parent Loop BB169_39 Depth=1
                                        ;     Parent Loop BB169_42 Depth=2
                                        ;       Parent Loop BB169_52 Depth=3
                                        ; =>      This Inner Loop Header: Depth=4
	buffer_load_dword v8, v6, s[0:3], 0 offen
	buffer_load_dword v9, v6, s[0:3], 0 offen offset:4
	v_mov_b32_e32 v7, s22
	ds_read_b64 v[16:17], v7
	s_add_i32 s5, s5, -1
	s_addk_i32 s22, 0x100
	s_cmp_eq_u32 s5, 0
	s_waitcnt lgkmcnt(0)
	v_pk_mul_f32 v[18:19], v[16:17], v[4:5]
	v_pk_fma_f32 v[20:21], v[16:17], v[2:3], v[18:19] op_sel:[0,0,1] op_sel_hi:[1,1,0] neg_lo:[0,0,1] neg_hi:[0,0,1]
	v_pk_fma_f32 v[16:17], v[16:17], v[2:3], v[18:19] op_sel:[0,0,1] op_sel_hi:[1,1,0]
	v_mov_b32_e32 v21, v17
	s_waitcnt vmcnt(0)
	v_pk_add_f32 v[8:9], v[8:9], v[20:21] neg_lo:[0,1] neg_hi:[0,1]
	buffer_store_dword v8, v6, s[0:3], 0 offen
	buffer_store_dword v9, v6, s[0:3], 0 offen offset:4
	v_add_u32_e32 v6, 8, v6
	s_cbranch_scc0 .LBB169_60
	s_branch .LBB169_51
.LBB169_61:                             ;   in Loop: Header=BB169_42 Depth=2
	s_mov_b32 s26, 0
	s_mov_b32 s27, s37
	s_branch .LBB169_63
.LBB169_62:                             ;   in Loop: Header=BB169_63 Depth=3
	s_mul_i32 s5, s4, 0x108
	v_mov_b32_e32 v4, s5
	ds_read_b64 v[4:5], v4
	s_lshl_b32 s5, s26, 3
	v_add_u32_e32 v8, s5, v14
	s_ashr_i32 s5, s4, 31
	s_lshl_b64 s[4:5], s[4:5], 3
	s_waitcnt vmcnt(0) lgkmcnt(0)
	v_mul_f32_e32 v6, v5, v3
	v_mul_f32_e32 v7, v4, v3
	v_fma_f32 v6, v4, v2, -v6
	v_fmac_f32_e32 v7, v5, v2
	v_mov_b32_e32 v3, s5
	v_add_co_u32_e32 v2, vcc, s4, v10
	s_add_i32 s26, s26, 1
	s_addk_i32 s27, 0x100
	v_addc_co_u32_e32 v3, vcc, v11, v3, vcc
	s_cmp_eq_u32 s26, s31
	buffer_store_dword v6, v8, s[0:3], 0 offen
	buffer_store_dword v7, v8, s[0:3], 0 offen offset:4
	global_store_dwordx2 v[2:3], v[6:7], off
	s_cbranch_scc1 .LBB169_41
.LBB169_63:                             ;   Parent Loop BB169_39 Depth=1
                                        ;     Parent Loop BB169_42 Depth=2
                                        ; =>    This Loop Header: Depth=3
                                        ;         Child Loop BB169_65 Depth 4
	s_cmp_lg_u32 s26, 0
	s_cbranch_scc0 .LBB169_67
; %bb.64:                               ;   in Loop: Header=BB169_63 Depth=3
	s_lshl_b32 s4, s26, 3
	v_add_u32_e32 v4, s4, v14
	buffer_load_dword v2, v4, s[0:3], 0 offen
	buffer_load_dword v3, v4, s[0:3], 0 offen offset:4
	v_mov_b32_e32 v5, 0
	s_mov_b32 s4, 0
	s_mov_b32 s5, s27
.LBB169_65:                             ;   Parent Loop BB169_39 Depth=1
                                        ;     Parent Loop BB169_42 Depth=2
                                        ;       Parent Loop BB169_63 Depth=3
                                        ; =>      This Inner Loop Header: Depth=4
	buffer_load_dword v7, v5, s[0:3], 0 offen offset:4
	buffer_load_dword v6, v5, s[0:3], 0 offen
	v_mov_b32_e32 v8, s5
	ds_read_b64 v[8:9], v8
	s_add_i32 s4, s4, 1
	s_add_i32 s5, s5, 8
	v_add_u32_e32 v5, 8, v5
	s_cmp_ge_u32 s4, s26
	s_waitcnt vmcnt(1)
	v_mov_b32_e32 v16, v7
	s_waitcnt lgkmcnt(0)
	v_pk_mul_f32 v[16:17], v[8:9], v[16:17] op_sel_hi:[1,0]
	s_waitcnt vmcnt(0)
	v_pk_fma_f32 v[18:19], v[8:9], v[6:7], v[16:17] op_sel:[0,0,1] op_sel_hi:[1,1,0] neg_lo:[0,0,1] neg_hi:[0,0,1]
	v_pk_fma_f32 v[6:7], v[8:9], v[6:7], v[16:17] op_sel:[0,0,1] op_sel_hi:[1,0,0]
	v_mov_b32_e32 v19, v7
	v_pk_add_f32 v[2:3], v[2:3], v[18:19] neg_lo:[0,1] neg_hi:[0,1]
	buffer_store_dword v2, v4, s[0:3], 0 offen
	buffer_store_dword v3, v4, s[0:3], 0 offen offset:4
	s_cbranch_scc0 .LBB169_65
; %bb.66:                               ;   in Loop: Header=BB169_63 Depth=3
	s_add_i32 s4, s26, s28
	s_branch .LBB169_62
.LBB169_67:                             ;   in Loop: Header=BB169_63 Depth=3
                                        ; implicit-def: $vgpr2
                                        ; implicit-def: $sgpr4
	s_cbranch_execz .LBB169_62
; %bb.68:                               ;   in Loop: Header=BB169_63 Depth=3
	buffer_load_dword v2, off, s[0:3], 0
	buffer_load_dword v3, off, s[0:3], 0 offset:4
	s_mov_b32 s4, s28
	s_branch .LBB169_62
.LBB169_69:
	s_mov_b64 s[4:5], 0
.LBB169_70:
	s_and_b64 vcc, exec, s[4:5]
	s_cbranch_vccz .LBB169_102
; %bb.71:
	s_add_u32 s4, s14, s8
	s_addc_u32 s5, s15, s9
	s_add_u32 s4, s4, s6
	s_addc_u32 s5, s5, s7
	v_mov_b32_e32 v2, s5
	v_add_co_u32_e32 v0, vcc, s4, v0
	v_addc_co_u32_e32 v1, vcc, v2, v1, vcc
	v_add_co_u32_e32 v8, vcc, 4, v0
	s_lshl_b32 s26, s42, 8
	s_mov_b32 s7, 0
	s_mov_b32 s10, s24
	;; [unrolled: 1-line block ×5, first 2 shown]
	v_addc_co_u32_e32 v9, vcc, 0, v1, vcc
	s_addk_i32 s26, 0xff00
	v_mov_b32_e32 v12, 0
	s_mov_b32 s8, s33
	s_mov_b32 s14, s7
	s_branch .LBB169_73
.LBB169_72:                             ;   in Loop: Header=BB169_73 Depth=1
	s_cmp_lt_i32 s8, 0
	s_cselect_b64 s[4:5], -1, 0
	s_add_i32 s14, s14, 1
	s_cmp_eq_u32 s14, 3
	s_cselect_b64 s[16:17], -1, 0
	s_or_b64 s[4:5], s[4:5], s[16:17]
	s_and_b64 vcc, exec, s[4:5]
	s_cbranch_vccnz .LBB169_102
.LBB169_73:                             ; =>This Loop Header: Depth=1
                                        ;     Child Loop BB169_76 Depth 2
                                        ;       Child Loop BB169_78 Depth 3
                                        ;       Child Loop BB169_82 Depth 3
	;; [unrolled: 1-line block ×3, first 2 shown]
                                        ;         Child Loop BB169_95 Depth 4
                                        ;         Child Loop BB169_101 Depth 4
                                        ;       Child Loop BB169_86 Depth 3
                                        ;         Child Loop BB169_88 Depth 4
	s_mov_b32 s15, s7
	s_lshl_b64 s[4:5], s[14:15], 2
	s_getpc_b64 s[16:17]
	s_add_u32 s16, s16, __const._ZL30rocblas_trsm_small_left_deviceILi32ELi32ELb0E19rocblas_complex_numIfES1_PKS1_PS1_Ev13rocblas_fill_18rocblas_operation_17rocblas_diagonal_iiT3_T4_lilT5_lili.step_sizes@rel32@lo+4
	s_addc_u32 s17, s17, __const._ZL30rocblas_trsm_small_left_deviceILi32ELi32ELb0E19rocblas_complex_numIfES1_PKS1_PS1_Ev13rocblas_fill_18rocblas_operation_17rocblas_diagonal_iiT3_T4_lilT5_lili.step_sizes@rel32@hi+12
	s_add_u32 s4, s4, s16
	s_addc_u32 s5, s5, s17
	s_load_dword s15, s[4:5], 0x0
	s_waitcnt lgkmcnt(0)
	s_add_i32 s27, s15, -1
	s_cmp_lt_i32 s8, s27
	s_cbranch_scc1 .LBB169_72
; %bb.74:                               ;   in Loop: Header=BB169_73 Depth=1
	s_max_i32 s28, s15, 1
	s_cmp_lg_u32 s14, 2
	s_cselect_b64 s[16:17], -1, 0
	s_and_b32 s29, s28, 0x7ffffffe
	s_cmp_lg_u32 s28, s29
	s_cselect_b64 s[18:19], -1, 0
	s_lshl_b32 s4, s8, 3
	s_add_i32 s30, s26, s4
	s_lshl_b32 s4, s15, 3
	s_sub_i32 s31, 0, s4
	s_mul_i32 s34, s8, 0x108
	s_mul_i32 s35, s15, 0xfffffef8
	s_branch .LBB169_76
.LBB169_75:                             ;   in Loop: Header=BB169_76 Depth=2
	s_sub_i32 s8, s8, s15
	s_add_i32 s30, s30, s31
	s_add_i32 s34, s34, s35
	s_cmp_lt_i32 s8, s27
	s_cbranch_scc1 .LBB169_72
.LBB169_76:                             ;   Parent Loop BB169_73 Depth=1
                                        ; =>  This Loop Header: Depth=2
                                        ;       Child Loop BB169_78 Depth 3
                                        ;       Child Loop BB169_82 Depth 3
	;; [unrolled: 1-line block ×3, first 2 shown]
                                        ;         Child Loop BB169_95 Depth 4
                                        ;         Child Loop BB169_101 Depth 4
                                        ;       Child Loop BB169_86 Depth 3
                                        ;         Child Loop BB169_88 Depth 4
	s_and_b64 vcc, exec, s[16:17]
	s_cbranch_vccz .LBB169_80
; %bb.77:                               ;   in Loop: Header=BB169_76 Depth=2
	v_mov_b32_e32 v0, 0
	s_mov_b32 s9, s8
	s_mov_b32 s20, 1
	s_mov_b32 s21, 0
	s_mov_b32 s22, s29
.LBB169_78:                             ;   Parent Loop BB169_73 Depth=1
                                        ;     Parent Loop BB169_76 Depth=2
                                        ; =>    This Inner Loop Header: Depth=3
	s_sub_i32 s4, s8, s21
	s_sub_i32 s36, s9, s20
	s_ashr_i32 s5, s4, 31
	s_ashr_i32 s37, s36, 31
	s_lshl_b64 s[4:5], s[4:5], 3
	s_lshl_b64 s[36:37], s[36:37], 3
	v_mov_b32_e32 v1, s5
	v_add_co_u32_e64 v4, s[4:5], s4, v10
	v_mov_b32_e32 v3, s37
	v_add_co_u32_e32 v2, vcc, s36, v10
	v_addc_co_u32_e64 v5, s[4:5], v11, v1, s[4:5]
	v_addc_co_u32_e32 v3, vcc, v11, v3, vcc
	global_load_dwordx2 v[6:7], v[4:5], off
	global_load_dwordx2 v[14:15], v[2:3], off
	s_add_i32 s21, s21, 2
	s_add_i32 s20, s20, 2
	s_add_i32 s22, s22, -2
	s_mov_b32 s6, s29
	s_mov_b64 s[4:5], s[18:19]
	s_cmp_lg_u32 s22, 0
	s_waitcnt vmcnt(1)
	v_mov_b32_e32 v2, v6
	s_waitcnt vmcnt(0)
	v_mov_b32_e32 v3, v14
	v_mov_b32_e32 v14, v7
	v_pk_mul_f32 v[4:5], v[14:15], s[12:13]
	v_pk_mul_f32 v[6:7], v[14:15], s[10:11]
	v_pk_fma_f32 v[4:5], v[2:3], s[10:11], v[4:5] neg_lo:[0,0,1] neg_hi:[0,0,1]
	v_pk_fma_f32 v[2:3], v[2:3], s[12:13], v[6:7]
	buffer_store_dword v2, v0, s[0:3], 0 offen offset:4
	buffer_store_dword v4, v0, s[0:3], 0 offen
	buffer_store_dword v3, v0, s[0:3], 0 offen offset:12
	buffer_store_dword v5, v0, s[0:3], 0 offen offset:8
	v_add_u32_e32 v0, 16, v0
	s_cbranch_scc1 .LBB169_78
; %bb.79:                               ;   in Loop: Header=BB169_76 Depth=2
	s_ashr_i32 s9, s8, 31
	s_and_b64 vcc, exec, s[4:5]
	s_cbranch_vccnz .LBB169_81
	s_branch .LBB169_83
.LBB169_80:                             ;   in Loop: Header=BB169_76 Depth=2
	s_mov_b32 s6, 0
	s_ashr_i32 s9, s8, 31
	s_cbranch_execz .LBB169_83
.LBB169_81:                             ;   in Loop: Header=BB169_76 Depth=2
	s_lshl_b64 s[20:21], s[8:9], 3
	s_sub_i32 s4, s28, s6
	s_lshl_b64 s[22:23], s[6:7], 3
	s_sub_u32 s5, s20, s22
	s_subb_u32 s20, s21, s23
	v_mov_b32_e32 v1, s20
	v_add_co_u32_e32 v0, vcc, s5, v8
	s_lshl_b32 s5, s6, 3
	v_addc_co_u32_e32 v1, vcc, v9, v1, vcc
	v_add_u32_e32 v2, s5, v12
.LBB169_82:                             ;   Parent Loop BB169_73 Depth=1
                                        ;     Parent Loop BB169_76 Depth=2
                                        ; =>    This Inner Loop Header: Depth=3
	global_load_dwordx2 v[4:5], v[0:1], off offset:-4
	s_add_i32 s4, s4, -1
	v_add_co_u32_e32 v0, vcc, -8, v0
	v_addc_co_u32_e32 v1, vcc, -1, v1, vcc
	s_cmp_eq_u32 s4, 0
	s_waitcnt vmcnt(0)
	v_mul_f32_e32 v3, s25, v5
	v_mul_f32_e32 v5, s24, v5
	v_fma_f32 v3, v4, s24, -v3
	v_fmac_f32_e32 v5, s25, v4
	buffer_store_dword v3, v2, s[0:3], 0 offen
	buffer_store_dword v5, v2, s[0:3], 0 offen offset:4
	v_add_u32_e32 v2, 8, v2
	s_cbranch_scc0 .LBB169_82
.LBB169_83:                             ;   in Loop: Header=BB169_76 Depth=2
	s_cmp_le_i32 s33, s8
	s_mov_b32 s6, s30
	s_mov_b32 s4, s33
	s_cbranch_scc0 .LBB169_93
.LBB169_84:                             ;   in Loop: Header=BB169_76 Depth=2
	s_mov_b32 s6, 0
	s_mov_b32 s36, s34
	s_branch .LBB169_86
.LBB169_85:                             ;   in Loop: Header=BB169_86 Depth=3
	s_mulk_i32 s20, 0x108
	v_mov_b32_e32 v2, s20
	ds_read_b64 v[2:3], v2
	s_lshl_b64 s[4:5], s[4:5], 3
	s_lshl_b32 s20, s6, 3
	s_add_i32 s6, s6, 1
	s_add_i32 s36, s36, -8
	s_waitcnt vmcnt(0) lgkmcnt(0)
	v_mul_f32_e32 v4, v3, v1
	v_mul_f32_e32 v5, v2, v1
	v_fma_f32 v4, v2, v0, -v4
	v_fmac_f32_e32 v5, v3, v0
	v_mov_b32_e32 v1, s5
	v_add_co_u32_e32 v0, vcc, s4, v10
	v_add_u32_e32 v6, s20, v12
	v_addc_co_u32_e32 v1, vcc, v11, v1, vcc
	s_cmp_eq_u32 s6, s28
	buffer_store_dword v4, v6, s[0:3], 0 offen
	buffer_store_dword v5, v6, s[0:3], 0 offen offset:4
	global_store_dwordx2 v[0:1], v[4:5], off
	s_cbranch_scc1 .LBB169_75
.LBB169_86:                             ;   Parent Loop BB169_73 Depth=1
                                        ;     Parent Loop BB169_76 Depth=2
                                        ; =>    This Loop Header: Depth=3
                                        ;         Child Loop BB169_88 Depth 4
	s_cmp_lg_u32 s6, 0
	s_cbranch_scc0 .LBB169_90
; %bb.87:                               ;   in Loop: Header=BB169_86 Depth=3
	s_lshl_b32 s4, s6, 3
	v_add_u32_e32 v2, s4, v12
	buffer_load_dword v0, v2, s[0:3], 0 offen
	buffer_load_dword v1, v2, s[0:3], 0 offen offset:4
	v_mov_b32_e32 v3, 0
	s_mov_b32 s4, 0
	s_mov_b32 s5, s36
.LBB169_88:                             ;   Parent Loop BB169_73 Depth=1
                                        ;     Parent Loop BB169_76 Depth=2
                                        ;       Parent Loop BB169_86 Depth=3
                                        ; =>      This Inner Loop Header: Depth=4
	buffer_load_dword v5, v3, s[0:3], 0 offen offset:4
	buffer_load_dword v4, v3, s[0:3], 0 offen
	v_mov_b32_e32 v6, s5
	ds_read_b64 v[6:7], v6
	s_add_i32 s4, s4, 1
	s_addk_i32 s5, 0xff00
	v_add_u32_e32 v3, 8, v3
	s_cmp_ge_u32 s4, s6
	s_waitcnt vmcnt(1)
	v_mov_b32_e32 v14, v5
	s_waitcnt lgkmcnt(0)
	v_pk_mul_f32 v[14:15], v[6:7], v[14:15] op_sel_hi:[1,0]
	s_waitcnt vmcnt(0)
	v_pk_fma_f32 v[16:17], v[6:7], v[4:5], v[14:15] op_sel:[0,0,1] op_sel_hi:[1,1,0] neg_lo:[0,0,1] neg_hi:[0,0,1]
	v_pk_fma_f32 v[4:5], v[6:7], v[4:5], v[14:15] op_sel:[0,0,1] op_sel_hi:[1,0,0]
	v_mov_b32_e32 v17, v5
	v_pk_add_f32 v[0:1], v[0:1], v[16:17] neg_lo:[0,1] neg_hi:[0,1]
	buffer_store_dword v0, v2, s[0:3], 0 offen
	buffer_store_dword v1, v2, s[0:3], 0 offen offset:4
	s_cbranch_scc0 .LBB169_88
; %bb.89:                               ;   in Loop: Header=BB169_86 Depth=3
	s_sub_i32 s20, s8, s6
	s_ashr_i32 s21, s20, 31
	s_mov_b64 s[4:5], s[20:21]
	s_branch .LBB169_85
.LBB169_90:                             ;   in Loop: Header=BB169_86 Depth=3
                                        ; implicit-def: $vgpr0
                                        ; implicit-def: $sgpr20
                                        ; implicit-def: $sgpr4_sgpr5
	s_cbranch_execz .LBB169_85
; %bb.91:                               ;   in Loop: Header=BB169_86 Depth=3
	buffer_load_dword v0, off, s[0:3], 0
	buffer_load_dword v1, off, s[0:3], 0 offset:4
	s_mov_b64 s[4:5], s[8:9]
	s_mov_b32 s20, s8
	s_branch .LBB169_85
.LBB169_92:                             ;   in Loop: Header=BB169_93 Depth=3
	s_add_i32 s4, s4, -1
	s_addk_i32 s6, 0xff00
	s_cmp_le_i32 s4, s8
	s_cbranch_scc1 .LBB169_84
.LBB169_93:                             ;   Parent Loop BB169_73 Depth=1
                                        ;     Parent Loop BB169_76 Depth=2
                                        ; =>    This Loop Header: Depth=3
                                        ;         Child Loop BB169_95 Depth 4
                                        ;         Child Loop BB169_101 Depth 4
	s_ashr_i32 s5, s4, 31
	s_lshl_b64 s[20:21], s[4:5], 3
	s_waitcnt vmcnt(0)
	v_mov_b32_e32 v1, s21
	v_add_co_u32_e32 v0, vcc, s20, v10
	v_addc_co_u32_e32 v1, vcc, v11, v1, vcc
	global_load_dwordx2 v[0:1], v[0:1], off
	s_and_b64 vcc, exec, s[16:17]
	s_cbranch_vccz .LBB169_97
; %bb.94:                               ;   in Loop: Header=BB169_93 Depth=3
	s_lshl_b32 s5, s4, 5
	s_add_i32 s5, s5, s8
	s_mov_b32 s20, s5
	s_waitcnt vmcnt(0)
	v_mov_b32_e32 v4, v0
	v_mov_b32_e32 v5, v0
	;; [unrolled: 1-line block ×6, first 2 shown]
	s_mov_b32 s21, 1
	s_mov_b32 s22, 0
	;; [unrolled: 1-line block ×3, first 2 shown]
.LBB169_95:                             ;   Parent Loop BB169_73 Depth=1
                                        ;     Parent Loop BB169_76 Depth=2
                                        ;       Parent Loop BB169_93 Depth=3
                                        ; =>      This Inner Loop Header: Depth=4
	buffer_load_dword v14, v3, s[0:3], 0 offen
	buffer_load_dword v16, v3, s[0:3], 0 offen offset:4
	buffer_load_dword v15, v3, s[0:3], 0 offen offset:8
	;; [unrolled: 1-line block ×3, first 2 shown]
	s_sub_i32 s36, s20, s21
	s_sub_i32 s37, s5, s22
	s_lshl_b32 s37, s37, 3
	s_lshl_b32 s36, s36, 3
	v_mov_b32_e32 v13, s37
	v_mov_b32_e32 v20, s36
	ds_read_b64 v[18:19], v13
	ds_read_b64 v[20:21], v20
	s_add_i32 s22, s22, 2
	s_add_i32 s21, s21, 2
	s_add_i32 s23, s23, -2
	s_waitcnt lgkmcnt(1)
	v_mov_b32_e32 v22, v18
	s_waitcnt lgkmcnt(0)
	v_mov_b32_e32 v23, v20
	v_mov_b32_e32 v20, v19
	v_pk_mul_f32 v[18:19], v[20:21], v[6:7]
	v_pk_mul_f32 v[20:21], v[20:21], v[4:5]
	v_pk_fma_f32 v[18:19], v[22:23], v[4:5], v[18:19] neg_lo:[0,0,1] neg_hi:[0,0,1]
	v_pk_fma_f32 v[20:21], v[22:23], v[6:7], v[20:21]
	s_cmp_lg_u32 s23, 0
	s_waitcnt vmcnt(1)
	v_pk_add_f32 v[14:15], v[14:15], v[18:19] neg_lo:[0,1] neg_hi:[0,1]
	s_waitcnt vmcnt(0)
	v_pk_add_f32 v[16:17], v[16:17], v[20:21] neg_lo:[0,1] neg_hi:[0,1]
	buffer_store_dword v14, v3, s[0:3], 0 offen
	buffer_store_dword v16, v3, s[0:3], 0 offen offset:4
	buffer_store_dword v15, v3, s[0:3], 0 offen offset:8
	;; [unrolled: 1-line block ×3, first 2 shown]
	v_add_u32_e32 v3, 16, v3
	s_cbranch_scc1 .LBB169_95
; %bb.96:                               ;   in Loop: Header=BB169_93 Depth=3
	s_mov_b64 s[20:21], s[18:19]
	s_mov_b32 s22, s29
	s_branch .LBB169_99
.LBB169_97:                             ;   in Loop: Header=BB169_93 Depth=3
	s_mov_b64 s[20:21], 0
                                        ; implicit-def: $vgpr2_vgpr3
	s_mov_b32 s22, s29
	s_cbranch_execz .LBB169_99
; %bb.98:                               ;   in Loop: Header=BB169_93 Depth=3
	s_waitcnt vmcnt(0)
	v_mov_b32_e32 v2, v1
	s_mov_b64 s[20:21], -1
	s_mov_b32 s22, 0
.LBB169_99:                             ;   in Loop: Header=BB169_93 Depth=3
	s_andn2_b64 vcc, exec, s[20:21]
	s_cbranch_vccnz .LBB169_92
; %bb.100:                              ;   in Loop: Header=BB169_93 Depth=3
	s_lshl_b32 s21, s22, 3
	s_waitcnt vmcnt(0)
	v_mov_b32_e32 v3, v1
	v_mov_b32_e32 v1, v0
	s_sub_i32 s5, s6, s21
	s_sub_i32 s20, s28, s22
	v_add_u32_e32 v4, s21, v12
.LBB169_101:                            ;   Parent Loop BB169_73 Depth=1
                                        ;     Parent Loop BB169_76 Depth=2
                                        ;       Parent Loop BB169_93 Depth=3
                                        ; =>      This Inner Loop Header: Depth=4
	buffer_load_dword v6, v4, s[0:3], 0 offen
	buffer_load_dword v7, v4, s[0:3], 0 offen offset:4
	v_mov_b32_e32 v5, s5
	ds_read_b64 v[14:15], v5
	s_add_i32 s5, s5, -8
	s_add_i32 s20, s20, -1
	s_cmp_eq_u32 s20, 0
	s_waitcnt lgkmcnt(0)
	v_pk_mul_f32 v[16:17], v[14:15], v[2:3]
	v_pk_fma_f32 v[18:19], v[14:15], v[0:1], v[16:17] op_sel:[0,0,1] op_sel_hi:[1,1,0] neg_lo:[0,0,1] neg_hi:[0,0,1]
	v_pk_fma_f32 v[14:15], v[14:15], v[0:1], v[16:17] op_sel:[0,0,1] op_sel_hi:[1,1,0]
	v_mov_b32_e32 v19, v15
	s_waitcnt vmcnt(0)
	v_pk_add_f32 v[6:7], v[6:7], v[18:19] neg_lo:[0,1] neg_hi:[0,1]
	buffer_store_dword v6, v4, s[0:3], 0 offen
	buffer_store_dword v7, v4, s[0:3], 0 offen offset:4
	v_add_u32_e32 v4, 8, v4
	s_cbranch_scc0 .LBB169_101
	s_branch .LBB169_92
.LBB169_102:
	s_endpgm
	.section	.rodata,"a",@progbits
	.p2align	6, 0x0
	.amdhsa_kernel _ZL30rocblas_trsm_small_left_deviceILi32ELi32ELb0E19rocblas_complex_numIfES1_PKS1_PS1_Ev13rocblas_fill_18rocblas_operation_17rocblas_diagonal_iiT3_T4_lilT5_lili
		.amdhsa_group_segment_fixed_size 8192
		.amdhsa_private_segment_fixed_size 272
		.amdhsa_kernarg_size 360
		.amdhsa_user_sgpr_count 8
		.amdhsa_user_sgpr_private_segment_buffer 1
		.amdhsa_user_sgpr_dispatch_ptr 0
		.amdhsa_user_sgpr_queue_ptr 0
		.amdhsa_user_sgpr_kernarg_segment_ptr 1
		.amdhsa_user_sgpr_dispatch_id 0
		.amdhsa_user_sgpr_flat_scratch_init 1
		.amdhsa_user_sgpr_kernarg_preload_length 0
		.amdhsa_user_sgpr_kernarg_preload_offset 0
		.amdhsa_user_sgpr_private_segment_size 0
		.amdhsa_uses_dynamic_stack 0
		.amdhsa_system_sgpr_private_segment_wavefront_offset 1
		.amdhsa_system_sgpr_workgroup_id_x 1
		.amdhsa_system_sgpr_workgroup_id_y 0
		.amdhsa_system_sgpr_workgroup_id_z 1
		.amdhsa_system_sgpr_workgroup_info 0
		.amdhsa_system_vgpr_workitem_id 0
		.amdhsa_next_free_vgpr 26
		.amdhsa_next_free_sgpr 46
		.amdhsa_accum_offset 28
		.amdhsa_reserve_vcc 1
		.amdhsa_reserve_flat_scratch 0
		.amdhsa_float_round_mode_32 0
		.amdhsa_float_round_mode_16_64 0
		.amdhsa_float_denorm_mode_32 3
		.amdhsa_float_denorm_mode_16_64 3
		.amdhsa_dx10_clamp 1
		.amdhsa_ieee_mode 1
		.amdhsa_fp16_overflow 0
		.amdhsa_tg_split 0
		.amdhsa_exception_fp_ieee_invalid_op 0
		.amdhsa_exception_fp_denorm_src 0
		.amdhsa_exception_fp_ieee_div_zero 0
		.amdhsa_exception_fp_ieee_overflow 0
		.amdhsa_exception_fp_ieee_underflow 0
		.amdhsa_exception_fp_ieee_inexact 0
		.amdhsa_exception_int_div_zero 0
	.end_amdhsa_kernel
	.section	.text._ZL30rocblas_trsm_small_left_deviceILi32ELi32ELb0E19rocblas_complex_numIfES1_PKS1_PS1_Ev13rocblas_fill_18rocblas_operation_17rocblas_diagonal_iiT3_T4_lilT5_lili,"axG",@progbits,_ZL30rocblas_trsm_small_left_deviceILi32ELi32ELb0E19rocblas_complex_numIfES1_PKS1_PS1_Ev13rocblas_fill_18rocblas_operation_17rocblas_diagonal_iiT3_T4_lilT5_lili,comdat
.Lfunc_end169:
	.size	_ZL30rocblas_trsm_small_left_deviceILi32ELi32ELb0E19rocblas_complex_numIfES1_PKS1_PS1_Ev13rocblas_fill_18rocblas_operation_17rocblas_diagonal_iiT3_T4_lilT5_lili, .Lfunc_end169-_ZL30rocblas_trsm_small_left_deviceILi32ELi32ELb0E19rocblas_complex_numIfES1_PKS1_PS1_Ev13rocblas_fill_18rocblas_operation_17rocblas_diagonal_iiT3_T4_lilT5_lili
                                        ; -- End function
	.section	.AMDGPU.csdata,"",@progbits
; Kernel info:
; codeLenInByte = 4332
; NumSgprs: 50
; NumVgprs: 26
; NumAgprs: 0
; TotalNumVgprs: 26
; ScratchSize: 272
; MemoryBound: 0
; FloatMode: 240
; IeeeMode: 1
; LDSByteSize: 8192 bytes/workgroup (compile time only)
; SGPRBlocks: 6
; VGPRBlocks: 3
; NumSGPRsForWavesPerEU: 50
; NumVGPRsForWavesPerEU: 26
; AccumOffset: 28
; Occupancy: 2
; WaveLimiterHint : 0
; COMPUTE_PGM_RSRC2:SCRATCH_EN: 1
; COMPUTE_PGM_RSRC2:USER_SGPR: 8
; COMPUTE_PGM_RSRC2:TRAP_HANDLER: 0
; COMPUTE_PGM_RSRC2:TGID_X_EN: 1
; COMPUTE_PGM_RSRC2:TGID_Y_EN: 0
; COMPUTE_PGM_RSRC2:TGID_Z_EN: 1
; COMPUTE_PGM_RSRC2:TIDIG_COMP_CNT: 0
; COMPUTE_PGM_RSRC3_GFX90A:ACCUM_OFFSET: 6
; COMPUTE_PGM_RSRC3_GFX90A:TG_SPLIT: 0
	.section	.text._ZL38rocblas_trsm_small_left_device_sharedBILi32ELi32ELb1E19rocblas_complex_numIfES1_PKS1_PS1_Ev13rocblas_fill_18rocblas_operation_17rocblas_diagonal_iiT3_T4_lilT5_lili,"axG",@progbits,_ZL38rocblas_trsm_small_left_device_sharedBILi32ELi32ELb1E19rocblas_complex_numIfES1_PKS1_PS1_Ev13rocblas_fill_18rocblas_operation_17rocblas_diagonal_iiT3_T4_lilT5_lili,comdat
	.globl	_ZL38rocblas_trsm_small_left_device_sharedBILi32ELi32ELb1E19rocblas_complex_numIfES1_PKS1_PS1_Ev13rocblas_fill_18rocblas_operation_17rocblas_diagonal_iiT3_T4_lilT5_lili ; -- Begin function _ZL38rocblas_trsm_small_left_device_sharedBILi32ELi32ELb1E19rocblas_complex_numIfES1_PKS1_PS1_Ev13rocblas_fill_18rocblas_operation_17rocblas_diagonal_iiT3_T4_lilT5_lili
	.p2align	8
	.type	_ZL38rocblas_trsm_small_left_device_sharedBILi32ELi32ELb1E19rocblas_complex_numIfES1_PKS1_PS1_Ev13rocblas_fill_18rocblas_operation_17rocblas_diagonal_iiT3_T4_lilT5_lili,@function
_ZL38rocblas_trsm_small_left_device_sharedBILi32ELi32ELb1E19rocblas_complex_numIfES1_PKS1_PS1_Ev13rocblas_fill_18rocblas_operation_17rocblas_diagonal_iiT3_T4_lilT5_lili: ; @_ZL38rocblas_trsm_small_left_device_sharedBILi32ELi32ELb1E19rocblas_complex_numIfES1_PKS1_PS1_Ev13rocblas_fill_18rocblas_operation_17rocblas_diagonal_iiT3_T4_lilT5_lili
; %bb.0:
	s_add_u32 s0, s0, s10
	s_load_dwordx4 s[20:23], s[4:5], 0x4
	s_load_dwordx2 s[30:31], s[4:5], 0x14
	s_load_dwordx4 s[16:19], s[4:5], 0x38
	s_load_dwordx2 s[24:25], s[4:5], 0x48
	s_load_dword s42, s[4:5], 0x68
	s_addc_u32 s1, s1, 0
	s_waitcnt lgkmcnt(0)
	s_min_i32 s33, s22, 32
	s_mov_b32 s43, 0
	s_add_i32 s53, s33, -1
	v_cmp_gt_i32_e32 vcc, s33, v0
	s_and_saveexec_b64 s[26:27], vcc
	s_cbranch_execz .LBB170_35
; %bb.1:
	s_load_dword s28, s[4:5], 0x30
	s_load_dwordx4 s[12:15], s[4:5], 0x20
	s_mul_i32 s6, s9, s17
	s_mul_hi_u32 s7, s9, s16
	s_mul_i32 s16, s9, s16
	s_waitcnt lgkmcnt(0)
	s_ashr_i32 s29, s28, 31
	s_cmpk_lg_i32 s20, 0x71
	s_cselect_b64 s[34:35], -1, 0
	s_add_i32 s17, s7, s6
	v_cndmask_b32_e64 v1, 0, 1, s[34:35]
	s_cmp_lt_u32 s53, 3
	v_cmp_ne_u32_e64 s[6:7], 1, v1
	s_cbranch_scc1 .LBB170_20
; %bb.2:
	s_lshl_b64 s[10:11], s[16:17], 3
	s_add_u32 s36, s12, s10
	s_addc_u32 s37, s13, s11
	s_lshl_b64 s[10:11], s[14:15], 3
	s_add_u32 s10, s36, s10
	s_addc_u32 s11, s37, s11
	v_lshlrev_b32_e32 v1, 3, v0
	v_mov_b32_e32 v3, s11
	v_add_co_u32_e32 v2, vcc, s10, v1
	s_mul_hi_i32 s10, s28, 24
	s_lshl_b64 s[36:37], s[28:29], 5
	s_lshl_b64 s[38:39], s[28:29], 4
	;; [unrolled: 1-line block ×3, first 2 shown]
	v_addc_co_u32_e32 v3, vcc, 0, v3, vcc
	s_and_b32 s43, s33, -4
	s_mul_i32 s44, s28, 24
	s_mov_b32 s45, 0
	v_mov_b32_e32 v8, s41
	v_mov_b32_e32 v9, s39
	;; [unrolled: 1-line block ×4, first 2 shown]
	s_branch .LBB170_4
.LBB170_3:                              ;   in Loop: Header=BB170_4 Depth=1
	global_load_dword v4, v[6:7], off
	s_add_i32 s45, s45, 4
	v_add_co_u32_e32 v2, vcc, s36, v2
	v_addc_co_u32_e32 v3, vcc, v3, v11, vcc
	s_cmp_eq_u32 s43, s45
	s_waitcnt vmcnt(0)
	ds_write_b64 v1, v[4:5] offset:768
	v_add_u32_e32 v1, 0x400, v1
	s_cbranch_scc1 .LBB170_20
.LBB170_4:                              ; =>This Inner Loop Header: Depth=1
	s_and_b64 vcc, exec, s[34:35]
	s_cbranch_vccz .LBB170_6
; %bb.5:                                ;   in Loop: Header=BB170_4 Depth=1
	global_load_dword v5, v[2:3], off offset:4
	s_cbranch_execz .LBB170_7
	s_branch .LBB170_8
.LBB170_6:                              ;   in Loop: Header=BB170_4 Depth=1
                                        ; implicit-def: $vgpr5
.LBB170_7:                              ;   in Loop: Header=BB170_4 Depth=1
	global_load_dword v4, v[2:3], off offset:4
	s_waitcnt vmcnt(0)
	v_xor_b32_e32 v5, 0x80000000, v4
.LBB170_8:                              ;   in Loop: Header=BB170_4 Depth=1
	global_load_dword v4, v[2:3], off
	v_add_co_u32_e64 v6, s[10:11], s40, v2
	s_and_b64 vcc, exec, s[6:7]
	v_addc_co_u32_e64 v7, s[10:11], v3, v8, s[10:11]
	s_waitcnt vmcnt(0)
	ds_write_b64 v1, v[4:5]
	s_cbranch_vccnz .LBB170_10
; %bb.9:                                ;   in Loop: Header=BB170_4 Depth=1
	global_load_dword v5, v[6:7], off offset:4
	s_cbranch_execz .LBB170_11
	s_branch .LBB170_12
.LBB170_10:                             ;   in Loop: Header=BB170_4 Depth=1
                                        ; implicit-def: $vgpr5
.LBB170_11:                             ;   in Loop: Header=BB170_4 Depth=1
	global_load_dword v4, v[6:7], off offset:4
	s_waitcnt vmcnt(0)
	v_xor_b32_e32 v5, 0x80000000, v4
.LBB170_12:                             ;   in Loop: Header=BB170_4 Depth=1
	global_load_dword v4, v[6:7], off
	v_add_co_u32_e64 v6, s[10:11], s38, v2
	s_and_b64 vcc, exec, s[6:7]
	v_addc_co_u32_e64 v7, s[10:11], v3, v9, s[10:11]
	s_waitcnt vmcnt(0)
	ds_write_b64 v1, v[4:5] offset:256
	s_cbranch_vccnz .LBB170_14
; %bb.13:                               ;   in Loop: Header=BB170_4 Depth=1
	global_load_dword v5, v[6:7], off offset:4
	s_cbranch_execz .LBB170_15
	s_branch .LBB170_16
.LBB170_14:                             ;   in Loop: Header=BB170_4 Depth=1
                                        ; implicit-def: $vgpr5
.LBB170_15:                             ;   in Loop: Header=BB170_4 Depth=1
	global_load_dword v4, v[6:7], off offset:4
	s_waitcnt vmcnt(0)
	v_xor_b32_e32 v5, 0x80000000, v4
.LBB170_16:                             ;   in Loop: Header=BB170_4 Depth=1
	global_load_dword v4, v[6:7], off
	v_add_co_u32_e64 v6, s[10:11], s44, v2
	s_and_b64 vcc, exec, s[6:7]
	v_addc_co_u32_e64 v7, s[10:11], v3, v10, s[10:11]
	s_waitcnt vmcnt(0)
	ds_write_b64 v1, v[4:5] offset:512
	s_cbranch_vccnz .LBB170_18
; %bb.17:                               ;   in Loop: Header=BB170_4 Depth=1
	global_load_dword v5, v[6:7], off offset:4
	s_cbranch_execnz .LBB170_3
	s_branch .LBB170_19
.LBB170_18:                             ;   in Loop: Header=BB170_4 Depth=1
                                        ; implicit-def: $vgpr5
.LBB170_19:                             ;   in Loop: Header=BB170_4 Depth=1
	global_load_dword v4, v[6:7], off offset:4
	s_waitcnt vmcnt(0)
	v_xor_b32_e32 v5, 0x80000000, v4
	s_branch .LBB170_3
.LBB170_20:
	s_and_b32 s34, s33, 3
	s_cmp_eq_u32 s34, 0
	s_cbranch_scc1 .LBB170_27
; %bb.21:
	s_lshl_b64 s[10:11], s[16:17], 3
	s_mul_i32 s16, s29, s43
	s_mul_hi_u32 s17, s28, s43
	s_add_i32 s17, s17, s16
	s_mul_i32 s16, s28, s43
	s_lshl_b64 s[16:17], s[16:17], 3
	s_add_u32 s16, s10, s16
	s_addc_u32 s17, s11, s17
	s_lshl_b64 s[10:11], s[14:15], 3
	s_add_u32 s10, s16, s10
	s_addc_u32 s11, s17, s11
	s_add_u32 s10, s12, s10
	v_lshlrev_b32_e32 v2, 3, v0
	s_addc_u32 s11, s13, s11
	v_lshl_or_b32 v1, s43, 8, v2
	v_mov_b32_e32 v3, s11
	v_add_co_u32_e32 v2, vcc, s10, v2
	v_addc_co_u32_e32 v3, vcc, 0, v3, vcc
	v_add_co_u32_e32 v2, vcc, 4, v2
	s_lshl_b64 s[10:11], s[28:29], 3
	v_addc_co_u32_e32 v3, vcc, 0, v3, vcc
	v_mov_b32_e32 v6, s11
	s_branch .LBB170_23
.LBB170_22:                             ;   in Loop: Header=BB170_23 Depth=1
	global_load_dword v4, v[2:3], off offset:-4
	s_add_i32 s34, s34, -1
	v_add_co_u32_e32 v2, vcc, s10, v2
	s_cmp_lg_u32 s34, 0
	v_addc_co_u32_e32 v3, vcc, v3, v6, vcc
	s_waitcnt vmcnt(0)
	ds_write_b64 v1, v[4:5]
	v_add_u32_e32 v1, 0x100, v1
	s_cbranch_scc0 .LBB170_27
.LBB170_23:                             ; =>This Inner Loop Header: Depth=1
	s_and_b64 vcc, exec, s[6:7]
	s_cbranch_vccnz .LBB170_25
; %bb.24:                               ;   in Loop: Header=BB170_23 Depth=1
	global_load_dword v5, v[2:3], off
	s_cbranch_execnz .LBB170_22
	s_branch .LBB170_26
.LBB170_25:                             ;   in Loop: Header=BB170_23 Depth=1
                                        ; implicit-def: $vgpr5
.LBB170_26:                             ;   in Loop: Header=BB170_23 Depth=1
	global_load_dword v4, v[2:3], off
	s_waitcnt vmcnt(0)
	v_xor_b32_e32 v5, 0x80000000, v4
	s_branch .LBB170_22
.LBB170_27:
	v_mul_u32_u24_e32 v1, 33, v0
	s_cmpk_lg_i32 s21, 0x84
	v_lshlrev_b32_e32 v1, 3, v1
	s_mov_b64 s[6:7], -1
	s_cbranch_scc0 .LBB170_33
; %bb.28:
	ds_read_b64 v[2:3], v1
	s_mov_b32 s6, 0
	s_waitcnt lgkmcnt(0)
	v_cmp_gt_f32_e32 vcc, 0, v3
	v_cndmask_b32_e64 v4, v3, -v3, vcc
	v_cmp_gt_f32_e32 vcc, 0, v2
	v_cndmask_b32_e64 v5, v2, -v2, vcc
	v_cmp_ngt_f32_e32 vcc, v5, v4
                                        ; implicit-def: $vgpr4_vgpr5
	s_and_saveexec_b64 s[10:11], vcc
	s_xor_b64 s[10:11], exec, s[10:11]
	s_cbranch_execz .LBB170_30
; %bb.29:
	v_div_scale_f32 v4, s[12:13], v3, v3, v2
	v_rcp_f32_e32 v5, v4
	v_div_scale_f32 v6, vcc, v2, v3, v2
	s_mov_b32 s7, -1.0
	v_fma_f32 v7, -v4, v5, 1.0
	v_fmac_f32_e32 v5, v7, v5
	v_mul_f32_e32 v7, v6, v5
	v_fma_f32 v8, -v4, v7, v6
	v_fmac_f32_e32 v7, v8, v5
	v_fma_f32 v4, -v4, v7, v6
	v_div_fmas_f32 v4, v4, v5, v7
	v_div_fixup_f32 v4, v4, v3, v2
	v_fmac_f32_e32 v3, v2, v4
	v_div_scale_f32 v2, s[12:13], v3, v3, 1.0
	v_rcp_f32_e32 v5, v2
	v_fma_f32 v6, -v2, v5, 1.0
	v_fmac_f32_e32 v5, v6, v5
	v_div_scale_f32 v6, vcc, 1.0, v3, 1.0
	v_mul_f32_e32 v7, v6, v5
	v_fma_f32 v8, -v2, v7, v6
	v_fmac_f32_e32 v7, v8, v5
	v_fma_f32 v2, -v2, v7, v6
	v_div_fmas_f32 v2, v2, v5, v7
	v_mul_f32_e32 v5, 0, v4
	v_div_fixup_f32 v2, v2, v3, 1.0
	v_pk_add_f32 v[4:5], v[4:5], s[6:7]
	v_pk_mul_f32 v[4:5], v[4:5], v[2:3] op_sel_hi:[1,0]
                                        ; implicit-def: $vgpr2_vgpr3
.LBB170_30:
	s_andn2_saveexec_b64 s[6:7], s[10:11]
	s_cbranch_execz .LBB170_32
; %bb.31:
	v_div_scale_f32 v4, s[10:11], v2, v2, v3
	v_rcp_f32_e32 v5, v4
	v_div_scale_f32 v6, vcc, v3, v2, v3
	v_fma_f32 v7, -v4, v5, 1.0
	v_fmac_f32_e32 v5, v7, v5
	v_mul_f32_e32 v7, v6, v5
	v_fma_f32 v8, -v4, v7, v6
	v_fmac_f32_e32 v7, v8, v5
	v_fma_f32 v4, -v4, v7, v6
	v_div_fmas_f32 v4, v4, v5, v7
	v_div_fixup_f32 v5, v4, v2, v3
	v_fmac_f32_e32 v2, v3, v5
	v_div_scale_f32 v3, s[10:11], v2, v2, 1.0
	v_rcp_f32_e32 v4, v3
	s_mov_b32 s10, 1.0
	s_mov_b32 s11, 0
	v_fma_f32 v6, -v3, v4, 1.0
	v_fmac_f32_e32 v4, v6, v4
	v_div_scale_f32 v6, vcc, 1.0, v2, 1.0
	v_mul_f32_e32 v7, v6, v4
	v_fma_f32 v8, -v3, v7, v6
	v_fmac_f32_e32 v7, v8, v4
	v_fma_f32 v3, -v3, v7, v6
	v_div_fmas_f32 v3, v3, v4, v7
	v_mul_f32_e32 v4, 0, v5
	v_pk_add_f32 v[6:7], v[4:5], s[10:11]
	v_pk_add_f32 v[4:5], v[4:5], s[10:11] neg_lo:[1,0] neg_hi:[1,0]
	v_div_fixup_f32 v2, v3, v2, 1.0
	v_mov_b32_e32 v7, v5
	v_pk_mul_f32 v[4:5], v[6:7], v[2:3] op_sel_hi:[1,0]
.LBB170_32:
	s_or_b64 exec, exec, s[6:7]
	s_mov_b64 s[6:7], 0
	ds_write_b64 v1, v[4:5]
.LBB170_33:
	s_and_b64 vcc, exec, s[6:7]
	s_cbranch_vccz .LBB170_35
; %bb.34:
	v_mov_b32_e32 v2, 1.0
	v_mov_b32_e32 v3, 0
	ds_write_b64 v1, v[2:3]
.LBB170_35:
	s_or_b64 exec, exec, s[26:27]
	s_load_dword s21, s[4:5], 0x50
	s_load_dwordx2 s[6:7], s[4:5], 0x58
	s_waitcnt lgkmcnt(0)
	s_ashr_i32 s52, s21, 31
	s_mul_i32 s5, s9, s7
	s_mul_hi_u32 s7, s9, s6
	s_mul_i32 s4, s9, s6
	s_add_i32 s5, s7, s5
	s_lshl_b64 s[16:17], s[4:5], 3
	s_add_u32 s4, s18, s16
	s_addc_u32 s5, s19, s17
	s_lshl_b64 s[24:25], s[24:25], 3
	s_add_u32 s6, s4, s24
	s_addc_u32 s7, s5, s25
	s_lshl_b32 s26, s8, 5
	s_add_i32 s42, s42, -1
	s_sub_i32 s4, s23, s26
	s_cmp_ge_u32 s8, s42
	s_cselect_b32 s8, s4, 32
	s_mul_hi_i32 s5, s21, s26
	s_mul_i32 s4, s21, s26
	s_ashr_i32 s27, s26, 31
	s_lshl_b64 s[4:5], s[4:5], 3
	s_add_u32 s23, s6, s4
	s_addc_u32 s54, s7, s5
	s_cmp_gt_i32 s22, 0
	v_cmp_gt_i32_e32 vcc, s8, v0
	s_cselect_b64 s[4:5], -1, 0
	s_mov_b32 s6, 0
	s_and_b64 s[28:29], vcc, s[4:5]
	s_and_saveexec_b64 s[34:35], s[28:29]
	s_cbranch_execz .LBB170_48
; %bb.36:
	s_cmp_lt_i32 s22, 2
	s_mov_b64 s[4:5], -1
	s_cbranch_scc1 .LBB170_45
; %bb.37:
	v_mad_i64_i32 v[2:3], s[4:5], s21, v0, 0
	s_add_i32 s5, s33, -2
	v_lshlrev_b64 v[2:3], 3, v[2:3]
	s_lshr_b32 s55, s5, 1
	v_mov_b32_e32 v4, s54
	v_add_co_u32_e32 v1, vcc, s23, v2
	s_mov_b32 s40, 1
	s_add_i32 s55, s55, 1
	s_mov_b32 s43, 0
	v_addc_co_u32_e32 v2, vcc, v4, v3, vcc
	s_mov_b32 s36, s30
	s_mov_b32 s37, s30
	s_mov_b32 s38, s31
	s_mov_b32 s39, s31
	s_mov_b32 s4, s43
	s_cmp_lt_u32 s5, 6
	s_mov_b32 s5, s40
	s_cbranch_scc1 .LBB170_41
; %bb.38:
	s_and_b32 s56, s55, -4
	v_lshlrev_b32_e32 v3, 3, v0
	s_mov_b32 s42, s43
.LBB170_39:                             ; =>This Inner Loop Header: Depth=1
	s_lshl_b64 s[4:5], s[42:43], 3
	s_mov_b32 s41, s43
	s_add_i32 s44, s40, 2
	s_add_i32 s46, s42, 2
	s_mov_b32 s47, s43
	s_mov_b32 s45, s43
	s_add_i32 s48, s40, 4
	s_add_i32 s50, s42, 4
	s_mov_b32 s51, s43
	;; [unrolled: 4-line block ×3, first 2 shown]
	s_mov_b32 s59, s43
	v_mov_b32_e32 v5, s5
	v_add_co_u32_e32 v4, vcc, s4, v1
	s_lshl_b64 s[14:15], s[40:41], 3
	s_lshl_b64 s[6:7], s[46:47], 3
	;; [unrolled: 1-line block ×7, first 2 shown]
	v_addc_co_u32_e32 v5, vcc, v2, v5, vcc
	v_mov_b32_e32 v7, s15
	v_mov_b32_e32 v9, s7
	v_add_co_u32_e32 v6, vcc, s6, v1
	v_mov_b32_e32 v11, s9
	v_add_co_u32_e64 v8, s[4:5], s8, v1
	v_mov_b32_e32 v13, s11
	v_add_co_u32_e64 v10, s[6:7], s10, v1
	;; [unrolled: 2-line block ×5, first 2 shown]
	v_add_co_u32_e64 v18, s[14:15], s14, v1
	v_addc_co_u32_e64 v19, s[14:15], v2, v7, s[14:15]
	v_addc_co_u32_e32 v7, vcc, v2, v9, vcc
	v_addc_co_u32_e64 v9, vcc, v2, v11, s[4:5]
	v_addc_co_u32_e64 v11, vcc, v2, v13, s[6:7]
	;; [unrolled: 1-line block ×5, first 2 shown]
	global_load_dwordx2 v[20:21], v[4:5], off
	global_load_dwordx2 v[22:23], v[18:19], off
	global_load_dwordx2 v[24:25], v[6:7], off
	global_load_dwordx2 v[26:27], v[8:9], off
	global_load_dwordx2 v[28:29], v[10:11], off
	global_load_dwordx2 v[30:31], v[12:13], off
	global_load_dwordx2 v[32:33], v[14:15], off
	global_load_dwordx2 v[34:35], v[16:17], off
	v_lshl_or_b32 v36, s42, 8, v3
	v_lshl_or_b32 v37, s40, 8, v3
	s_add_i32 s42, s42, 8
	s_add_i32 s56, s56, -4
	s_add_i32 s40, s40, 8
	s_cmp_lg_u32 s56, 0
	v_lshl_or_b32 v38, s46, 8, v3
	v_lshl_or_b32 v39, s44, 8, v3
	;; [unrolled: 1-line block ×6, first 2 shown]
	s_waitcnt vmcnt(7)
	v_mov_b32_e32 v4, v20
	s_waitcnt vmcnt(6)
	v_mov_b32_e32 v5, v22
	v_mov_b32_e32 v22, v21
	s_waitcnt vmcnt(4)
	v_mov_b32_e32 v7, v26
	;; [unrolled: 3-line block ×4, first 2 shown]
	v_mov_b32_e32 v34, v33
	v_pk_mul_f32 v[12:13], s[38:39], v[22:23]
	v_pk_mul_f32 v[14:15], s[36:37], v[22:23]
	v_mov_b32_e32 v6, v24
	v_mov_b32_e32 v8, v28
	;; [unrolled: 1-line block ×3, first 2 shown]
	v_pk_mul_f32 v[16:17], s[38:39], v[26:27]
	v_pk_mul_f32 v[18:19], s[36:37], v[26:27]
	;; [unrolled: 1-line block ×6, first 2 shown]
	v_pk_fma_f32 v[12:13], s[36:37], v[4:5], v[12:13] neg_lo:[0,0,1] neg_hi:[0,0,1]
	v_pk_fma_f32 v[4:5], s[38:39], v[4:5], v[14:15]
	v_pk_fma_f32 v[14:15], s[36:37], v[6:7], v[16:17] neg_lo:[0,0,1] neg_hi:[0,0,1]
	v_pk_fma_f32 v[6:7], s[38:39], v[6:7], v[18:19]
	;; [unrolled: 2-line block ×4, first 2 shown]
	v_mov_b32_e32 v20, v12
	v_mov_b32_e32 v21, v4
	;; [unrolled: 1-line block ×12, first 2 shown]
	ds_write_b64 v36, v[20:21] offset:8192
	ds_write_b64 v37, v[4:5] offset:8192
	;; [unrolled: 1-line block ×8, first 2 shown]
	s_cbranch_scc1 .LBB170_39
; %bb.40:
	s_mov_b32 s43, s40
	s_mov_b64 s[4:5], s[42:43]
.LBB170_41:
	s_and_b32 s6, s55, 3
	s_cmp_eq_u32 s6, 0
	s_mov_b32 s7, 0
	s_cbranch_scc1 .LBB170_44
; %bb.42:
	s_sub_i32 s6, 0, s6
	v_mov_b32_e32 v3, s6
	v_lshlrev_b32_e32 v4, 3, v0
.LBB170_43:                             ; =>This Inner Loop Header: Depth=1
	s_mov_b32 s6, s4
	s_lshl_b64 s[8:9], s[6:7], 3
	s_mov_b32 s6, s5
	v_mov_b32_e32 v5, s9
	v_add_co_u32_e32 v6, vcc, s8, v1
	s_lshl_b64 s[10:11], s[6:7], 3
	v_addc_co_u32_e32 v7, vcc, v2, v5, vcc
	v_mov_b32_e32 v5, s11
	v_add_co_u32_e32 v8, vcc, s10, v1
	v_addc_co_u32_e32 v9, vcc, v2, v5, vcc
	global_load_dwordx2 v[10:11], v[6:7], off
	global_load_dwordx2 v[12:13], v[8:9], off
	v_add_co_u32_e32 v3, vcc, 1, v3
	v_lshl_or_b32 v5, s4, 8, v4
	v_lshl_or_b32 v14, s5, 8, v4
	s_add_i32 s4, s4, 2
	s_add_i32 s5, s5, 2
	s_andn2_b64 vcc, exec, vcc
	s_waitcnt vmcnt(1)
	v_mov_b32_e32 v6, v10
	s_waitcnt vmcnt(0)
	v_mov_b32_e32 v7, v12
	v_mov_b32_e32 v12, v11
	v_pk_mul_f32 v[8:9], s[38:39], v[12:13]
	v_pk_mul_f32 v[10:11], s[36:37], v[12:13]
	v_pk_fma_f32 v[8:9], s[36:37], v[6:7], v[8:9] neg_lo:[0,0,1] neg_hi:[0,0,1]
	v_pk_fma_f32 v[6:7], s[38:39], v[6:7], v[10:11]
	v_mov_b32_e32 v10, v8
	v_mov_b32_e32 v11, v6
	;; [unrolled: 1-line block ×3, first 2 shown]
	ds_write_b64 v5, v[10:11] offset:8192
	ds_write_b64 v14, v[6:7] offset:8192
	s_cbranch_vccnz .LBB170_43
.LBB170_44:
	s_and_b32 s6, s33, 62
	s_cmp_lg_u32 s33, s6
	s_cselect_b64 s[4:5], -1, 0
.LBB170_45:
	s_and_b64 vcc, exec, s[4:5]
	s_cbranch_vccz .LBB170_48
; %bb.46:
	s_sub_i32 s4, s33, s6
	s_lshl_b64 s[8:9], s[26:27], 3
	s_lshl_b32 s5, s6, 3
	v_lshlrev_b32_e32 v2, 3, v0
	s_add_u32 s5, s18, s5
	v_lshl_or_b32 v1, s6, 8, v2
	s_addc_u32 s6, s19, 0
	s_add_u32 s5, s5, s24
	s_addc_u32 s7, s6, s25
	s_add_u32 s6, s5, s16
	v_mov_b32_e32 v3, s9
	v_add_co_u32_e32 v4, vcc, s8, v2
	s_addc_u32 s7, s7, s17
	v_addc_co_u32_e32 v5, vcc, 0, v3, vcc
	v_pk_mov_b32 v[2:3], s[6:7], s[6:7] op_sel:[0,1]
	v_mad_u64_u32 v[2:3], s[6:7], v4, s21, v[2:3]
	v_mul_lo_u32 v4, v4, s52
	v_mul_lo_u32 v5, v5, s21
	v_add3_u32 v3, v5, v3, v4
	v_add_co_u32_e32 v2, vcc, 4, v2
	v_add_u32_e32 v1, 0x2000, v1
	v_addc_co_u32_e32 v3, vcc, 0, v3, vcc
.LBB170_47:                             ; =>This Inner Loop Header: Depth=1
	global_load_dwordx2 v[4:5], v[2:3], off offset:-4
	s_add_i32 s4, s4, -1
	v_add_co_u32_e32 v2, vcc, 8, v2
	v_addc_co_u32_e32 v3, vcc, 0, v3, vcc
	s_cmp_lg_u32 s4, 0
	s_waitcnt vmcnt(0)
	v_mul_f32_e32 v6, s31, v5
	v_mul_f32_e32 v7, s30, v5
	v_fma_f32 v6, s30, v4, -v6
	v_fmac_f32_e32 v7, s31, v4
	ds_write_b64 v1, v[6:7]
	v_add_u32_e32 v1, 0x100, v1
	s_cbranch_scc1 .LBB170_47
.LBB170_48:
	s_or_b64 exec, exec, s[34:35]
	s_cmpk_eq_i32 s20, 0x6f
	s_mov_b64 s[4:5], -1
	s_waitcnt lgkmcnt(0)
	; wave barrier
	s_waitcnt lgkmcnt(0)
	s_cbranch_scc1 .LBB170_77
; %bb.49:
	v_mov_b32_e32 v1, 0x2000
	s_lshl_b32 s14, s33, 3
	s_mov_b32 s5, 0
	v_lshl_or_b32 v1, v0, 3, v1
	s_add_i32 s14, s14, -8
	v_lshlrev_b32_e32 v10, 3, v0
	v_mov_b32_e32 v11, 0
	s_mov_b32 s4, s5
	s_mov_b32 s15, s53
	s_branch .LBB170_51
.LBB170_50:                             ;   in Loop: Header=BB170_51 Depth=1
	s_cmp_lt_i32 s15, 0
	s_cselect_b64 s[6:7], -1, 0
	s_add_i32 s4, s4, 1
	s_cmp_eq_u32 s4, 3
	s_cselect_b64 s[8:9], -1, 0
	s_or_b64 s[6:7], s[6:7], s[8:9]
	s_andn2_b64 vcc, exec, s[6:7]
	s_cbranch_vccz .LBB170_76
.LBB170_51:                             ; =>This Loop Header: Depth=1
                                        ;     Child Loop BB170_54 Depth 2
                                        ;       Child Loop BB170_55 Depth 3
                                        ;       Child Loop BB170_59 Depth 3
                                        ;         Child Loop BB170_61 Depth 4
                                        ;         Child Loop BB170_67 Depth 4
                                        ;       Child Loop BB170_70 Depth 3
                                        ;         Child Loop BB170_72 Depth 4
	s_lshl_b64 s[6:7], s[4:5], 2
	s_getpc_b64 s[8:9]
	s_add_u32 s8, s8, __const._ZL38rocblas_trsm_small_left_device_sharedBILi32ELi32ELb1E19rocblas_complex_numIfES1_PKS1_PS1_Ev13rocblas_fill_18rocblas_operation_17rocblas_diagonal_iiT3_T4_lilT5_lili.step_sizes@rel32@lo+4
	s_addc_u32 s9, s9, __const._ZL38rocblas_trsm_small_left_device_sharedBILi32ELi32ELb1E19rocblas_complex_numIfES1_PKS1_PS1_Ev13rocblas_fill_18rocblas_operation_17rocblas_diagonal_iiT3_T4_lilT5_lili.step_sizes@rel32@hi+12
	s_add_u32 s6, s6, s8
	s_addc_u32 s7, s7, s9
	s_load_dword s20, s[6:7], 0x0
	s_waitcnt lgkmcnt(0)
	s_add_i32 s30, s20, -1
	s_cmp_lt_i32 s15, s30
	s_cbranch_scc1 .LBB170_50
; %bb.52:                               ;   in Loop: Header=BB170_51 Depth=1
	s_max_i32 s31, s20, 1
	s_cmp_lg_u32 s4, 2
	s_cselect_b64 s[6:7], -1, 0
	s_and_b32 s34, s31, 0x7ffffffe
	s_cmp_lg_u32 s31, s34
	s_cselect_b64 s[8:9], -1, 0
	s_lshl_b32 s10, s15, 8
	s_lshl_b32 s11, s20, 8
	v_add_u32_e32 v12, s10, v1
	s_sub_i32 s35, 0, s11
	s_add_i32 s36, s14, s10
	s_mul_i32 s37, s15, 0x108
	s_mul_i32 s38, s20, 0xfffffef8
	s_branch .LBB170_54
.LBB170_53:                             ;   in Loop: Header=BB170_54 Depth=2
	s_sub_i32 s15, s15, s20
	s_add_i32 s36, s36, s35
	s_add_i32 s37, s37, s38
	s_cmp_lt_i32 s15, s30
	v_add_u32_e32 v12, s35, v12
	s_cbranch_scc1 .LBB170_50
.LBB170_54:                             ;   Parent Loop BB170_51 Depth=1
                                        ; =>  This Loop Header: Depth=2
                                        ;       Child Loop BB170_55 Depth 3
                                        ;       Child Loop BB170_59 Depth 3
                                        ;         Child Loop BB170_61 Depth 4
                                        ;         Child Loop BB170_67 Depth 4
                                        ;       Child Loop BB170_70 Depth 3
                                        ;         Child Loop BB170_72 Depth 4
	v_mov_b32_e32 v2, 0
	v_mov_b32_e32 v3, v12
	s_mov_b32 s10, s31
.LBB170_55:                             ;   Parent Loop BB170_51 Depth=1
                                        ;     Parent Loop BB170_54 Depth=2
                                        ; =>    This Inner Loop Header: Depth=3
	ds_read_b64 v[4:5], v3
	s_add_i32 s10, s10, -1
	v_add_u32_e32 v3, 0xffffff00, v3
	s_cmp_eq_u32 s10, 0
	s_waitcnt lgkmcnt(0)
	buffer_store_dword v5, v2, s[0:3], 0 offen offset:4
	buffer_store_dword v4, v2, s[0:3], 0 offen
	v_add_u32_e32 v2, 8, v2
	s_cbranch_scc0 .LBB170_55
; %bb.56:                               ;   in Loop: Header=BB170_54 Depth=2
	s_cmp_le_i32 s53, s15
	s_cbranch_scc1 .LBB170_68
; %bb.57:                               ;   in Loop: Header=BB170_54 Depth=2
	s_mov_b32 s39, s15
	s_mov_b32 s40, s36
	;; [unrolled: 1-line block ×3, first 2 shown]
	s_branch .LBB170_59
.LBB170_58:                             ;   in Loop: Header=BB170_59 Depth=3
	s_add_i32 s41, s41, -1
	s_add_i32 s40, s40, -8
	s_cmp_le_i32 s41, s15
	s_cbranch_scc1 .LBB170_68
.LBB170_59:                             ;   Parent Loop BB170_51 Depth=1
                                        ;     Parent Loop BB170_54 Depth=2
                                        ; =>    This Loop Header: Depth=3
                                        ;         Child Loop BB170_61 Depth 4
                                        ;         Child Loop BB170_67 Depth 4
	s_waitcnt lgkmcnt(0)
	v_lshl_or_b32 v2, s41, 8, v10
	ds_read_b64 v[2:3], v2 offset:8192
	s_and_b64 vcc, exec, s[6:7]
	s_cbranch_vccz .LBB170_63
; %bb.60:                               ;   in Loop: Header=BB170_59 Depth=3
	s_mov_b32 s10, s41
	s_waitcnt lgkmcnt(0)
	v_mov_b32_e32 v6, v2
	v_mov_b32_e32 v7, v2
	;; [unrolled: 1-line block ×6, first 2 shown]
	s_mov_b32 s11, 1
	s_mov_b32 s12, 0
	;; [unrolled: 1-line block ×3, first 2 shown]
.LBB170_61:                             ;   Parent Loop BB170_51 Depth=1
                                        ;     Parent Loop BB170_54 Depth=2
                                        ;       Parent Loop BB170_59 Depth=3
                                        ; =>      This Inner Loop Header: Depth=4
	buffer_load_dword v14, v5, s[0:3], 0 offen
	buffer_load_dword v16, v5, s[0:3], 0 offen offset:4
	buffer_load_dword v15, v5, s[0:3], 0 offen offset:8
	;; [unrolled: 1-line block ×3, first 2 shown]
	s_sub_i32 s42, s39, s11
	s_sub_i32 s43, s15, s12
	s_lshl_b32 s43, s43, 5
	s_lshl_b32 s42, s42, 5
	s_add_i32 s42, s42, s10
	s_add_i32 s43, s43, s41
	s_lshl_b32 s43, s43, 3
	s_lshl_b32 s42, s42, 3
	v_mov_b32_e32 v13, s43
	v_mov_b32_e32 v20, s42
	ds_read_b64 v[18:19], v13
	ds_read_b64 v[20:21], v20
	s_add_i32 s12, s12, 2
	s_add_i32 s11, s11, 2
	s_add_i32 s13, s13, -2
	s_waitcnt lgkmcnt(1)
	v_mov_b32_e32 v22, v18
	s_waitcnt lgkmcnt(0)
	v_mov_b32_e32 v23, v20
	v_mov_b32_e32 v20, v19
	v_pk_mul_f32 v[18:19], v[20:21], v[8:9]
	v_pk_mul_f32 v[20:21], v[20:21], v[6:7]
	v_pk_fma_f32 v[18:19], v[22:23], v[6:7], v[18:19] neg_lo:[0,0,1] neg_hi:[0,0,1]
	v_pk_fma_f32 v[20:21], v[22:23], v[8:9], v[20:21]
	s_cmp_lg_u32 s13, 0
	s_waitcnt vmcnt(1)
	v_pk_add_f32 v[14:15], v[14:15], v[18:19] neg_lo:[0,1] neg_hi:[0,1]
	s_waitcnt vmcnt(0)
	v_pk_add_f32 v[16:17], v[16:17], v[20:21] neg_lo:[0,1] neg_hi:[0,1]
	buffer_store_dword v14, v5, s[0:3], 0 offen
	buffer_store_dword v16, v5, s[0:3], 0 offen offset:4
	buffer_store_dword v15, v5, s[0:3], 0 offen offset:8
	buffer_store_dword v17, v5, s[0:3], 0 offen offset:12
	v_add_u32_e32 v5, 16, v5
	s_cbranch_scc1 .LBB170_61
; %bb.62:                               ;   in Loop: Header=BB170_59 Depth=3
	s_mov_b64 s[10:11], s[8:9]
	s_mov_b32 s12, s34
	s_branch .LBB170_65
.LBB170_63:                             ;   in Loop: Header=BB170_59 Depth=3
	s_mov_b64 s[10:11], 0
                                        ; implicit-def: $vgpr4_vgpr5
	s_mov_b32 s12, s34
	s_cbranch_execz .LBB170_65
; %bb.64:                               ;   in Loop: Header=BB170_59 Depth=3
	s_waitcnt lgkmcnt(0)
	v_mov_b32_e32 v4, v3
	s_mov_b64 s[10:11], -1
	s_mov_b32 s12, 0
.LBB170_65:                             ;   in Loop: Header=BB170_59 Depth=3
	s_andn2_b64 vcc, exec, s[10:11]
	s_cbranch_vccnz .LBB170_58
; %bb.66:                               ;   in Loop: Header=BB170_59 Depth=3
	s_sub_i32 s10, s31, s12
	s_lshl_b32 s11, s12, 8
	s_lshl_b32 s12, s12, 3
	s_waitcnt lgkmcnt(0)
	v_mov_b32_e32 v5, v3
	v_mov_b32_e32 v3, v2
	s_sub_i32 s11, s40, s11
	v_add_u32_e32 v6, s12, v11
.LBB170_67:                             ;   Parent Loop BB170_51 Depth=1
                                        ;     Parent Loop BB170_54 Depth=2
                                        ;       Parent Loop BB170_59 Depth=3
                                        ; =>      This Inner Loop Header: Depth=4
	buffer_load_dword v8, v6, s[0:3], 0 offen
	buffer_load_dword v9, v6, s[0:3], 0 offen offset:4
	v_mov_b32_e32 v7, s11
	ds_read_b64 v[14:15], v7
	s_add_i32 s10, s10, -1
	s_addk_i32 s11, 0xff00
	s_cmp_eq_u32 s10, 0
	s_waitcnt lgkmcnt(0)
	v_pk_mul_f32 v[16:17], v[14:15], v[4:5]
	v_pk_fma_f32 v[18:19], v[14:15], v[2:3], v[16:17] op_sel:[0,0,1] op_sel_hi:[1,1,0] neg_lo:[0,0,1] neg_hi:[0,0,1]
	v_pk_fma_f32 v[14:15], v[14:15], v[2:3], v[16:17] op_sel:[0,0,1] op_sel_hi:[1,1,0]
	v_mov_b32_e32 v19, v15
	s_waitcnt vmcnt(0)
	v_pk_add_f32 v[8:9], v[8:9], v[18:19] neg_lo:[0,1] neg_hi:[0,1]
	buffer_store_dword v8, v6, s[0:3], 0 offen
	buffer_store_dword v9, v6, s[0:3], 0 offen offset:4
	v_add_u32_e32 v6, 8, v6
	s_cbranch_scc0 .LBB170_67
	s_branch .LBB170_58
.LBB170_68:                             ;   in Loop: Header=BB170_54 Depth=2
	s_lshl_b32 s12, s15, 5
	s_mov_b32 s13, 0
	s_mov_b32 s39, s37
	s_branch .LBB170_70
.LBB170_69:                             ;   in Loop: Header=BB170_70 Depth=3
	s_mul_i32 s10, s41, 0x108
	v_mov_b32_e32 v4, s10
	ds_read_b64 v[4:5], v4
	s_lshl_b32 s10, s13, 3
	s_add_i32 s13, s13, 1
	s_addk_i32 s39, 0xff00
	v_add_u32_e32 v8, s10, v11
	s_waitcnt vmcnt(0) lgkmcnt(0)
	v_mul_f32_e32 v6, v5, v3
	v_mul_f32_e32 v7, v4, v3
	v_fma_f32 v6, v4, v2, -v6
	v_fmac_f32_e32 v7, v5, v2
	v_add_lshl_u32 v2, s40, v0, 3
	s_cmp_eq_u32 s13, s31
	buffer_store_dword v6, v8, s[0:3], 0 offen
	buffer_store_dword v7, v8, s[0:3], 0 offen offset:4
	ds_write_b64 v2, v[6:7] offset:8192
	s_cbranch_scc1 .LBB170_53
.LBB170_70:                             ;   Parent Loop BB170_51 Depth=1
                                        ;     Parent Loop BB170_54 Depth=2
                                        ; =>    This Loop Header: Depth=3
                                        ;         Child Loop BB170_72 Depth 4
	s_cmp_lg_u32 s13, 0
	s_cbranch_scc0 .LBB170_74
; %bb.71:                               ;   in Loop: Header=BB170_70 Depth=3
	s_lshl_b32 s10, s13, 3
	v_add_u32_e32 v4, s10, v11
	s_waitcnt lgkmcnt(0)
	buffer_load_dword v2, v4, s[0:3], 0 offen
	buffer_load_dword v3, v4, s[0:3], 0 offen offset:4
	v_mov_b32_e32 v5, 0
	s_mov_b32 s10, 0
	s_mov_b32 s11, s39
.LBB170_72:                             ;   Parent Loop BB170_51 Depth=1
                                        ;     Parent Loop BB170_54 Depth=2
                                        ;       Parent Loop BB170_70 Depth=3
                                        ; =>      This Inner Loop Header: Depth=4
	buffer_load_dword v7, v5, s[0:3], 0 offen offset:4
	buffer_load_dword v6, v5, s[0:3], 0 offen
	v_mov_b32_e32 v8, s11
	ds_read_b64 v[8:9], v8
	s_add_i32 s10, s10, 1
	s_add_i32 s11, s11, -8
	v_add_u32_e32 v5, 8, v5
	s_cmp_ge_u32 s10, s13
	s_waitcnt vmcnt(1)
	v_mov_b32_e32 v14, v7
	s_waitcnt lgkmcnt(0)
	v_pk_mul_f32 v[14:15], v[8:9], v[14:15] op_sel_hi:[1,0]
	s_waitcnt vmcnt(0)
	v_pk_fma_f32 v[16:17], v[8:9], v[6:7], v[14:15] op_sel:[0,0,1] op_sel_hi:[1,1,0] neg_lo:[0,0,1] neg_hi:[0,0,1]
	v_pk_fma_f32 v[6:7], v[8:9], v[6:7], v[14:15] op_sel:[0,0,1] op_sel_hi:[1,0,0]
	v_mov_b32_e32 v17, v7
	v_pk_add_f32 v[2:3], v[2:3], v[16:17] neg_lo:[0,1] neg_hi:[0,1]
	buffer_store_dword v2, v4, s[0:3], 0 offen
	buffer_store_dword v3, v4, s[0:3], 0 offen offset:4
	s_cbranch_scc0 .LBB170_72
; %bb.73:                               ;   in Loop: Header=BB170_70 Depth=3
	s_sub_i32 s41, s15, s13
	s_lshl_b32 s40, s41, 5
	s_branch .LBB170_69
.LBB170_74:                             ;   in Loop: Header=BB170_70 Depth=3
                                        ; implicit-def: $vgpr2
                                        ; implicit-def: $sgpr41
                                        ; implicit-def: $sgpr40
	s_cbranch_execz .LBB170_69
; %bb.75:                               ;   in Loop: Header=BB170_70 Depth=3
	s_waitcnt lgkmcnt(0)
	buffer_load_dword v2, off, s[0:3], 0
	buffer_load_dword v3, off, s[0:3], 0 offset:4
	s_mov_b32 s40, s12
	s_mov_b32 s41, s15
	s_branch .LBB170_69
.LBB170_76:
	s_mov_b64 s[4:5], 0
.LBB170_77:
	s_and_b64 vcc, exec, s[4:5]
	s_cbranch_vccz .LBB170_105
; %bb.78:
	v_mov_b32_e32 v1, 0x2000
	s_mov_b32 s5, 0
	v_lshl_or_b32 v1, v0, 3, v1
	v_mov_b32_e32 v10, 0
	v_lshlrev_b32_e32 v11, 3, v0
	s_mov_b32 s4, s5
	s_mov_b32 s14, s5
	s_branch .LBB170_80
.LBB170_79:                             ;   in Loop: Header=BB170_80 Depth=1
	s_cmp_ge_i32 s14, s33
	s_cselect_b64 s[6:7], -1, 0
	s_add_i32 s4, s4, 1
	s_cmp_eq_u32 s4, 3
	s_cselect_b64 s[8:9], -1, 0
	s_or_b64 s[6:7], s[6:7], s[8:9]
	s_and_b64 vcc, exec, s[6:7]
	s_cbranch_vccnz .LBB170_105
.LBB170_80:                             ; =>This Loop Header: Depth=1
                                        ;     Child Loop BB170_83 Depth 2
                                        ;       Child Loop BB170_84 Depth 3
                                        ;       Child Loop BB170_88 Depth 3
                                        ;         Child Loop BB170_90 Depth 4
                                        ;         Child Loop BB170_96 Depth 4
                                        ;       Child Loop BB170_99 Depth 3
                                        ;         Child Loop BB170_101 Depth 4
	s_lshl_b64 s[6:7], s[4:5], 2
	s_getpc_b64 s[8:9]
	s_add_u32 s8, s8, __const._ZL38rocblas_trsm_small_left_device_sharedBILi32ELi32ELb1E19rocblas_complex_numIfES1_PKS1_PS1_Ev13rocblas_fill_18rocblas_operation_17rocblas_diagonal_iiT3_T4_lilT5_lili.step_sizes@rel32@lo+4
	s_addc_u32 s9, s9, __const._ZL38rocblas_trsm_small_left_device_sharedBILi32ELi32ELb1E19rocblas_complex_numIfES1_PKS1_PS1_Ev13rocblas_fill_18rocblas_operation_17rocblas_diagonal_iiT3_T4_lilT5_lili.step_sizes@rel32@hi+12
	s_add_u32 s6, s6, s8
	s_addc_u32 s7, s7, s9
	s_load_dword s15, s[6:7], 0x0
	s_waitcnt lgkmcnt(0)
	s_add_i32 s20, s15, -1
	s_add_i32 s6, s20, s14
	s_cmp_ge_i32 s6, s33
	s_cbranch_scc1 .LBB170_79
; %bb.81:                               ;   in Loop: Header=BB170_80 Depth=1
	s_max_i32 s30, s15, 1
	s_cmp_lg_u32 s4, 2
	s_cselect_b64 s[6:7], -1, 0
	s_and_b32 s31, s30, 0x7ffffffe
	s_cmp_lg_u32 s30, s31
	s_cselect_b64 s[8:9], -1, 0
	v_lshl_add_u32 v12, s14, 8, v1
	s_lshl_b32 s34, s15, 8
	s_mul_i32 s35, s14, 0x108
	s_mul_i32 s36, s15, 0x108
	s_branch .LBB170_83
.LBB170_82:                             ;   in Loop: Header=BB170_83 Depth=2
	s_add_i32 s14, s14, s15
	s_add_i32 s10, s20, s14
	;; [unrolled: 1-line block ×3, first 2 shown]
	s_cmp_ge_i32 s10, s33
	v_add_u32_e32 v12, s34, v12
	s_cbranch_scc1 .LBB170_79
.LBB170_83:                             ;   Parent Loop BB170_80 Depth=1
                                        ; =>  This Loop Header: Depth=2
                                        ;       Child Loop BB170_84 Depth 3
                                        ;       Child Loop BB170_88 Depth 3
                                        ;         Child Loop BB170_90 Depth 4
                                        ;         Child Loop BB170_96 Depth 4
                                        ;       Child Loop BB170_99 Depth 3
                                        ;         Child Loop BB170_101 Depth 4
	v_mov_b32_e32 v2, 0
	v_mov_b32_e32 v3, v12
	s_mov_b32 s10, s30
.LBB170_84:                             ;   Parent Loop BB170_80 Depth=1
                                        ;     Parent Loop BB170_83 Depth=2
                                        ; =>    This Inner Loop Header: Depth=3
	ds_read_b64 v[4:5], v3
	s_add_i32 s10, s10, -1
	v_add_u32_e32 v3, 0x100, v3
	s_cmp_eq_u32 s10, 0
	s_waitcnt lgkmcnt(0)
	buffer_store_dword v5, v2, s[0:3], 0 offen offset:4
	buffer_store_dword v4, v2, s[0:3], 0 offen
	v_add_u32_e32 v2, 8, v2
	s_cbranch_scc0 .LBB170_84
; %bb.85:                               ;   in Loop: Header=BB170_83 Depth=2
	s_cmp_lt_i32 s14, 1
	s_cbranch_scc1 .LBB170_97
; %bb.86:                               ;   in Loop: Header=BB170_83 Depth=2
	s_mov_b32 s37, 0
	s_mov_b32 s38, s14
	s_branch .LBB170_88
.LBB170_87:                             ;   in Loop: Header=BB170_88 Depth=3
	s_add_i32 s37, s37, 1
	s_add_i32 s38, s38, 32
	s_cmp_ge_i32 s37, s14
	s_cbranch_scc1 .LBB170_97
.LBB170_88:                             ;   Parent Loop BB170_80 Depth=1
                                        ;     Parent Loop BB170_83 Depth=2
                                        ; =>    This Loop Header: Depth=3
                                        ;         Child Loop BB170_90 Depth 4
                                        ;         Child Loop BB170_96 Depth 4
	s_lshl_b32 s10, s37, 5
	s_waitcnt lgkmcnt(0)
	v_or_b32_e32 v2, s10, v0
	v_lshlrev_b32_e32 v2, 3, v2
	ds_read_b64 v[2:3], v2 offset:8192
	s_and_b64 vcc, exec, s[6:7]
	s_cbranch_vccz .LBB170_92
; %bb.89:                               ;   in Loop: Header=BB170_88 Depth=3
	s_add_i32 s10, s10, s14
	s_mov_b32 s11, s10
	s_waitcnt lgkmcnt(0)
	v_mov_b32_e32 v6, v2
	v_mov_b32_e32 v7, v2
	v_mov_b32_e32 v4, v3
	v_mov_b32_e32 v5, 0
	v_mov_b32_e32 v8, v3
	v_mov_b32_e32 v9, v3
	s_mov_b32 s12, 1
	s_mov_b32 s13, 0
	;; [unrolled: 1-line block ×3, first 2 shown]
.LBB170_90:                             ;   Parent Loop BB170_80 Depth=1
                                        ;     Parent Loop BB170_83 Depth=2
                                        ;       Parent Loop BB170_88 Depth=3
                                        ; =>      This Inner Loop Header: Depth=4
	buffer_load_dword v14, v5, s[0:3], 0 offen
	buffer_load_dword v16, v5, s[0:3], 0 offen offset:4
	buffer_load_dword v15, v5, s[0:3], 0 offen offset:8
	;; [unrolled: 1-line block ×3, first 2 shown]
	s_add_i32 s40, s11, s12
	s_add_i32 s41, s10, s13
	s_lshl_b32 s41, s41, 3
	s_lshl_b32 s40, s40, 3
	v_mov_b32_e32 v13, s41
	v_mov_b32_e32 v20, s40
	ds_read_b64 v[18:19], v13
	ds_read_b64 v[20:21], v20
	s_add_i32 s13, s13, 2
	s_add_i32 s12, s12, 2
	s_add_i32 s39, s39, -2
	s_waitcnt lgkmcnt(1)
	v_mov_b32_e32 v22, v18
	s_waitcnt lgkmcnt(0)
	v_mov_b32_e32 v23, v20
	v_mov_b32_e32 v20, v19
	v_pk_mul_f32 v[18:19], v[20:21], v[8:9]
	v_pk_mul_f32 v[20:21], v[20:21], v[6:7]
	v_pk_fma_f32 v[18:19], v[22:23], v[6:7], v[18:19] neg_lo:[0,0,1] neg_hi:[0,0,1]
	v_pk_fma_f32 v[20:21], v[22:23], v[8:9], v[20:21]
	s_cmp_lg_u32 s39, 0
	s_waitcnt vmcnt(1)
	v_pk_add_f32 v[14:15], v[14:15], v[18:19] neg_lo:[0,1] neg_hi:[0,1]
	s_waitcnt vmcnt(0)
	v_pk_add_f32 v[16:17], v[16:17], v[20:21] neg_lo:[0,1] neg_hi:[0,1]
	buffer_store_dword v14, v5, s[0:3], 0 offen
	buffer_store_dword v16, v5, s[0:3], 0 offen offset:4
	buffer_store_dword v15, v5, s[0:3], 0 offen offset:8
	;; [unrolled: 1-line block ×3, first 2 shown]
	v_add_u32_e32 v5, 16, v5
	s_cbranch_scc1 .LBB170_90
; %bb.91:                               ;   in Loop: Header=BB170_88 Depth=3
	s_mov_b64 s[10:11], s[8:9]
	s_mov_b32 s12, s31
	s_branch .LBB170_94
.LBB170_92:                             ;   in Loop: Header=BB170_88 Depth=3
	s_mov_b64 s[10:11], 0
                                        ; implicit-def: $vgpr4_vgpr5
	s_mov_b32 s12, s31
	s_cbranch_execz .LBB170_94
; %bb.93:                               ;   in Loop: Header=BB170_88 Depth=3
	s_waitcnt lgkmcnt(0)
	v_mov_b32_e32 v4, v3
	s_mov_b64 s[10:11], -1
	s_mov_b32 s12, 0
.LBB170_94:                             ;   in Loop: Header=BB170_88 Depth=3
	s_andn2_b64 vcc, exec, s[10:11]
	s_cbranch_vccnz .LBB170_87
; %bb.95:                               ;   in Loop: Header=BB170_88 Depth=3
	s_sub_i32 s10, s30, s12
	s_add_i32 s11, s12, s38
	s_lshl_b32 s12, s12, 3
	s_waitcnt lgkmcnt(0)
	v_mov_b32_e32 v5, v3
	v_mov_b32_e32 v3, v2
	s_lshl_b32 s11, s11, 3
	v_add_u32_e32 v6, s12, v10
.LBB170_96:                             ;   Parent Loop BB170_80 Depth=1
                                        ;     Parent Loop BB170_83 Depth=2
                                        ;       Parent Loop BB170_88 Depth=3
                                        ; =>      This Inner Loop Header: Depth=4
	buffer_load_dword v8, v6, s[0:3], 0 offen
	buffer_load_dword v9, v6, s[0:3], 0 offen offset:4
	v_mov_b32_e32 v7, s11
	ds_read_b64 v[14:15], v7
	s_add_i32 s10, s10, -1
	s_add_i32 s11, s11, 8
	s_cmp_eq_u32 s10, 0
	s_waitcnt lgkmcnt(0)
	v_pk_mul_f32 v[16:17], v[14:15], v[4:5]
	v_pk_fma_f32 v[18:19], v[14:15], v[2:3], v[16:17] op_sel:[0,0,1] op_sel_hi:[1,1,0] neg_lo:[0,0,1] neg_hi:[0,0,1]
	v_pk_fma_f32 v[14:15], v[14:15], v[2:3], v[16:17] op_sel:[0,0,1] op_sel_hi:[1,1,0]
	v_mov_b32_e32 v19, v15
	s_waitcnt vmcnt(0)
	v_pk_add_f32 v[8:9], v[8:9], v[18:19] neg_lo:[0,1] neg_hi:[0,1]
	buffer_store_dword v8, v6, s[0:3], 0 offen
	buffer_store_dword v9, v6, s[0:3], 0 offen offset:4
	v_add_u32_e32 v6, 8, v6
	s_cbranch_scc0 .LBB170_96
	s_branch .LBB170_87
.LBB170_97:                             ;   in Loop: Header=BB170_83 Depth=2
	s_mov_b32 s12, 0
	s_mov_b32 s13, s35
	s_branch .LBB170_99
.LBB170_98:                             ;   in Loop: Header=BB170_99 Depth=3
	s_mul_i32 s10, s37, 0x108
	v_mov_b32_e32 v4, s10
	ds_read_b64 v[4:5], v4
	s_lshl_b32 s10, s12, 3
	s_add_i32 s12, s12, 1
	s_add_i32 s13, s13, 8
	v_add_u32_e32 v8, s10, v10
	s_waitcnt vmcnt(0) lgkmcnt(0)
	v_mul_f32_e32 v6, v5, v3
	v_mul_f32_e32 v7, v4, v3
	v_fma_f32 v6, v4, v2, -v6
	v_fmac_f32_e32 v7, v5, v2
	v_lshl_or_b32 v2, s37, 8, v11
	s_cmp_eq_u32 s12, s30
	buffer_store_dword v6, v8, s[0:3], 0 offen
	buffer_store_dword v7, v8, s[0:3], 0 offen offset:4
	ds_write_b64 v2, v[6:7] offset:8192
	s_cbranch_scc1 .LBB170_82
.LBB170_99:                             ;   Parent Loop BB170_80 Depth=1
                                        ;     Parent Loop BB170_83 Depth=2
                                        ; =>    This Loop Header: Depth=3
                                        ;         Child Loop BB170_101 Depth 4
	s_cmp_lg_u32 s12, 0
	s_cbranch_scc0 .LBB170_103
; %bb.100:                              ;   in Loop: Header=BB170_99 Depth=3
	s_lshl_b32 s10, s12, 3
	v_add_u32_e32 v4, s10, v10
	s_waitcnt lgkmcnt(0)
	buffer_load_dword v2, v4, s[0:3], 0 offen
	buffer_load_dword v3, v4, s[0:3], 0 offen offset:4
	v_mov_b32_e32 v5, 0
	s_mov_b32 s10, 0
	s_mov_b32 s11, s13
.LBB170_101:                            ;   Parent Loop BB170_80 Depth=1
                                        ;     Parent Loop BB170_83 Depth=2
                                        ;       Parent Loop BB170_99 Depth=3
                                        ; =>      This Inner Loop Header: Depth=4
	buffer_load_dword v7, v5, s[0:3], 0 offen offset:4
	buffer_load_dword v6, v5, s[0:3], 0 offen
	v_mov_b32_e32 v8, s11
	ds_read_b64 v[8:9], v8
	s_add_i32 s10, s10, 1
	s_addk_i32 s11, 0x100
	v_add_u32_e32 v5, 8, v5
	s_cmp_ge_u32 s10, s12
	s_waitcnt vmcnt(1)
	v_mov_b32_e32 v14, v7
	s_waitcnt lgkmcnt(0)
	v_pk_mul_f32 v[14:15], v[8:9], v[14:15] op_sel_hi:[1,0]
	s_waitcnt vmcnt(0)
	v_pk_fma_f32 v[16:17], v[8:9], v[6:7], v[14:15] op_sel:[0,0,1] op_sel_hi:[1,1,0] neg_lo:[0,0,1] neg_hi:[0,0,1]
	v_pk_fma_f32 v[6:7], v[8:9], v[6:7], v[14:15] op_sel:[0,0,1] op_sel_hi:[1,0,0]
	v_mov_b32_e32 v17, v7
	v_pk_add_f32 v[2:3], v[2:3], v[16:17] neg_lo:[0,1] neg_hi:[0,1]
	buffer_store_dword v2, v4, s[0:3], 0 offen
	buffer_store_dword v3, v4, s[0:3], 0 offen offset:4
	s_cbranch_scc0 .LBB170_101
; %bb.102:                              ;   in Loop: Header=BB170_99 Depth=3
	s_add_i32 s37, s12, s14
	s_branch .LBB170_98
.LBB170_103:                            ;   in Loop: Header=BB170_99 Depth=3
                                        ; implicit-def: $vgpr2
                                        ; implicit-def: $sgpr37
	s_cbranch_execz .LBB170_98
; %bb.104:                              ;   in Loop: Header=BB170_99 Depth=3
	s_waitcnt lgkmcnt(0)
	buffer_load_dword v2, off, s[0:3], 0
	buffer_load_dword v3, off, s[0:3], 0 offset:4
	s_mov_b32 s37, s14
	s_branch .LBB170_98
.LBB170_105:
	s_waitcnt lgkmcnt(0)
	; wave barrier
	s_waitcnt lgkmcnt(0)
	s_and_saveexec_b64 s[4:5], s[28:29]
	s_cbranch_execz .LBB170_112
; %bb.106:
	s_cmp_lt_i32 s22, 8
	s_mov_b32 s4, 0
	s_cbranch_scc1 .LBB170_109
; %bb.107:
	v_mad_i64_i32 v[2:3], s[4:5], s21, v0, 0
	v_lshlrev_b64 v[2:3], 3, v[2:3]
	v_mov_b32_e32 v4, s54
	v_add_co_u32_e32 v1, vcc, s23, v2
	v_addc_co_u32_e32 v2, vcc, v4, v3, vcc
	v_mov_b32_e32 v3, 0x2000
	s_lshl_b32 s4, s33, 3
	v_lshl_or_b32 v3, v0, 3, v3
	s_and_b32 s5, s4, 0x1c0
	s_mov_b32 s4, 0
	s_mov_b64 s[6:7], 0
.LBB170_108:                            ; =>This Inner Loop Header: Depth=1
	ds_read2_b64 v[4:7], v3 offset1:32
	ds_read2_b64 v[8:11], v3 offset0:64 offset1:96
	ds_read2_b64 v[12:15], v3 offset0:128 offset1:160
	;; [unrolled: 1-line block ×3, first 2 shown]
	s_add_i32 s4, s4, 8
	v_add_co_u32_e32 v20, vcc, s6, v1
	s_add_u32 s6, s6, 64
	v_mov_b32_e32 v21, s7
	s_addc_u32 s7, s7, 0
	v_add_u32_e32 v3, 0x800, v3
	v_addc_co_u32_e32 v21, vcc, v2, v21, vcc
	s_cmp_lg_u32 s5, s6
	s_waitcnt lgkmcnt(3)
	global_store_dwordx4 v[20:21], v[4:7], off
	s_waitcnt lgkmcnt(2)
	global_store_dwordx4 v[20:21], v[8:11], off offset:16
	s_waitcnt lgkmcnt(1)
	global_store_dwordx4 v[20:21], v[12:15], off offset:32
	;; [unrolled: 2-line block ×3, first 2 shown]
	s_cbranch_scc1 .LBB170_108
.LBB170_109:
	s_and_b32 s6, s33, 7
	s_cmp_eq_u32 s6, 0
	s_mov_b32 s5, 0
	s_cbranch_scc1 .LBB170_112
; %bb.110:
	s_lshl_b64 s[8:9], s[26:27], 3
	v_lshlrev_b32_e32 v2, 3, v0
	v_mov_b32_e32 v0, s9
	v_add_co_u32_e32 v3, vcc, s8, v2
	s_lshl_b64 s[8:9], s[4:5], 3
	s_add_u32 s5, s18, s8
	s_addc_u32 s7, s19, s9
	s_add_u32 s5, s5, s24
	s_addc_u32 s7, s7, s25
	;; [unrolled: 2-line block ×3, first 2 shown]
	v_addc_co_u32_e32 v4, vcc, 0, v0, vcc
	v_pk_mov_b32 v[0:1], s[8:9], s[8:9] op_sel:[0,1]
	v_mad_u64_u32 v[0:1], s[8:9], v3, s21, v[0:1]
	v_mul_lo_u32 v3, v3, s52
	v_mul_lo_u32 v4, v4, s21
	v_lshl_or_b32 v2, s4, 8, v2
	v_add3_u32 v1, v4, v1, v3
	v_add_u32_e32 v2, 0x2000, v2
.LBB170_111:                            ; =>This Inner Loop Header: Depth=1
	ds_read_b64 v[4:5], v2
	s_add_i32 s6, s6, -1
	v_add_u32_e32 v2, 0x100, v2
	s_cmp_lg_u32 s6, 0
	s_waitcnt lgkmcnt(0)
	global_store_dwordx2 v[0:1], v[4:5], off
	v_add_co_u32_e32 v0, vcc, 8, v0
	v_addc_co_u32_e32 v1, vcc, 0, v1, vcc
	s_cbranch_scc1 .LBB170_111
.LBB170_112:
	s_endpgm
	.section	.rodata,"a",@progbits
	.p2align	6, 0x0
	.amdhsa_kernel _ZL38rocblas_trsm_small_left_device_sharedBILi32ELi32ELb1E19rocblas_complex_numIfES1_PKS1_PS1_Ev13rocblas_fill_18rocblas_operation_17rocblas_diagonal_iiT3_T4_lilT5_lili
		.amdhsa_group_segment_fixed_size 16384
		.amdhsa_private_segment_fixed_size 272
		.amdhsa_kernarg_size 360
		.amdhsa_user_sgpr_count 8
		.amdhsa_user_sgpr_private_segment_buffer 1
		.amdhsa_user_sgpr_dispatch_ptr 0
		.amdhsa_user_sgpr_queue_ptr 0
		.amdhsa_user_sgpr_kernarg_segment_ptr 1
		.amdhsa_user_sgpr_dispatch_id 0
		.amdhsa_user_sgpr_flat_scratch_init 1
		.amdhsa_user_sgpr_kernarg_preload_length 0
		.amdhsa_user_sgpr_kernarg_preload_offset 0
		.amdhsa_user_sgpr_private_segment_size 0
		.amdhsa_uses_dynamic_stack 0
		.amdhsa_system_sgpr_private_segment_wavefront_offset 1
		.amdhsa_system_sgpr_workgroup_id_x 1
		.amdhsa_system_sgpr_workgroup_id_y 0
		.amdhsa_system_sgpr_workgroup_id_z 1
		.amdhsa_system_sgpr_workgroup_info 0
		.amdhsa_system_vgpr_workitem_id 0
		.amdhsa_next_free_vgpr 44
		.amdhsa_next_free_sgpr 66
		.amdhsa_accum_offset 44
		.amdhsa_reserve_vcc 1
		.amdhsa_reserve_flat_scratch 0
		.amdhsa_float_round_mode_32 0
		.amdhsa_float_round_mode_16_64 0
		.amdhsa_float_denorm_mode_32 3
		.amdhsa_float_denorm_mode_16_64 3
		.amdhsa_dx10_clamp 1
		.amdhsa_ieee_mode 1
		.amdhsa_fp16_overflow 0
		.amdhsa_tg_split 0
		.amdhsa_exception_fp_ieee_invalid_op 0
		.amdhsa_exception_fp_denorm_src 0
		.amdhsa_exception_fp_ieee_div_zero 0
		.amdhsa_exception_fp_ieee_overflow 0
		.amdhsa_exception_fp_ieee_underflow 0
		.amdhsa_exception_fp_ieee_inexact 0
		.amdhsa_exception_int_div_zero 0
	.end_amdhsa_kernel
	.section	.text._ZL38rocblas_trsm_small_left_device_sharedBILi32ELi32ELb1E19rocblas_complex_numIfES1_PKS1_PS1_Ev13rocblas_fill_18rocblas_operation_17rocblas_diagonal_iiT3_T4_lilT5_lili,"axG",@progbits,_ZL38rocblas_trsm_small_left_device_sharedBILi32ELi32ELb1E19rocblas_complex_numIfES1_PKS1_PS1_Ev13rocblas_fill_18rocblas_operation_17rocblas_diagonal_iiT3_T4_lilT5_lili,comdat
.Lfunc_end170:
	.size	_ZL38rocblas_trsm_small_left_device_sharedBILi32ELi32ELb1E19rocblas_complex_numIfES1_PKS1_PS1_Ev13rocblas_fill_18rocblas_operation_17rocblas_diagonal_iiT3_T4_lilT5_lili, .Lfunc_end170-_ZL38rocblas_trsm_small_left_device_sharedBILi32ELi32ELb1E19rocblas_complex_numIfES1_PKS1_PS1_Ev13rocblas_fill_18rocblas_operation_17rocblas_diagonal_iiT3_T4_lilT5_lili
                                        ; -- End function
	.section	.AMDGPU.csdata,"",@progbits
; Kernel info:
; codeLenInByte = 5272
; NumSgprs: 70
; NumVgprs: 44
; NumAgprs: 0
; TotalNumVgprs: 44
; ScratchSize: 272
; MemoryBound: 0
; FloatMode: 240
; IeeeMode: 1
; LDSByteSize: 16384 bytes/workgroup (compile time only)
; SGPRBlocks: 8
; VGPRBlocks: 5
; NumSGPRsForWavesPerEU: 70
; NumVGPRsForWavesPerEU: 44
; AccumOffset: 44
; Occupancy: 1
; WaveLimiterHint : 0
; COMPUTE_PGM_RSRC2:SCRATCH_EN: 1
; COMPUTE_PGM_RSRC2:USER_SGPR: 8
; COMPUTE_PGM_RSRC2:TRAP_HANDLER: 0
; COMPUTE_PGM_RSRC2:TGID_X_EN: 1
; COMPUTE_PGM_RSRC2:TGID_Y_EN: 0
; COMPUTE_PGM_RSRC2:TGID_Z_EN: 1
; COMPUTE_PGM_RSRC2:TIDIG_COMP_CNT: 0
; COMPUTE_PGM_RSRC3_GFX90A:ACCUM_OFFSET: 10
; COMPUTE_PGM_RSRC3_GFX90A:TG_SPLIT: 0
	.section	.text._ZL30rocblas_trsm_small_left_deviceILi32ELi32ELb1E19rocblas_complex_numIfES1_PKS1_PS1_Ev13rocblas_fill_18rocblas_operation_17rocblas_diagonal_iiT3_T4_lilT5_lili,"axG",@progbits,_ZL30rocblas_trsm_small_left_deviceILi32ELi32ELb1E19rocblas_complex_numIfES1_PKS1_PS1_Ev13rocblas_fill_18rocblas_operation_17rocblas_diagonal_iiT3_T4_lilT5_lili,comdat
	.globl	_ZL30rocblas_trsm_small_left_deviceILi32ELi32ELb1E19rocblas_complex_numIfES1_PKS1_PS1_Ev13rocblas_fill_18rocblas_operation_17rocblas_diagonal_iiT3_T4_lilT5_lili ; -- Begin function _ZL30rocblas_trsm_small_left_deviceILi32ELi32ELb1E19rocblas_complex_numIfES1_PKS1_PS1_Ev13rocblas_fill_18rocblas_operation_17rocblas_diagonal_iiT3_T4_lilT5_lili
	.p2align	8
	.type	_ZL30rocblas_trsm_small_left_deviceILi32ELi32ELb1E19rocblas_complex_numIfES1_PKS1_PS1_Ev13rocblas_fill_18rocblas_operation_17rocblas_diagonal_iiT3_T4_lilT5_lili,@function
_ZL30rocblas_trsm_small_left_deviceILi32ELi32ELb1E19rocblas_complex_numIfES1_PKS1_PS1_Ev13rocblas_fill_18rocblas_operation_17rocblas_diagonal_iiT3_T4_lilT5_lili: ; @_ZL30rocblas_trsm_small_left_deviceILi32ELi32ELb1E19rocblas_complex_numIfES1_PKS1_PS1_Ev13rocblas_fill_18rocblas_operation_17rocblas_diagonal_iiT3_T4_lilT5_lili
; %bb.0:
	s_add_u32 s0, s0, s10
	s_load_dwordx4 s[16:19], s[4:5], 0x4
	s_load_dwordx2 s[24:25], s[4:5], 0x14
	s_load_dwordx4 s[12:15], s[4:5], 0x38
	s_load_dwordx2 s[26:27], s[4:5], 0x48
	s_load_dword s43, s[4:5], 0x68
	s_addc_u32 s1, s1, 0
	s_waitcnt lgkmcnt(0)
	s_min_i32 s33, s18, 32
	s_mov_b32 s44, 0
	s_add_i32 s42, s33, -1
	v_cmp_gt_i32_e32 vcc, s33, v0
	s_and_saveexec_b64 s[28:29], vcc
	s_cbranch_execz .LBB171_35
; %bb.1:
	s_load_dword s30, s[4:5], 0x30
	s_load_dwordx4 s[20:23], s[4:5], 0x20
	s_mul_i32 s6, s9, s13
	s_mul_hi_u32 s7, s9, s12
	s_mul_i32 s12, s9, s12
	s_waitcnt lgkmcnt(0)
	s_ashr_i32 s31, s30, 31
	s_cmpk_lg_i32 s16, 0x71
	s_cselect_b64 s[34:35], -1, 0
	s_add_i32 s13, s7, s6
	v_cndmask_b32_e64 v2, 0, 1, s[34:35]
	s_cmp_lt_u32 s42, 3
	v_lshlrev_b32_e32 v1, 3, v0
	v_cmp_ne_u32_e64 s[6:7], 1, v2
	s_cbranch_scc1 .LBB171_20
; %bb.2:
	s_lshl_b64 s[10:11], s[12:13], 3
	s_add_u32 s18, s20, s10
	s_addc_u32 s36, s21, s11
	s_lshl_b64 s[10:11], s[22:23], 3
	s_add_u32 s10, s18, s10
	s_addc_u32 s11, s36, s11
	v_mov_b32_e32 v3, s11
	v_add_co_u32_e32 v2, vcc, s10, v1
	s_mul_hi_i32 s10, s30, 24
	s_lshl_b64 s[36:37], s[30:31], 5
	s_lshl_b64 s[38:39], s[30:31], 4
	;; [unrolled: 1-line block ×3, first 2 shown]
	v_addc_co_u32_e32 v3, vcc, 0, v3, vcc
	s_and_b32 s44, s33, -4
	s_mul_i32 s18, s30, 24
	s_mov_b32 s45, 0
	v_mov_b32_e32 v8, s41
	v_mov_b32_e32 v9, s39
	;; [unrolled: 1-line block ×5, first 2 shown]
	s_branch .LBB171_4
.LBB171_3:                              ;   in Loop: Header=BB171_4 Depth=1
	global_load_dword v4, v[6:7], off
	s_add_i32 s45, s45, 4
	v_add_co_u32_e32 v2, vcc, s36, v2
	v_addc_co_u32_e32 v3, vcc, v3, v11, vcc
	s_cmp_eq_u32 s44, s45
	s_waitcnt vmcnt(0)
	ds_write_b64 v12, v[4:5] offset:768
	v_add_u32_e32 v12, 0x400, v12
	s_cbranch_scc1 .LBB171_20
.LBB171_4:                              ; =>This Inner Loop Header: Depth=1
	s_and_b64 vcc, exec, s[34:35]
	s_cbranch_vccz .LBB171_6
; %bb.5:                                ;   in Loop: Header=BB171_4 Depth=1
	global_load_dword v5, v[2:3], off offset:4
	s_cbranch_execz .LBB171_7
	s_branch .LBB171_8
.LBB171_6:                              ;   in Loop: Header=BB171_4 Depth=1
                                        ; implicit-def: $vgpr5
.LBB171_7:                              ;   in Loop: Header=BB171_4 Depth=1
	global_load_dword v4, v[2:3], off offset:4
	s_waitcnt vmcnt(0)
	v_xor_b32_e32 v5, 0x80000000, v4
.LBB171_8:                              ;   in Loop: Header=BB171_4 Depth=1
	global_load_dword v4, v[2:3], off
	v_add_co_u32_e64 v6, s[10:11], s40, v2
	s_and_b64 vcc, exec, s[6:7]
	v_addc_co_u32_e64 v7, s[10:11], v3, v8, s[10:11]
	s_waitcnt vmcnt(0)
	ds_write_b64 v12, v[4:5]
	s_cbranch_vccnz .LBB171_10
; %bb.9:                                ;   in Loop: Header=BB171_4 Depth=1
	global_load_dword v5, v[6:7], off offset:4
	s_cbranch_execz .LBB171_11
	s_branch .LBB171_12
.LBB171_10:                             ;   in Loop: Header=BB171_4 Depth=1
                                        ; implicit-def: $vgpr5
.LBB171_11:                             ;   in Loop: Header=BB171_4 Depth=1
	global_load_dword v4, v[6:7], off offset:4
	s_waitcnt vmcnt(0)
	v_xor_b32_e32 v5, 0x80000000, v4
.LBB171_12:                             ;   in Loop: Header=BB171_4 Depth=1
	global_load_dword v4, v[6:7], off
	v_add_co_u32_e64 v6, s[10:11], s38, v2
	s_and_b64 vcc, exec, s[6:7]
	v_addc_co_u32_e64 v7, s[10:11], v3, v9, s[10:11]
	s_waitcnt vmcnt(0)
	ds_write_b64 v12, v[4:5] offset:256
	s_cbranch_vccnz .LBB171_14
; %bb.13:                               ;   in Loop: Header=BB171_4 Depth=1
	global_load_dword v5, v[6:7], off offset:4
	s_cbranch_execz .LBB171_15
	s_branch .LBB171_16
.LBB171_14:                             ;   in Loop: Header=BB171_4 Depth=1
                                        ; implicit-def: $vgpr5
.LBB171_15:                             ;   in Loop: Header=BB171_4 Depth=1
	global_load_dword v4, v[6:7], off offset:4
	s_waitcnt vmcnt(0)
	v_xor_b32_e32 v5, 0x80000000, v4
.LBB171_16:                             ;   in Loop: Header=BB171_4 Depth=1
	global_load_dword v4, v[6:7], off
	v_add_co_u32_e64 v6, s[10:11], s18, v2
	s_and_b64 vcc, exec, s[6:7]
	v_addc_co_u32_e64 v7, s[10:11], v3, v10, s[10:11]
	s_waitcnt vmcnt(0)
	ds_write_b64 v12, v[4:5] offset:512
	s_cbranch_vccnz .LBB171_18
; %bb.17:                               ;   in Loop: Header=BB171_4 Depth=1
	global_load_dword v5, v[6:7], off offset:4
	s_cbranch_execnz .LBB171_3
	s_branch .LBB171_19
.LBB171_18:                             ;   in Loop: Header=BB171_4 Depth=1
                                        ; implicit-def: $vgpr5
.LBB171_19:                             ;   in Loop: Header=BB171_4 Depth=1
	global_load_dword v4, v[6:7], off offset:4
	s_waitcnt vmcnt(0)
	v_xor_b32_e32 v5, 0x80000000, v4
	s_branch .LBB171_3
.LBB171_20:
	s_and_b32 s18, s33, 3
	s_cmp_eq_u32 s18, 0
	s_cbranch_scc1 .LBB171_27
; %bb.21:
	s_lshl_b64 s[10:11], s[12:13], 3
	s_mul_i32 s12, s31, s44
	s_mul_hi_u32 s13, s30, s44
	s_add_i32 s13, s13, s12
	s_mul_i32 s12, s30, s44
	s_lshl_b64 s[12:13], s[12:13], 3
	s_add_u32 s12, s10, s12
	s_addc_u32 s13, s11, s13
	s_lshl_b64 s[10:11], s[22:23], 3
	s_add_u32 s10, s12, s10
	s_addc_u32 s11, s13, s11
	s_add_u32 s10, s20, s10
	s_addc_u32 s11, s21, s11
	v_lshl_or_b32 v6, s44, 8, v1
	v_mov_b32_e32 v2, s11
	v_add_co_u32_e32 v1, vcc, s10, v1
	v_addc_co_u32_e32 v3, vcc, 0, v2, vcc
	v_add_co_u32_e32 v2, vcc, 4, v1
	s_lshl_b64 s[10:11], s[30:31], 3
	v_addc_co_u32_e32 v3, vcc, 0, v3, vcc
	v_mov_b32_e32 v1, s11
	s_branch .LBB171_23
.LBB171_22:                             ;   in Loop: Header=BB171_23 Depth=1
	global_load_dword v4, v[2:3], off offset:-4
	s_add_i32 s18, s18, -1
	v_add_co_u32_e32 v2, vcc, s10, v2
	s_cmp_lg_u32 s18, 0
	v_addc_co_u32_e32 v3, vcc, v3, v1, vcc
	s_waitcnt vmcnt(0)
	ds_write_b64 v6, v[4:5]
	v_add_u32_e32 v6, 0x100, v6
	s_cbranch_scc0 .LBB171_27
.LBB171_23:                             ; =>This Inner Loop Header: Depth=1
	s_and_b64 vcc, exec, s[6:7]
	s_cbranch_vccnz .LBB171_25
; %bb.24:                               ;   in Loop: Header=BB171_23 Depth=1
	global_load_dword v5, v[2:3], off
	s_cbranch_execnz .LBB171_22
	s_branch .LBB171_26
.LBB171_25:                             ;   in Loop: Header=BB171_23 Depth=1
                                        ; implicit-def: $vgpr5
.LBB171_26:                             ;   in Loop: Header=BB171_23 Depth=1
	global_load_dword v4, v[2:3], off
	s_waitcnt vmcnt(0)
	v_xor_b32_e32 v5, 0x80000000, v4
	s_branch .LBB171_22
.LBB171_27:
	v_mul_u32_u24_e32 v1, 33, v0
	s_cmpk_lg_i32 s17, 0x84
	v_lshlrev_b32_e32 v1, 3, v1
	s_mov_b64 s[6:7], -1
	s_cbranch_scc0 .LBB171_33
; %bb.28:
	ds_read_b64 v[2:3], v1
	s_mov_b32 s6, 0
	s_waitcnt lgkmcnt(0)
	v_cmp_gt_f32_e32 vcc, 0, v3
	v_cndmask_b32_e64 v4, v3, -v3, vcc
	v_cmp_gt_f32_e32 vcc, 0, v2
	v_cndmask_b32_e64 v5, v2, -v2, vcc
	v_cmp_ngt_f32_e32 vcc, v5, v4
                                        ; implicit-def: $vgpr4_vgpr5
	s_and_saveexec_b64 s[10:11], vcc
	s_xor_b64 s[10:11], exec, s[10:11]
	s_cbranch_execz .LBB171_30
; %bb.29:
	v_div_scale_f32 v4, s[12:13], v3, v3, v2
	v_rcp_f32_e32 v5, v4
	v_div_scale_f32 v6, vcc, v2, v3, v2
	s_mov_b32 s7, -1.0
	v_fma_f32 v7, -v4, v5, 1.0
	v_fmac_f32_e32 v5, v7, v5
	v_mul_f32_e32 v7, v6, v5
	v_fma_f32 v8, -v4, v7, v6
	v_fmac_f32_e32 v7, v8, v5
	v_fma_f32 v4, -v4, v7, v6
	v_div_fmas_f32 v4, v4, v5, v7
	v_div_fixup_f32 v4, v4, v3, v2
	v_fmac_f32_e32 v3, v2, v4
	v_div_scale_f32 v2, s[12:13], v3, v3, 1.0
	v_rcp_f32_e32 v5, v2
	v_fma_f32 v6, -v2, v5, 1.0
	v_fmac_f32_e32 v5, v6, v5
	v_div_scale_f32 v6, vcc, 1.0, v3, 1.0
	v_mul_f32_e32 v7, v6, v5
	v_fma_f32 v8, -v2, v7, v6
	v_fmac_f32_e32 v7, v8, v5
	v_fma_f32 v2, -v2, v7, v6
	v_div_fmas_f32 v2, v2, v5, v7
	v_mul_f32_e32 v5, 0, v4
	v_div_fixup_f32 v2, v2, v3, 1.0
	v_pk_add_f32 v[4:5], v[4:5], s[6:7]
	v_pk_mul_f32 v[4:5], v[4:5], v[2:3] op_sel_hi:[1,0]
                                        ; implicit-def: $vgpr2_vgpr3
.LBB171_30:
	s_andn2_saveexec_b64 s[6:7], s[10:11]
	s_cbranch_execz .LBB171_32
; %bb.31:
	v_div_scale_f32 v4, s[10:11], v2, v2, v3
	v_rcp_f32_e32 v5, v4
	v_div_scale_f32 v6, vcc, v3, v2, v3
	v_fma_f32 v7, -v4, v5, 1.0
	v_fmac_f32_e32 v5, v7, v5
	v_mul_f32_e32 v7, v6, v5
	v_fma_f32 v8, -v4, v7, v6
	v_fmac_f32_e32 v7, v8, v5
	v_fma_f32 v4, -v4, v7, v6
	v_div_fmas_f32 v4, v4, v5, v7
	v_div_fixup_f32 v5, v4, v2, v3
	v_fmac_f32_e32 v2, v3, v5
	v_div_scale_f32 v3, s[10:11], v2, v2, 1.0
	v_rcp_f32_e32 v4, v3
	s_mov_b32 s10, 1.0
	s_mov_b32 s11, 0
	v_fma_f32 v6, -v3, v4, 1.0
	v_fmac_f32_e32 v4, v6, v4
	v_div_scale_f32 v6, vcc, 1.0, v2, 1.0
	v_mul_f32_e32 v7, v6, v4
	v_fma_f32 v8, -v3, v7, v6
	v_fmac_f32_e32 v7, v8, v4
	v_fma_f32 v3, -v3, v7, v6
	v_div_fmas_f32 v3, v3, v4, v7
	v_mul_f32_e32 v4, 0, v5
	v_pk_add_f32 v[6:7], v[4:5], s[10:11]
	v_pk_add_f32 v[4:5], v[4:5], s[10:11] neg_lo:[1,0] neg_hi:[1,0]
	v_div_fixup_f32 v2, v3, v2, 1.0
	v_mov_b32_e32 v7, v5
	v_pk_mul_f32 v[4:5], v[6:7], v[2:3] op_sel_hi:[1,0]
.LBB171_32:
	s_or_b64 exec, exec, s[6:7]
	s_mov_b64 s[6:7], 0
	ds_write_b64 v1, v[4:5]
.LBB171_33:
	s_and_b64 vcc, exec, s[6:7]
	s_cbranch_vccz .LBB171_35
; %bb.34:
	v_mov_b32_e32 v2, 1.0
	v_mov_b32_e32 v3, 0
	ds_write_b64 v1, v[2:3]
.LBB171_35:
	s_or_b64 exec, exec, s[28:29]
	s_lshl_b32 s10, s8, 5
	s_add_i32 s43, s43, -1
	s_sub_i32 s6, s19, s10
	s_cmp_ge_u32 s8, s43
	s_cselect_b32 s6, s6, 32
	v_cmp_gt_i32_e32 vcc, s6, v0
	s_waitcnt lgkmcnt(0)
	; wave barrier
	s_waitcnt lgkmcnt(0)
	s_and_saveexec_b64 s[6:7], vcc
	s_cbranch_execz .LBB171_103
; %bb.36:
	s_load_dwordx2 s[6:7], s[4:5], 0x58
	s_load_dword s11, s[4:5], 0x50
	v_add_u32_e32 v0, s10, v0
	s_waitcnt lgkmcnt(0)
	s_mul_i32 s5, s9, s7
	s_mul_hi_u32 s7, s9, s6
	s_mul_i32 s4, s9, s6
	s_add_i32 s5, s7, s5
	s_lshl_b64 s[6:7], s[4:5], 3
	s_add_u32 s4, s14, s6
	s_addc_u32 s5, s15, s7
	s_lshl_b64 s[8:9], s[26:27], 3
	s_add_u32 s12, s4, s8
	s_addc_u32 s13, s5, s9
	v_mad_i64_i32 v[0:1], s[4:5], s11, v0, 0
	v_lshlrev_b64 v[0:1], 3, v[0:1]
	v_mov_b32_e32 v2, s13
	v_add_co_u32_e32 v10, vcc, s12, v0
	v_addc_co_u32_e32 v11, vcc, v2, v1, vcc
	s_cmpk_eq_i32 s16, 0x6f
	s_mov_b64 s[4:5], -1
	s_cbranch_scc1 .LBB171_70
; %bb.37:
	s_add_u32 s4, s14, s8
	s_addc_u32 s5, s15, s9
	s_add_u32 s4, s4, s6
	s_addc_u32 s5, s5, s7
	v_mov_b32_e32 v2, s5
	v_add_co_u32_e32 v3, vcc, s4, v0
	v_addc_co_u32_e32 v2, vcc, v2, v1, vcc
	v_add_co_u32_e32 v12, vcc, 4, v3
	s_lshl_b32 s34, s33, 3
	s_mov_b32 s17, 0
	s_mov_b32 s10, s24
	;; [unrolled: 1-line block ×5, first 2 shown]
	v_addc_co_u32_e32 v13, vcc, 0, v2, vcc
	s_add_i32 s34, s34, -8
	v_mov_b32_e32 v14, 0
	s_mov_b32 s18, s17
	s_mov_b32 s20, s42
	s_branch .LBB171_39
.LBB171_38:                             ;   in Loop: Header=BB171_39 Depth=1
	s_cmp_lt_i32 s20, 0
	s_cselect_b64 s[4:5], -1, 0
	s_add_i32 s18, s18, 1
	s_cmp_eq_u32 s18, 3
	s_cselect_b64 s[22:23], -1, 0
	s_or_b64 s[4:5], s[4:5], s[22:23]
	s_andn2_b64 vcc, exec, s[4:5]
	s_cbranch_vccz .LBB171_69
.LBB171_39:                             ; =>This Loop Header: Depth=1
                                        ;     Child Loop BB171_42 Depth 2
                                        ;       Child Loop BB171_44 Depth 3
                                        ;       Child Loop BB171_48 Depth 3
	;; [unrolled: 1-line block ×3, first 2 shown]
                                        ;         Child Loop BB171_54 Depth 4
                                        ;         Child Loop BB171_60 Depth 4
                                        ;       Child Loop BB171_63 Depth 3
                                        ;         Child Loop BB171_65 Depth 4
	s_mov_b32 s19, s17
	s_lshl_b64 s[4:5], s[18:19], 2
	s_getpc_b64 s[22:23]
	s_add_u32 s22, s22, __const._ZL30rocblas_trsm_small_left_deviceILi32ELi32ELb1E19rocblas_complex_numIfES1_PKS1_PS1_Ev13rocblas_fill_18rocblas_operation_17rocblas_diagonal_iiT3_T4_lilT5_lili.step_sizes@rel32@lo+4
	s_addc_u32 s23, s23, __const._ZL30rocblas_trsm_small_left_deviceILi32ELi32ELb1E19rocblas_complex_numIfES1_PKS1_PS1_Ev13rocblas_fill_18rocblas_operation_17rocblas_diagonal_iiT3_T4_lilT5_lili.step_sizes@rel32@hi+12
	s_add_u32 s4, s4, s22
	s_addc_u32 s5, s5, s23
	s_load_dword s19, s[4:5], 0x0
	s_waitcnt lgkmcnt(0)
	s_add_i32 s35, s19, -1
	s_cmp_lt_i32 s20, s35
	s_cbranch_scc1 .LBB171_38
; %bb.40:                               ;   in Loop: Header=BB171_39 Depth=1
	s_max_i32 s36, s19, 1
	s_cmp_lg_u32 s18, 2
	s_cselect_b64 s[22:23], -1, 0
	s_and_b32 s37, s36, 0x7ffffffe
	s_cmp_lg_u32 s36, s37
	s_cselect_b64 s[26:27], -1, 0
	s_lshl_b32 s4, s20, 8
	s_add_i32 s38, s34, s4
	s_lshl_b32 s4, s19, 8
	s_sub_i32 s39, 0, s4
	s_mul_i32 s40, s20, 0x108
	s_mul_i32 s41, s19, 0xfffffef8
	s_branch .LBB171_42
.LBB171_41:                             ;   in Loop: Header=BB171_42 Depth=2
	s_sub_i32 s20, s20, s19
	s_add_i32 s38, s38, s39
	s_add_i32 s40, s40, s41
	s_cmp_lt_i32 s20, s35
	s_cbranch_scc1 .LBB171_38
.LBB171_42:                             ;   Parent Loop BB171_39 Depth=1
                                        ; =>  This Loop Header: Depth=2
                                        ;       Child Loop BB171_44 Depth 3
                                        ;       Child Loop BB171_48 Depth 3
	;; [unrolled: 1-line block ×3, first 2 shown]
                                        ;         Child Loop BB171_54 Depth 4
                                        ;         Child Loop BB171_60 Depth 4
                                        ;       Child Loop BB171_63 Depth 3
                                        ;         Child Loop BB171_65 Depth 4
	s_and_b64 vcc, exec, s[22:23]
	s_cbranch_vccz .LBB171_46
; %bb.43:                               ;   in Loop: Header=BB171_42 Depth=2
	v_mov_b32_e32 v2, 0
	s_mov_b32 s21, s20
	s_mov_b32 s28, 1
	;; [unrolled: 1-line block ×4, first 2 shown]
.LBB171_44:                             ;   Parent Loop BB171_39 Depth=1
                                        ;     Parent Loop BB171_42 Depth=2
                                        ; =>    This Inner Loop Header: Depth=3
	s_sub_i32 s4, s20, s29
	s_sub_i32 s44, s21, s28
	s_ashr_i32 s5, s4, 31
	s_ashr_i32 s45, s44, 31
	s_lshl_b64 s[4:5], s[4:5], 3
	s_lshl_b64 s[44:45], s[44:45], 3
	v_mov_b32_e32 v3, s5
	v_add_co_u32_e64 v6, s[4:5], s4, v10
	v_mov_b32_e32 v5, s45
	v_add_co_u32_e32 v4, vcc, s44, v10
	v_addc_co_u32_e64 v7, s[4:5], v11, v3, s[4:5]
	v_addc_co_u32_e32 v5, vcc, v11, v5, vcc
	global_load_dwordx2 v[8:9], v[6:7], off
	global_load_dwordx2 v[16:17], v[4:5], off
	s_add_i32 s29, s29, 2
	s_add_i32 s28, s28, 2
	s_add_i32 s30, s30, -2
	s_mov_b32 s16, s37
	s_mov_b64 s[4:5], s[26:27]
	s_cmp_lg_u32 s30, 0
	s_waitcnt vmcnt(1)
	v_mov_b32_e32 v4, v8
	s_waitcnt vmcnt(0)
	v_mov_b32_e32 v5, v16
	v_mov_b32_e32 v16, v9
	v_pk_mul_f32 v[6:7], v[16:17], s[12:13]
	v_pk_mul_f32 v[8:9], v[16:17], s[10:11]
	v_pk_fma_f32 v[6:7], v[4:5], s[10:11], v[6:7] neg_lo:[0,0,1] neg_hi:[0,0,1]
	v_pk_fma_f32 v[4:5], v[4:5], s[12:13], v[8:9]
	buffer_store_dword v4, v2, s[0:3], 0 offen offset:4
	buffer_store_dword v6, v2, s[0:3], 0 offen
	buffer_store_dword v5, v2, s[0:3], 0 offen offset:12
	buffer_store_dword v7, v2, s[0:3], 0 offen offset:8
	v_add_u32_e32 v2, 16, v2
	s_cbranch_scc1 .LBB171_44
; %bb.45:                               ;   in Loop: Header=BB171_42 Depth=2
	s_ashr_i32 s21, s20, 31
	s_and_b64 vcc, exec, s[4:5]
	s_cbranch_vccnz .LBB171_47
	s_branch .LBB171_49
.LBB171_46:                             ;   in Loop: Header=BB171_42 Depth=2
	s_mov_b32 s16, 0
	s_ashr_i32 s21, s20, 31
	s_cbranch_execz .LBB171_49
.LBB171_47:                             ;   in Loop: Header=BB171_42 Depth=2
	s_lshl_b64 s[28:29], s[20:21], 3
	s_sub_i32 s4, s36, s16
	s_lshl_b64 s[30:31], s[16:17], 3
	s_sub_u32 s5, s28, s30
	s_subb_u32 s28, s29, s31
	v_mov_b32_e32 v3, s28
	v_add_co_u32_e32 v2, vcc, s5, v12
	s_lshl_b32 s5, s16, 3
	v_addc_co_u32_e32 v3, vcc, v13, v3, vcc
	v_add_u32_e32 v4, s5, v14
.LBB171_48:                             ;   Parent Loop BB171_39 Depth=1
                                        ;     Parent Loop BB171_42 Depth=2
                                        ; =>    This Inner Loop Header: Depth=3
	global_load_dwordx2 v[6:7], v[2:3], off offset:-4
	s_add_i32 s4, s4, -1
	v_add_co_u32_e32 v2, vcc, -8, v2
	v_addc_co_u32_e32 v3, vcc, -1, v3, vcc
	s_cmp_eq_u32 s4, 0
	s_waitcnt vmcnt(0)
	v_mul_f32_e32 v5, s25, v7
	v_mul_f32_e32 v7, s24, v7
	v_fma_f32 v5, v6, s24, -v5
	v_fmac_f32_e32 v7, s25, v6
	buffer_store_dword v5, v4, s[0:3], 0 offen
	buffer_store_dword v7, v4, s[0:3], 0 offen offset:4
	v_add_u32_e32 v4, 8, v4
	s_cbranch_scc0 .LBB171_48
.LBB171_49:                             ;   in Loop: Header=BB171_42 Depth=2
	s_cmp_le_i32 s42, s20
	s_cbranch_scc1 .LBB171_61
; %bb.50:                               ;   in Loop: Header=BB171_42 Depth=2
	s_mov_b32 s16, s20
	s_mov_b32 s43, s20
	;; [unrolled: 1-line block ×4, first 2 shown]
	s_branch .LBB171_52
.LBB171_51:                             ;   in Loop: Header=BB171_52 Depth=3
	s_add_i32 s4, s4, -1
	s_add_i32 s44, s44, -8
	s_cmp_le_i32 s4, s20
	s_cbranch_scc1 .LBB171_61
.LBB171_52:                             ;   Parent Loop BB171_39 Depth=1
                                        ;     Parent Loop BB171_42 Depth=2
                                        ; =>    This Loop Header: Depth=3
                                        ;         Child Loop BB171_54 Depth 4
                                        ;         Child Loop BB171_60 Depth 4
	s_ashr_i32 s5, s4, 31
	s_lshl_b64 s[28:29], s[4:5], 3
	s_waitcnt vmcnt(0)
	v_mov_b32_e32 v3, s29
	v_add_co_u32_e32 v2, vcc, s28, v10
	v_addc_co_u32_e32 v3, vcc, v11, v3, vcc
	global_load_dwordx2 v[2:3], v[2:3], off
	s_and_b64 vcc, exec, s[22:23]
	s_cbranch_vccz .LBB171_56
; %bb.53:                               ;   in Loop: Header=BB171_52 Depth=3
	s_mov_b32 s5, s4
	s_waitcnt vmcnt(0)
	v_mov_b32_e32 v6, v2
	v_mov_b32_e32 v7, v2
	;; [unrolled: 1-line block ×6, first 2 shown]
	s_mov_b32 s28, 1
	s_mov_b32 s29, 0
	;; [unrolled: 1-line block ×3, first 2 shown]
.LBB171_54:                             ;   Parent Loop BB171_39 Depth=1
                                        ;     Parent Loop BB171_42 Depth=2
                                        ;       Parent Loop BB171_52 Depth=3
                                        ; =>      This Inner Loop Header: Depth=4
	buffer_load_dword v16, v5, s[0:3], 0 offen
	buffer_load_dword v18, v5, s[0:3], 0 offen offset:4
	buffer_load_dword v17, v5, s[0:3], 0 offen offset:8
	;; [unrolled: 1-line block ×3, first 2 shown]
	s_sub_i32 s31, s43, s28
	s_sub_i32 s45, s16, s29
	s_lshl_b32 s45, s45, 5
	s_lshl_b32 s31, s31, 5
	s_add_i32 s31, s31, s5
	s_add_i32 s45, s45, s4
	s_lshl_b32 s45, s45, 3
	s_lshl_b32 s31, s31, 3
	v_mov_b32_e32 v15, s45
	v_mov_b32_e32 v22, s31
	ds_read_b64 v[20:21], v15
	ds_read_b64 v[22:23], v22
	s_add_i32 s29, s29, 2
	s_add_i32 s28, s28, 2
	s_add_i32 s30, s30, -2
	s_waitcnt lgkmcnt(1)
	v_mov_b32_e32 v24, v20
	s_waitcnt lgkmcnt(0)
	v_mov_b32_e32 v25, v22
	v_mov_b32_e32 v22, v21
	v_pk_mul_f32 v[20:21], v[22:23], v[8:9]
	v_pk_mul_f32 v[22:23], v[22:23], v[6:7]
	v_pk_fma_f32 v[20:21], v[24:25], v[6:7], v[20:21] neg_lo:[0,0,1] neg_hi:[0,0,1]
	v_pk_fma_f32 v[22:23], v[24:25], v[8:9], v[22:23]
	s_cmp_lg_u32 s30, 0
	s_waitcnt vmcnt(1)
	v_pk_add_f32 v[16:17], v[16:17], v[20:21] neg_lo:[0,1] neg_hi:[0,1]
	s_waitcnt vmcnt(0)
	v_pk_add_f32 v[18:19], v[18:19], v[22:23] neg_lo:[0,1] neg_hi:[0,1]
	buffer_store_dword v16, v5, s[0:3], 0 offen
	buffer_store_dword v18, v5, s[0:3], 0 offen offset:4
	buffer_store_dword v17, v5, s[0:3], 0 offen offset:8
	buffer_store_dword v19, v5, s[0:3], 0 offen offset:12
	v_add_u32_e32 v5, 16, v5
	s_cbranch_scc1 .LBB171_54
; %bb.55:                               ;   in Loop: Header=BB171_52 Depth=3
	s_mov_b64 s[28:29], s[26:27]
	s_mov_b32 s30, s37
	s_branch .LBB171_58
.LBB171_56:                             ;   in Loop: Header=BB171_52 Depth=3
	s_mov_b64 s[28:29], 0
                                        ; implicit-def: $vgpr4_vgpr5
	s_mov_b32 s30, s37
	s_cbranch_execz .LBB171_58
; %bb.57:                               ;   in Loop: Header=BB171_52 Depth=3
	s_waitcnt vmcnt(0)
	v_mov_b32_e32 v4, v3
	s_mov_b64 s[28:29], -1
	s_mov_b32 s30, 0
.LBB171_58:                             ;   in Loop: Header=BB171_52 Depth=3
	s_andn2_b64 vcc, exec, s[28:29]
	s_cbranch_vccnz .LBB171_51
; %bb.59:                               ;   in Loop: Header=BB171_52 Depth=3
	s_lshl_b32 s28, s30, 8
	s_lshl_b32 s29, s30, 3
	s_waitcnt vmcnt(0)
	v_mov_b32_e32 v5, v3
	v_mov_b32_e32 v3, v2
	s_sub_i32 s5, s36, s30
	s_sub_i32 s28, s44, s28
	v_add_u32_e32 v6, s29, v14
.LBB171_60:                             ;   Parent Loop BB171_39 Depth=1
                                        ;     Parent Loop BB171_42 Depth=2
                                        ;       Parent Loop BB171_52 Depth=3
                                        ; =>      This Inner Loop Header: Depth=4
	buffer_load_dword v8, v6, s[0:3], 0 offen
	buffer_load_dword v9, v6, s[0:3], 0 offen offset:4
	v_mov_b32_e32 v7, s28
	ds_read_b64 v[16:17], v7
	s_add_i32 s5, s5, -1
	s_addk_i32 s28, 0xff00
	s_cmp_eq_u32 s5, 0
	s_waitcnt lgkmcnt(0)
	v_pk_mul_f32 v[18:19], v[16:17], v[4:5]
	v_pk_fma_f32 v[20:21], v[16:17], v[2:3], v[18:19] op_sel:[0,0,1] op_sel_hi:[1,1,0] neg_lo:[0,0,1] neg_hi:[0,0,1]
	v_pk_fma_f32 v[16:17], v[16:17], v[2:3], v[18:19] op_sel:[0,0,1] op_sel_hi:[1,1,0]
	v_mov_b32_e32 v21, v17
	s_waitcnt vmcnt(0)
	v_pk_add_f32 v[8:9], v[8:9], v[20:21] neg_lo:[0,1] neg_hi:[0,1]
	buffer_store_dword v8, v6, s[0:3], 0 offen
	buffer_store_dword v9, v6, s[0:3], 0 offen offset:4
	v_add_u32_e32 v6, 8, v6
	s_cbranch_scc0 .LBB171_60
	s_branch .LBB171_51
.LBB171_61:                             ;   in Loop: Header=BB171_42 Depth=2
	s_mov_b32 s16, 0
	s_mov_b32 s43, s40
	s_branch .LBB171_63
.LBB171_62:                             ;   in Loop: Header=BB171_63 Depth=3
	s_mulk_i32 s28, 0x108
	v_mov_b32_e32 v4, s28
	ds_read_b64 v[4:5], v4
	s_lshl_b64 s[4:5], s[4:5], 3
	s_lshl_b32 s28, s16, 3
	s_add_i32 s16, s16, 1
	s_addk_i32 s43, 0xff00
	s_waitcnt vmcnt(0) lgkmcnt(0)
	v_mul_f32_e32 v6, v5, v3
	v_mul_f32_e32 v7, v4, v3
	v_fma_f32 v6, v4, v2, -v6
	v_fmac_f32_e32 v7, v5, v2
	v_mov_b32_e32 v3, s5
	v_add_co_u32_e32 v2, vcc, s4, v10
	v_add_u32_e32 v8, s28, v14
	v_addc_co_u32_e32 v3, vcc, v11, v3, vcc
	s_cmp_eq_u32 s16, s36
	buffer_store_dword v6, v8, s[0:3], 0 offen
	buffer_store_dword v7, v8, s[0:3], 0 offen offset:4
	global_store_dwordx2 v[2:3], v[6:7], off
	s_cbranch_scc1 .LBB171_41
.LBB171_63:                             ;   Parent Loop BB171_39 Depth=1
                                        ;     Parent Loop BB171_42 Depth=2
                                        ; =>    This Loop Header: Depth=3
                                        ;         Child Loop BB171_65 Depth 4
	s_cmp_lg_u32 s16, 0
	s_cbranch_scc0 .LBB171_67
; %bb.64:                               ;   in Loop: Header=BB171_63 Depth=3
	s_lshl_b32 s4, s16, 3
	v_add_u32_e32 v4, s4, v14
	buffer_load_dword v2, v4, s[0:3], 0 offen
	buffer_load_dword v3, v4, s[0:3], 0 offen offset:4
	v_mov_b32_e32 v5, 0
	s_mov_b32 s4, 0
	s_mov_b32 s5, s43
.LBB171_65:                             ;   Parent Loop BB171_39 Depth=1
                                        ;     Parent Loop BB171_42 Depth=2
                                        ;       Parent Loop BB171_63 Depth=3
                                        ; =>      This Inner Loop Header: Depth=4
	buffer_load_dword v7, v5, s[0:3], 0 offen offset:4
	buffer_load_dword v6, v5, s[0:3], 0 offen
	v_mov_b32_e32 v8, s5
	ds_read_b64 v[8:9], v8
	s_add_i32 s4, s4, 1
	s_add_i32 s5, s5, -8
	v_add_u32_e32 v5, 8, v5
	s_cmp_ge_u32 s4, s16
	s_waitcnt vmcnt(1)
	v_mov_b32_e32 v16, v7
	s_waitcnt lgkmcnt(0)
	v_pk_mul_f32 v[16:17], v[8:9], v[16:17] op_sel_hi:[1,0]
	s_waitcnt vmcnt(0)
	v_pk_fma_f32 v[18:19], v[8:9], v[6:7], v[16:17] op_sel:[0,0,1] op_sel_hi:[1,1,0] neg_lo:[0,0,1] neg_hi:[0,0,1]
	v_pk_fma_f32 v[6:7], v[8:9], v[6:7], v[16:17] op_sel:[0,0,1] op_sel_hi:[1,0,0]
	v_mov_b32_e32 v19, v7
	v_pk_add_f32 v[2:3], v[2:3], v[18:19] neg_lo:[0,1] neg_hi:[0,1]
	buffer_store_dword v2, v4, s[0:3], 0 offen
	buffer_store_dword v3, v4, s[0:3], 0 offen offset:4
	s_cbranch_scc0 .LBB171_65
; %bb.66:                               ;   in Loop: Header=BB171_63 Depth=3
	s_sub_i32 s28, s20, s16
	s_ashr_i32 s29, s28, 31
	s_mov_b64 s[4:5], s[28:29]
	s_branch .LBB171_62
.LBB171_67:                             ;   in Loop: Header=BB171_63 Depth=3
                                        ; implicit-def: $vgpr2
                                        ; implicit-def: $sgpr28
                                        ; implicit-def: $sgpr4_sgpr5
	s_cbranch_execz .LBB171_62
; %bb.68:                               ;   in Loop: Header=BB171_63 Depth=3
	buffer_load_dword v2, off, s[0:3], 0
	buffer_load_dword v3, off, s[0:3], 0 offset:4
	s_mov_b64 s[4:5], s[20:21]
	s_mov_b32 s28, s20
	s_branch .LBB171_62
.LBB171_69:
	s_mov_b64 s[4:5], 0
.LBB171_70:
	s_and_b64 vcc, exec, s[4:5]
	s_cbranch_vccz .LBB171_103
; %bb.71:
	s_add_u32 s4, s14, s8
	s_addc_u32 s5, s15, s9
	s_add_u32 s4, s4, s6
	s_addc_u32 s5, s5, s7
	v_mov_b32_e32 v2, s5
	v_add_co_u32_e32 v0, vcc, s4, v0
	v_addc_co_u32_e32 v1, vcc, v2, v1, vcc
	v_add_co_u32_e32 v8, vcc, 4, v0
	s_mov_b32 s7, 0
	s_mov_b32 s10, s24
	;; [unrolled: 1-line block ×5, first 2 shown]
	v_addc_co_u32_e32 v9, vcc, 0, v1, vcc
	v_mov_b32_e32 v12, 0
	s_mov_b32 s20, s7
	s_mov_b32 s8, s7
	s_branch .LBB171_73
.LBB171_72:                             ;   in Loop: Header=BB171_73 Depth=1
	s_cmp_ge_i32 s20, s33
	s_cselect_b64 s[4:5], -1, 0
	s_add_i32 s8, s8, 1
	s_cmp_eq_u32 s8, 3
	s_cselect_b64 s[14:15], -1, 0
	s_or_b64 s[4:5], s[4:5], s[14:15]
	s_and_b64 vcc, exec, s[4:5]
	s_cbranch_vccnz .LBB171_103
.LBB171_73:                             ; =>This Loop Header: Depth=1
                                        ;     Child Loop BB171_76 Depth 2
                                        ;       Child Loop BB171_78 Depth 3
                                        ;       Child Loop BB171_82 Depth 3
	;; [unrolled: 1-line block ×3, first 2 shown]
                                        ;         Child Loop BB171_88 Depth 4
                                        ;         Child Loop BB171_94 Depth 4
                                        ;       Child Loop BB171_97 Depth 3
                                        ;         Child Loop BB171_99 Depth 4
	s_mov_b32 s9, s7
	s_lshl_b64 s[4:5], s[8:9], 2
	s_getpc_b64 s[14:15]
	s_add_u32 s14, s14, __const._ZL30rocblas_trsm_small_left_deviceILi32ELi32ELb1E19rocblas_complex_numIfES1_PKS1_PS1_Ev13rocblas_fill_18rocblas_operation_17rocblas_diagonal_iiT3_T4_lilT5_lili.step_sizes@rel32@lo+4
	s_addc_u32 s15, s15, __const._ZL30rocblas_trsm_small_left_deviceILi32ELi32ELb1E19rocblas_complex_numIfES1_PKS1_PS1_Ev13rocblas_fill_18rocblas_operation_17rocblas_diagonal_iiT3_T4_lilT5_lili.step_sizes@rel32@hi+12
	s_add_u32 s4, s4, s14
	s_addc_u32 s5, s5, s15
	s_load_dword s9, s[4:5], 0x0
	s_waitcnt lgkmcnt(0)
	s_add_i32 s21, s9, -1
	s_add_i32 s4, s21, s20
	s_cmp_ge_i32 s4, s33
	s_cbranch_scc1 .LBB171_72
; %bb.74:                               ;   in Loop: Header=BB171_73 Depth=1
	s_max_i32 s22, s9, 1
	s_cmp_lg_u32 s8, 2
	s_cselect_b64 s[14:15], -1, 0
	s_and_b32 s23, s22, 0x7ffffffe
	s_cmp_lg_u32 s22, s23
	s_cselect_b64 s[16:17], -1, 0
	s_ashr_i32 s26, s20, 31
	s_ashr_i32 s27, s9, 31
	s_mul_i32 s28, s20, 0x108
	s_mul_i32 s29, s9, 0x108
	s_branch .LBB171_76
.LBB171_75:                             ;   in Loop: Header=BB171_76 Depth=2
	s_add_u32 s20, s20, s9
	s_addc_u32 s26, s26, s27
	s_add_i32 s4, s21, s20
	s_add_i32 s28, s28, s29
	s_cmp_ge_i32 s4, s33
	s_cbranch_scc1 .LBB171_72
.LBB171_76:                             ;   Parent Loop BB171_73 Depth=1
                                        ; =>  This Loop Header: Depth=2
                                        ;       Child Loop BB171_78 Depth 3
                                        ;       Child Loop BB171_82 Depth 3
	;; [unrolled: 1-line block ×3, first 2 shown]
                                        ;         Child Loop BB171_88 Depth 4
                                        ;         Child Loop BB171_94 Depth 4
                                        ;       Child Loop BB171_97 Depth 3
                                        ;         Child Loop BB171_99 Depth 4
	s_and_b64 vcc, exec, s[14:15]
	s_cbranch_vccz .LBB171_80
; %bb.77:                               ;   in Loop: Header=BB171_76 Depth=2
	v_mov_b32_e32 v0, 0
	s_mov_b32 s6, s20
	s_mov_b32 s18, s20
	;; [unrolled: 1-line block ×5, first 2 shown]
.LBB171_78:                             ;   Parent Loop BB171_73 Depth=1
                                        ;     Parent Loop BB171_76 Depth=2
                                        ; =>    This Inner Loop Header: Depth=3
	s_add_i32 s4, s30, s6
	s_add_i32 s34, s19, s18
	s_ashr_i32 s5, s4, 31
	s_ashr_i32 s35, s34, 31
	s_lshl_b64 s[4:5], s[4:5], 3
	s_lshl_b64 s[34:35], s[34:35], 3
	v_mov_b32_e32 v1, s5
	v_add_co_u32_e64 v4, s[4:5], s4, v10
	v_mov_b32_e32 v3, s35
	v_add_co_u32_e32 v2, vcc, s34, v10
	v_addc_co_u32_e64 v5, s[4:5], v11, v1, s[4:5]
	v_addc_co_u32_e32 v3, vcc, v11, v3, vcc
	global_load_dwordx2 v[6:7], v[4:5], off
	global_load_dwordx2 v[14:15], v[2:3], off
	s_add_i32 s30, s30, 2
	s_add_i32 s19, s19, 2
	s_add_i32 s31, s31, -2
	s_mov_b32 s34, s23
	s_mov_b64 s[4:5], s[16:17]
	s_cmp_lg_u32 s31, 0
	s_waitcnt vmcnt(1)
	v_mov_b32_e32 v2, v6
	s_waitcnt vmcnt(0)
	v_mov_b32_e32 v3, v14
	v_mov_b32_e32 v14, v7
	v_pk_mul_f32 v[4:5], v[14:15], s[12:13]
	v_pk_mul_f32 v[6:7], v[14:15], s[10:11]
	v_pk_fma_f32 v[4:5], v[2:3], s[10:11], v[4:5] neg_lo:[0,0,1] neg_hi:[0,0,1]
	v_pk_fma_f32 v[2:3], v[2:3], s[12:13], v[6:7]
	buffer_store_dword v2, v0, s[0:3], 0 offen offset:4
	buffer_store_dword v4, v0, s[0:3], 0 offen
	buffer_store_dword v3, v0, s[0:3], 0 offen offset:12
	buffer_store_dword v5, v0, s[0:3], 0 offen offset:8
	v_add_u32_e32 v0, 16, v0
	s_cbranch_scc1 .LBB171_78
; %bb.79:                               ;   in Loop: Header=BB171_76 Depth=2
	s_and_b64 vcc, exec, s[4:5]
	s_cbranch_vccnz .LBB171_81
	s_branch .LBB171_83
.LBB171_80:                             ;   in Loop: Header=BB171_76 Depth=2
	s_mov_b32 s34, 0
	s_cbranch_execz .LBB171_83
.LBB171_81:                             ;   in Loop: Header=BB171_76 Depth=2
	s_sub_i32 s4, s22, s34
	s_add_u32 s18, s20, s34
	s_addc_u32 s19, s26, 0
	s_lshl_b64 s[18:19], s[18:19], 3
	v_mov_b32_e32 v1, s19
	v_add_co_u32_e32 v0, vcc, s18, v8
	s_lshl_b32 s5, s34, 3
	v_addc_co_u32_e32 v1, vcc, v9, v1, vcc
	v_add_u32_e32 v2, s5, v12
.LBB171_82:                             ;   Parent Loop BB171_73 Depth=1
                                        ;     Parent Loop BB171_76 Depth=2
                                        ; =>    This Inner Loop Header: Depth=3
	global_load_dwordx2 v[4:5], v[0:1], off offset:-4
	s_add_i32 s4, s4, -1
	v_add_co_u32_e32 v0, vcc, 8, v0
	v_addc_co_u32_e32 v1, vcc, 0, v1, vcc
	s_cmp_eq_u32 s4, 0
	s_waitcnt vmcnt(0)
	v_mul_f32_e32 v3, s25, v5
	v_mul_f32_e32 v5, s24, v5
	v_fma_f32 v3, v4, s24, -v3
	v_fmac_f32_e32 v5, s25, v4
	buffer_store_dword v3, v2, s[0:3], 0 offen
	buffer_store_dword v5, v2, s[0:3], 0 offen offset:4
	v_add_u32_e32 v2, 8, v2
	s_cbranch_scc0 .LBB171_82
.LBB171_83:                             ;   in Loop: Header=BB171_76 Depth=2
	s_cmp_lt_i32 s20, 1
	s_cbranch_scc1 .LBB171_95
; %bb.84:                               ;   in Loop: Header=BB171_76 Depth=2
	s_mov_b32 s6, 0
	s_mov_b32 s30, s20
	s_branch .LBB171_86
.LBB171_85:                             ;   in Loop: Header=BB171_86 Depth=3
	s_add_i32 s6, s6, 1
	s_add_i32 s30, s30, 32
	s_cmp_ge_i32 s6, s20
	s_cbranch_scc1 .LBB171_95
.LBB171_86:                             ;   Parent Loop BB171_73 Depth=1
                                        ;     Parent Loop BB171_76 Depth=2
                                        ; =>    This Loop Header: Depth=3
                                        ;         Child Loop BB171_88 Depth 4
                                        ;         Child Loop BB171_94 Depth 4
	s_lshl_b64 s[4:5], s[6:7], 3
	s_waitcnt vmcnt(0)
	v_mov_b32_e32 v1, s5
	v_add_co_u32_e32 v0, vcc, s4, v10
	v_addc_co_u32_e32 v1, vcc, v11, v1, vcc
	global_load_dwordx2 v[0:1], v[0:1], off
	s_and_b64 vcc, exec, s[14:15]
	s_cbranch_vccz .LBB171_90
; %bb.87:                               ;   in Loop: Header=BB171_86 Depth=3
	s_lshl_b32 s4, s6, 5
	s_add_i32 s4, s4, s20
	s_mov_b32 s5, s4
	s_waitcnt vmcnt(0)
	v_mov_b32_e32 v4, v0
	v_mov_b32_e32 v5, v0
	;; [unrolled: 1-line block ×6, first 2 shown]
	s_mov_b32 s18, 1
	s_mov_b32 s19, 0
	;; [unrolled: 1-line block ×3, first 2 shown]
.LBB171_88:                             ;   Parent Loop BB171_73 Depth=1
                                        ;     Parent Loop BB171_76 Depth=2
                                        ;       Parent Loop BB171_86 Depth=3
                                        ; =>      This Inner Loop Header: Depth=4
	buffer_load_dword v14, v3, s[0:3], 0 offen
	buffer_load_dword v16, v3, s[0:3], 0 offen offset:4
	buffer_load_dword v15, v3, s[0:3], 0 offen offset:8
	;; [unrolled: 1-line block ×3, first 2 shown]
	s_add_i32 s34, s5, s18
	s_add_i32 s35, s4, s19
	s_lshl_b32 s35, s35, 3
	s_lshl_b32 s34, s34, 3
	v_mov_b32_e32 v13, s35
	v_mov_b32_e32 v20, s34
	ds_read_b64 v[18:19], v13
	ds_read_b64 v[20:21], v20
	s_add_i32 s19, s19, 2
	s_add_i32 s18, s18, 2
	s_add_i32 s31, s31, -2
	s_waitcnt lgkmcnt(1)
	v_mov_b32_e32 v22, v18
	s_waitcnt lgkmcnt(0)
	v_mov_b32_e32 v23, v20
	v_mov_b32_e32 v20, v19
	v_pk_mul_f32 v[18:19], v[20:21], v[6:7]
	v_pk_mul_f32 v[20:21], v[20:21], v[4:5]
	v_pk_fma_f32 v[18:19], v[22:23], v[4:5], v[18:19] neg_lo:[0,0,1] neg_hi:[0,0,1]
	v_pk_fma_f32 v[20:21], v[22:23], v[6:7], v[20:21]
	s_cmp_lg_u32 s31, 0
	s_waitcnt vmcnt(1)
	v_pk_add_f32 v[14:15], v[14:15], v[18:19] neg_lo:[0,1] neg_hi:[0,1]
	s_waitcnt vmcnt(0)
	v_pk_add_f32 v[16:17], v[16:17], v[20:21] neg_lo:[0,1] neg_hi:[0,1]
	buffer_store_dword v14, v3, s[0:3], 0 offen
	buffer_store_dword v16, v3, s[0:3], 0 offen offset:4
	buffer_store_dword v15, v3, s[0:3], 0 offen offset:8
	;; [unrolled: 1-line block ×3, first 2 shown]
	v_add_u32_e32 v3, 16, v3
	s_cbranch_scc1 .LBB171_88
; %bb.89:                               ;   in Loop: Header=BB171_86 Depth=3
	s_mov_b64 s[4:5], s[16:17]
	s_mov_b32 s18, s23
	s_branch .LBB171_92
.LBB171_90:                             ;   in Loop: Header=BB171_86 Depth=3
	s_mov_b64 s[4:5], 0
                                        ; implicit-def: $vgpr2_vgpr3
	s_mov_b32 s18, s23
	s_cbranch_execz .LBB171_92
; %bb.91:                               ;   in Loop: Header=BB171_86 Depth=3
	s_waitcnt vmcnt(0)
	v_mov_b32_e32 v2, v1
	s_mov_b64 s[4:5], -1
	s_mov_b32 s18, 0
.LBB171_92:                             ;   in Loop: Header=BB171_86 Depth=3
	s_andn2_b64 vcc, exec, s[4:5]
	s_cbranch_vccnz .LBB171_85
; %bb.93:                               ;   in Loop: Header=BB171_86 Depth=3
	s_sub_i32 s4, s22, s18
	s_add_i32 s5, s18, s30
	s_lshl_b32 s18, s18, 3
	s_waitcnt vmcnt(0)
	v_mov_b32_e32 v3, v1
	v_mov_b32_e32 v1, v0
	s_lshl_b32 s5, s5, 3
	v_add_u32_e32 v4, s18, v12
.LBB171_94:                             ;   Parent Loop BB171_73 Depth=1
                                        ;     Parent Loop BB171_76 Depth=2
                                        ;       Parent Loop BB171_86 Depth=3
                                        ; =>      This Inner Loop Header: Depth=4
	buffer_load_dword v6, v4, s[0:3], 0 offen
	buffer_load_dword v7, v4, s[0:3], 0 offen offset:4
	v_mov_b32_e32 v5, s5
	ds_read_b64 v[14:15], v5
	s_add_i32 s4, s4, -1
	s_add_i32 s5, s5, 8
	s_cmp_eq_u32 s4, 0
	s_waitcnt lgkmcnt(0)
	v_pk_mul_f32 v[16:17], v[14:15], v[2:3]
	v_pk_fma_f32 v[18:19], v[14:15], v[0:1], v[16:17] op_sel:[0,0,1] op_sel_hi:[1,1,0] neg_lo:[0,0,1] neg_hi:[0,0,1]
	v_pk_fma_f32 v[14:15], v[14:15], v[0:1], v[16:17] op_sel:[0,0,1] op_sel_hi:[1,1,0]
	v_mov_b32_e32 v19, v15
	s_waitcnt vmcnt(0)
	v_pk_add_f32 v[6:7], v[6:7], v[18:19] neg_lo:[0,1] neg_hi:[0,1]
	buffer_store_dword v6, v4, s[0:3], 0 offen
	buffer_store_dword v7, v4, s[0:3], 0 offen offset:4
	v_add_u32_e32 v4, 8, v4
	s_cbranch_scc0 .LBB171_94
	s_branch .LBB171_85
.LBB171_95:                             ;   in Loop: Header=BB171_76 Depth=2
	s_mov_b32 s6, 0
	s_mov_b32 s30, s28
	s_branch .LBB171_97
.LBB171_96:                             ;   in Loop: Header=BB171_97 Depth=3
	s_mul_i32 s5, s4, 0x108
	v_mov_b32_e32 v2, s5
	ds_read_b64 v[2:3], v2
	s_lshl_b32 s5, s6, 3
	v_add_u32_e32 v6, s5, v12
	s_ashr_i32 s5, s4, 31
	s_lshl_b64 s[4:5], s[4:5], 3
	s_waitcnt vmcnt(0) lgkmcnt(0)
	v_mul_f32_e32 v4, v3, v1
	v_mul_f32_e32 v5, v2, v1
	v_fma_f32 v4, v2, v0, -v4
	v_fmac_f32_e32 v5, v3, v0
	v_mov_b32_e32 v1, s5
	v_add_co_u32_e32 v0, vcc, s4, v10
	s_add_i32 s6, s6, 1
	s_add_i32 s30, s30, 8
	v_addc_co_u32_e32 v1, vcc, v11, v1, vcc
	s_cmp_eq_u32 s6, s22
	buffer_store_dword v4, v6, s[0:3], 0 offen
	buffer_store_dword v5, v6, s[0:3], 0 offen offset:4
	global_store_dwordx2 v[0:1], v[4:5], off
	s_cbranch_scc1 .LBB171_75
.LBB171_97:                             ;   Parent Loop BB171_73 Depth=1
                                        ;     Parent Loop BB171_76 Depth=2
                                        ; =>    This Loop Header: Depth=3
                                        ;         Child Loop BB171_99 Depth 4
	s_cmp_lg_u32 s6, 0
	s_cbranch_scc0 .LBB171_101
; %bb.98:                               ;   in Loop: Header=BB171_97 Depth=3
	s_lshl_b32 s4, s6, 3
	v_add_u32_e32 v2, s4, v12
	buffer_load_dword v0, v2, s[0:3], 0 offen
	buffer_load_dword v1, v2, s[0:3], 0 offen offset:4
	v_mov_b32_e32 v3, 0
	s_mov_b32 s4, 0
	s_mov_b32 s5, s30
.LBB171_99:                             ;   Parent Loop BB171_73 Depth=1
                                        ;     Parent Loop BB171_76 Depth=2
                                        ;       Parent Loop BB171_97 Depth=3
                                        ; =>      This Inner Loop Header: Depth=4
	buffer_load_dword v5, v3, s[0:3], 0 offen offset:4
	buffer_load_dword v4, v3, s[0:3], 0 offen
	v_mov_b32_e32 v6, s5
	ds_read_b64 v[6:7], v6
	s_add_i32 s4, s4, 1
	s_addk_i32 s5, 0x100
	v_add_u32_e32 v3, 8, v3
	s_cmp_ge_u32 s4, s6
	s_waitcnt vmcnt(1)
	v_mov_b32_e32 v14, v5
	s_waitcnt lgkmcnt(0)
	v_pk_mul_f32 v[14:15], v[6:7], v[14:15] op_sel_hi:[1,0]
	s_waitcnt vmcnt(0)
	v_pk_fma_f32 v[16:17], v[6:7], v[4:5], v[14:15] op_sel:[0,0,1] op_sel_hi:[1,1,0] neg_lo:[0,0,1] neg_hi:[0,0,1]
	v_pk_fma_f32 v[4:5], v[6:7], v[4:5], v[14:15] op_sel:[0,0,1] op_sel_hi:[1,0,0]
	v_mov_b32_e32 v17, v5
	v_pk_add_f32 v[0:1], v[0:1], v[16:17] neg_lo:[0,1] neg_hi:[0,1]
	buffer_store_dword v0, v2, s[0:3], 0 offen
	buffer_store_dword v1, v2, s[0:3], 0 offen offset:4
	s_cbranch_scc0 .LBB171_99
; %bb.100:                              ;   in Loop: Header=BB171_97 Depth=3
	s_add_i32 s4, s6, s20
	s_branch .LBB171_96
.LBB171_101:                            ;   in Loop: Header=BB171_97 Depth=3
                                        ; implicit-def: $vgpr0
                                        ; implicit-def: $sgpr4
	s_cbranch_execz .LBB171_96
; %bb.102:                              ;   in Loop: Header=BB171_97 Depth=3
	buffer_load_dword v0, off, s[0:3], 0
	buffer_load_dword v1, off, s[0:3], 0 offset:4
	s_mov_b32 s4, s20
	s_branch .LBB171_96
.LBB171_103:
	s_endpgm
	.section	.rodata,"a",@progbits
	.p2align	6, 0x0
	.amdhsa_kernel _ZL30rocblas_trsm_small_left_deviceILi32ELi32ELb1E19rocblas_complex_numIfES1_PKS1_PS1_Ev13rocblas_fill_18rocblas_operation_17rocblas_diagonal_iiT3_T4_lilT5_lili
		.amdhsa_group_segment_fixed_size 8192
		.amdhsa_private_segment_fixed_size 272
		.amdhsa_kernarg_size 360
		.amdhsa_user_sgpr_count 8
		.amdhsa_user_sgpr_private_segment_buffer 1
		.amdhsa_user_sgpr_dispatch_ptr 0
		.amdhsa_user_sgpr_queue_ptr 0
		.amdhsa_user_sgpr_kernarg_segment_ptr 1
		.amdhsa_user_sgpr_dispatch_id 0
		.amdhsa_user_sgpr_flat_scratch_init 1
		.amdhsa_user_sgpr_kernarg_preload_length 0
		.amdhsa_user_sgpr_kernarg_preload_offset 0
		.amdhsa_user_sgpr_private_segment_size 0
		.amdhsa_uses_dynamic_stack 0
		.amdhsa_system_sgpr_private_segment_wavefront_offset 1
		.amdhsa_system_sgpr_workgroup_id_x 1
		.amdhsa_system_sgpr_workgroup_id_y 0
		.amdhsa_system_sgpr_workgroup_id_z 1
		.amdhsa_system_sgpr_workgroup_info 0
		.amdhsa_system_vgpr_workitem_id 0
		.amdhsa_next_free_vgpr 26
		.amdhsa_next_free_sgpr 46
		.amdhsa_accum_offset 28
		.amdhsa_reserve_vcc 1
		.amdhsa_reserve_flat_scratch 0
		.amdhsa_float_round_mode_32 0
		.amdhsa_float_round_mode_16_64 0
		.amdhsa_float_denorm_mode_32 3
		.amdhsa_float_denorm_mode_16_64 3
		.amdhsa_dx10_clamp 1
		.amdhsa_ieee_mode 1
		.amdhsa_fp16_overflow 0
		.amdhsa_tg_split 0
		.amdhsa_exception_fp_ieee_invalid_op 0
		.amdhsa_exception_fp_denorm_src 0
		.amdhsa_exception_fp_ieee_div_zero 0
		.amdhsa_exception_fp_ieee_overflow 0
		.amdhsa_exception_fp_ieee_underflow 0
		.amdhsa_exception_fp_ieee_inexact 0
		.amdhsa_exception_int_div_zero 0
	.end_amdhsa_kernel
	.section	.text._ZL30rocblas_trsm_small_left_deviceILi32ELi32ELb1E19rocblas_complex_numIfES1_PKS1_PS1_Ev13rocblas_fill_18rocblas_operation_17rocblas_diagonal_iiT3_T4_lilT5_lili,"axG",@progbits,_ZL30rocblas_trsm_small_left_deviceILi32ELi32ELb1E19rocblas_complex_numIfES1_PKS1_PS1_Ev13rocblas_fill_18rocblas_operation_17rocblas_diagonal_iiT3_T4_lilT5_lili,comdat
.Lfunc_end171:
	.size	_ZL30rocblas_trsm_small_left_deviceILi32ELi32ELb1E19rocblas_complex_numIfES1_PKS1_PS1_Ev13rocblas_fill_18rocblas_operation_17rocblas_diagonal_iiT3_T4_lilT5_lili, .Lfunc_end171-_ZL30rocblas_trsm_small_left_deviceILi32ELi32ELb1E19rocblas_complex_numIfES1_PKS1_PS1_Ev13rocblas_fill_18rocblas_operation_17rocblas_diagonal_iiT3_T4_lilT5_lili
                                        ; -- End function
	.section	.AMDGPU.csdata,"",@progbits
; Kernel info:
; codeLenInByte = 4336
; NumSgprs: 50
; NumVgprs: 26
; NumAgprs: 0
; TotalNumVgprs: 26
; ScratchSize: 272
; MemoryBound: 0
; FloatMode: 240
; IeeeMode: 1
; LDSByteSize: 8192 bytes/workgroup (compile time only)
; SGPRBlocks: 6
; VGPRBlocks: 3
; NumSGPRsForWavesPerEU: 50
; NumVGPRsForWavesPerEU: 26
; AccumOffset: 28
; Occupancy: 2
; WaveLimiterHint : 0
; COMPUTE_PGM_RSRC2:SCRATCH_EN: 1
; COMPUTE_PGM_RSRC2:USER_SGPR: 8
; COMPUTE_PGM_RSRC2:TRAP_HANDLER: 0
; COMPUTE_PGM_RSRC2:TGID_X_EN: 1
; COMPUTE_PGM_RSRC2:TGID_Y_EN: 0
; COMPUTE_PGM_RSRC2:TGID_Z_EN: 1
; COMPUTE_PGM_RSRC2:TIDIG_COMP_CNT: 0
; COMPUTE_PGM_RSRC3_GFX90A:ACCUM_OFFSET: 6
; COMPUTE_PGM_RSRC3_GFX90A:TG_SPLIT: 0
	.section	.text._ZL31rocblas_trsm_small_right_deviceI19rocblas_complex_numIfES1_PKS1_PS1_Li32EEv13rocblas_fill_18rocblas_operation_17rocblas_diagonal_iiT0_T1_lilT2_lili,"axG",@progbits,_ZL31rocblas_trsm_small_right_deviceI19rocblas_complex_numIfES1_PKS1_PS1_Li32EEv13rocblas_fill_18rocblas_operation_17rocblas_diagonal_iiT0_T1_lilT2_lili,comdat
	.globl	_ZL31rocblas_trsm_small_right_deviceI19rocblas_complex_numIfES1_PKS1_PS1_Li32EEv13rocblas_fill_18rocblas_operation_17rocblas_diagonal_iiT0_T1_lilT2_lili ; -- Begin function _ZL31rocblas_trsm_small_right_deviceI19rocblas_complex_numIfES1_PKS1_PS1_Li32EEv13rocblas_fill_18rocblas_operation_17rocblas_diagonal_iiT0_T1_lilT2_lili
	.p2align	8
	.type	_ZL31rocblas_trsm_small_right_deviceI19rocblas_complex_numIfES1_PKS1_PS1_Li32EEv13rocblas_fill_18rocblas_operation_17rocblas_diagonal_iiT0_T1_lilT2_lili,@function
_ZL31rocblas_trsm_small_right_deviceI19rocblas_complex_numIfES1_PKS1_PS1_Li32EEv13rocblas_fill_18rocblas_operation_17rocblas_diagonal_iiT0_T1_lilT2_lili: ; @_ZL31rocblas_trsm_small_right_deviceI19rocblas_complex_numIfES1_PKS1_PS1_Li32EEv13rocblas_fill_18rocblas_operation_17rocblas_diagonal_iiT0_T1_lilT2_lili
; %bb.0:
	s_load_dwordx8 s[12:19], s[4:5], 0x0
	s_load_dwordx4 s[20:23], s[4:5], 0x38
	s_load_dwordx2 s[26:27], s[4:5], 0x48
	s_waitcnt lgkmcnt(0)
	s_load_dword s19, s[4:5], 0x68
	s_mov_b32 s40, 0
	s_min_i32 s33, s16, 32
	s_add_i32 s50, s33, -1
	v_cmp_gt_i32_e32 vcc, s33, v0
	s_and_saveexec_b64 s[24:25], vcc
	s_cbranch_execz .LBB172_29
; %bb.1:
	s_load_dword s28, s[4:5], 0x30
	s_load_dwordx4 s[8:11], s[4:5], 0x20
	s_mul_i32 s0, s7, s21
	s_mul_hi_u32 s1, s7, s20
	s_mul_i32 s20, s7, s20
	s_waitcnt lgkmcnt(0)
	s_ashr_i32 s29, s28, 31
	s_cmpk_lg_i32 s13, 0x71
	s_cselect_b64 s[30:31], -1, 0
	s_add_i32 s21, s1, s0
	v_cndmask_b32_e64 v1, 0, 1, s[30:31]
	s_cmp_lt_u32 s50, 3
	v_cmp_ne_u32_e64 s[0:1], 1, v1
	s_cbranch_scc1 .LBB172_20
; %bb.2:
	s_lshl_b64 s[2:3], s[20:21], 3
	s_add_u32 s34, s8, s2
	s_addc_u32 s35, s9, s3
	s_lshl_b64 s[2:3], s[10:11], 3
	s_add_u32 s2, s34, s2
	s_addc_u32 s3, s35, s3
	v_lshlrev_b32_e32 v1, 3, v0
	v_mov_b32_e32 v3, s3
	v_add_co_u32_e32 v2, vcc, s2, v1
	s_mul_hi_i32 s2, s28, 24
	s_lshl_b64 s[34:35], s[28:29], 5
	s_lshl_b64 s[36:37], s[28:29], 4
	;; [unrolled: 1-line block ×3, first 2 shown]
	v_addc_co_u32_e32 v3, vcc, 0, v3, vcc
	s_and_b32 s40, s33, -4
	s_mul_i32 s41, s28, 24
	s_mov_b32 s42, 0
	v_mov_b32_e32 v8, s39
	v_mov_b32_e32 v9, s37
	;; [unrolled: 1-line block ×4, first 2 shown]
	s_branch .LBB172_4
.LBB172_3:                              ;   in Loop: Header=BB172_4 Depth=1
	global_load_dword v4, v[6:7], off
	s_add_i32 s42, s42, 4
	v_add_co_u32_e32 v2, vcc, s34, v2
	v_addc_co_u32_e32 v3, vcc, v3, v11, vcc
	s_cmp_eq_u32 s40, s42
	s_waitcnt vmcnt(0)
	ds_write_b64 v1, v[4:5] offset:768
	v_add_u32_e32 v1, 0x400, v1
	s_cbranch_scc1 .LBB172_20
.LBB172_4:                              ; =>This Inner Loop Header: Depth=1
	s_and_b64 vcc, exec, s[30:31]
	s_cbranch_vccz .LBB172_6
; %bb.5:                                ;   in Loop: Header=BB172_4 Depth=1
	global_load_dword v5, v[2:3], off offset:4
	s_cbranch_execz .LBB172_7
	s_branch .LBB172_8
.LBB172_6:                              ;   in Loop: Header=BB172_4 Depth=1
                                        ; implicit-def: $vgpr5
.LBB172_7:                              ;   in Loop: Header=BB172_4 Depth=1
	global_load_dword v4, v[2:3], off offset:4
	s_waitcnt vmcnt(0)
	v_xor_b32_e32 v5, 0x80000000, v4
.LBB172_8:                              ;   in Loop: Header=BB172_4 Depth=1
	global_load_dword v4, v[2:3], off
	v_add_co_u32_e64 v6, s[2:3], s38, v2
	s_and_b64 vcc, exec, s[0:1]
	v_addc_co_u32_e64 v7, s[2:3], v3, v8, s[2:3]
	s_waitcnt vmcnt(0)
	ds_write_b64 v1, v[4:5]
	s_cbranch_vccnz .LBB172_10
; %bb.9:                                ;   in Loop: Header=BB172_4 Depth=1
	global_load_dword v5, v[6:7], off offset:4
	s_cbranch_execz .LBB172_11
	s_branch .LBB172_12
.LBB172_10:                             ;   in Loop: Header=BB172_4 Depth=1
                                        ; implicit-def: $vgpr5
.LBB172_11:                             ;   in Loop: Header=BB172_4 Depth=1
	global_load_dword v4, v[6:7], off offset:4
	s_waitcnt vmcnt(0)
	v_xor_b32_e32 v5, 0x80000000, v4
.LBB172_12:                             ;   in Loop: Header=BB172_4 Depth=1
	global_load_dword v4, v[6:7], off
	v_add_co_u32_e64 v6, s[2:3], s36, v2
	s_and_b64 vcc, exec, s[0:1]
	v_addc_co_u32_e64 v7, s[2:3], v3, v9, s[2:3]
	s_waitcnt vmcnt(0)
	ds_write_b64 v1, v[4:5] offset:256
	s_cbranch_vccnz .LBB172_14
; %bb.13:                               ;   in Loop: Header=BB172_4 Depth=1
	global_load_dword v5, v[6:7], off offset:4
	s_cbranch_execz .LBB172_15
	s_branch .LBB172_16
.LBB172_14:                             ;   in Loop: Header=BB172_4 Depth=1
                                        ; implicit-def: $vgpr5
.LBB172_15:                             ;   in Loop: Header=BB172_4 Depth=1
	global_load_dword v4, v[6:7], off offset:4
	s_waitcnt vmcnt(0)
	v_xor_b32_e32 v5, 0x80000000, v4
.LBB172_16:                             ;   in Loop: Header=BB172_4 Depth=1
	global_load_dword v4, v[6:7], off
	v_add_co_u32_e64 v6, s[2:3], s41, v2
	s_and_b64 vcc, exec, s[0:1]
	v_addc_co_u32_e64 v7, s[2:3], v3, v10, s[2:3]
	s_waitcnt vmcnt(0)
	ds_write_b64 v1, v[4:5] offset:512
	s_cbranch_vccnz .LBB172_18
; %bb.17:                               ;   in Loop: Header=BB172_4 Depth=1
	global_load_dword v5, v[6:7], off offset:4
	s_cbranch_execnz .LBB172_3
	s_branch .LBB172_19
.LBB172_18:                             ;   in Loop: Header=BB172_4 Depth=1
                                        ; implicit-def: $vgpr5
.LBB172_19:                             ;   in Loop: Header=BB172_4 Depth=1
	global_load_dword v4, v[6:7], off offset:4
	s_waitcnt vmcnt(0)
	v_xor_b32_e32 v5, 0x80000000, v4
	s_branch .LBB172_3
.LBB172_20:
	s_and_b32 s30, s33, 3
	s_cmp_eq_u32 s30, 0
	s_cbranch_scc1 .LBB172_27
; %bb.21:
	s_lshl_b64 s[2:3], s[20:21], 3
	s_mul_i32 s20, s29, s40
	s_mul_hi_u32 s21, s28, s40
	s_add_i32 s21, s21, s20
	s_mul_i32 s20, s28, s40
	s_lshl_b64 s[20:21], s[20:21], 3
	s_add_u32 s20, s2, s20
	s_addc_u32 s21, s3, s21
	s_lshl_b64 s[2:3], s[10:11], 3
	s_add_u32 s2, s20, s2
	s_addc_u32 s3, s21, s3
	s_add_u32 s2, s8, s2
	v_lshlrev_b32_e32 v2, 3, v0
	s_addc_u32 s3, s9, s3
	v_lshl_or_b32 v1, s40, 8, v2
	v_mov_b32_e32 v3, s3
	v_add_co_u32_e32 v2, vcc, s2, v2
	v_addc_co_u32_e32 v3, vcc, 0, v3, vcc
	v_add_co_u32_e32 v2, vcc, 4, v2
	s_lshl_b64 s[2:3], s[28:29], 3
	v_addc_co_u32_e32 v3, vcc, 0, v3, vcc
	v_mov_b32_e32 v6, s3
	s_branch .LBB172_23
.LBB172_22:                             ;   in Loop: Header=BB172_23 Depth=1
	global_load_dword v4, v[2:3], off offset:-4
	s_add_i32 s30, s30, -1
	v_add_co_u32_e32 v2, vcc, s2, v2
	s_cmp_lg_u32 s30, 0
	v_addc_co_u32_e32 v3, vcc, v3, v6, vcc
	s_waitcnt vmcnt(0)
	ds_write_b64 v1, v[4:5]
	v_add_u32_e32 v1, 0x100, v1
	s_cbranch_scc0 .LBB172_27
.LBB172_23:                             ; =>This Inner Loop Header: Depth=1
	s_and_b64 vcc, exec, s[0:1]
	s_cbranch_vccnz .LBB172_25
; %bb.24:                               ;   in Loop: Header=BB172_23 Depth=1
	global_load_dword v5, v[2:3], off
	s_cbranch_execnz .LBB172_22
	s_branch .LBB172_26
.LBB172_25:                             ;   in Loop: Header=BB172_23 Depth=1
                                        ; implicit-def: $vgpr5
.LBB172_26:                             ;   in Loop: Header=BB172_23 Depth=1
	global_load_dword v4, v[2:3], off
	s_waitcnt vmcnt(0)
	v_xor_b32_e32 v5, 0x80000000, v4
	s_branch .LBB172_22
.LBB172_27:
	s_cmpk_eq_i32 s14, 0x84
	s_cbranch_scc0 .LBB172_29
; %bb.28:
	v_mul_u32_u24_e32 v1, 33, v0
	v_lshlrev_b32_e32 v1, 3, v1
	v_mov_b32_e32 v2, 1.0
	v_mov_b32_e32 v3, 0
	ds_write_b64 v1, v[2:3]
.LBB172_29:
	s_or_b64 exec, exec, s[24:25]
	s_load_dwordx2 s[0:1], s[4:5], 0x58
	s_load_dword s14, s[4:5], 0x50
	s_waitcnt lgkmcnt(0)
	s_mul_i32 s1, s7, s1
	s_mul_hi_u32 s2, s7, s0
	s_mul_i32 s0, s7, s0
	s_add_i32 s1, s2, s1
	s_lshl_b64 s[24:25], s[0:1], 3
	s_add_u32 s0, s22, s24
	s_addc_u32 s1, s23, s25
	s_lshl_b64 s[20:21], s[26:27], 3
	s_add_u32 s0, s0, s20
	s_addc_u32 s1, s1, s21
	s_lshl_b32 s2, s6, 5
	s_add_i32 s19, s19, -1
	s_sub_i32 s2, s15, s2
	s_cmp_ge_u32 s6, s19
	s_cselect_b32 s2, s2, 32
	s_ashr_i32 s7, s6, 31
	s_lshl_b64 s[26:27], s[6:7], 8
	s_add_u32 s48, s0, s26
	s_addc_u32 s49, s1, s27
	s_cmp_gt_i32 s16, 0
	v_cmp_gt_i32_e32 vcc, s2, v0
	s_cselect_b64 s[2:3], -1, 0
	s_mov_b32 s0, 0
	s_and_b64 s[28:29], vcc, s[2:3]
	s_and_saveexec_b64 s[30:31], s[28:29]
	s_cbranch_execz .LBB172_41
; %bb.30:
	s_cmp_lt_u32 s16, 2
	s_cselect_b64 s[4:5], -1, 0
	s_cmp_lg_u32 s14, 1
	s_cselect_b64 s[6:7], -1, 0
	s_or_b64 s[4:5], s[4:5], s[6:7]
	s_mov_b32 s1, 1
	s_mov_b64 s[2:3], -1
	s_and_b64 vcc, exec, s[4:5]
	s_cbranch_vccnz .LBB172_38
; %bb.31:
	s_add_i32 s0, s16, -2
	v_lshlrev_b32_e32 v1, 3, v0
	s_lshr_b32 s15, s0, 1
	v_mov_b32_e32 v3, s49
	v_add_co_u32_e32 v2, vcc, s48, v1
	s_add_i32 s15, s15, 1
	s_mov_b32 s37, 0
	v_addc_co_u32_e32 v3, vcc, 0, v3, vcc
	s_mov_b32 s34, s17
	s_mov_b32 s35, s17
	;; [unrolled: 1-line block ×3, first 2 shown]
	s_cmp_lt_u32 s0, 6
	s_mov_b32 s0, s37
	s_cbranch_scc1 .LBB172_35
; %bb.32:
	s_and_b32 s51, s15, -4
	s_mov_b32 s38, 1
	s_mov_b32 s36, s37
.LBB172_33:                             ; =>This Inner Loop Header: Depth=1
	s_lshl_b64 s[0:1], s[36:37], 3
	s_mov_b32 s39, s37
	s_add_i32 s40, s38, 2
	s_add_i32 s42, s36, 2
	s_mov_b32 s43, s37
	s_mov_b32 s41, s37
	s_add_i32 s44, s38, 4
	s_add_i32 s46, s36, 4
	s_mov_b32 s47, s37
	;; [unrolled: 4-line block ×3, first 2 shown]
	s_mov_b32 s53, s37
	v_mov_b32_e32 v5, s1
	v_add_co_u32_e32 v4, vcc, s0, v2
	s_lshl_b64 s[10:11], s[38:39], 3
	s_lshl_b64 s[2:3], s[42:43], 3
	;; [unrolled: 1-line block ×7, first 2 shown]
	v_addc_co_u32_e32 v5, vcc, v3, v5, vcc
	v_mov_b32_e32 v7, s11
	v_mov_b32_e32 v9, s3
	v_add_co_u32_e32 v6, vcc, s2, v2
	v_mov_b32_e32 v11, s5
	v_add_co_u32_e64 v8, s[0:1], s4, v2
	v_mov_b32_e32 v13, s7
	v_add_co_u32_e64 v10, s[2:3], s6, v2
	;; [unrolled: 2-line block ×5, first 2 shown]
	v_add_co_u32_e64 v18, s[10:11], s10, v2
	v_addc_co_u32_e64 v19, s[10:11], v3, v7, s[10:11]
	v_addc_co_u32_e32 v7, vcc, v3, v9, vcc
	v_addc_co_u32_e64 v9, vcc, v3, v11, s[0:1]
	v_addc_co_u32_e64 v11, vcc, v3, v13, s[2:3]
	;; [unrolled: 1-line block ×5, first 2 shown]
	global_load_dwordx2 v[20:21], v[4:5], off
	global_load_dwordx2 v[22:23], v[18:19], off
	;; [unrolled: 1-line block ×8, first 2 shown]
	v_lshl_or_b32 v36, s36, 8, v1
	v_lshl_or_b32 v37, s38, 8, v1
	s_add_i32 s36, s36, 8
	s_add_i32 s51, s51, -4
	s_add_i32 s38, s38, 8
	s_cmp_lg_u32 s51, 0
	v_lshl_or_b32 v38, s42, 8, v1
	v_lshl_or_b32 v39, s40, 8, v1
	;; [unrolled: 1-line block ×6, first 2 shown]
	s_waitcnt vmcnt(7)
	v_mov_b32_e32 v4, v20
	s_waitcnt vmcnt(6)
	v_mov_b32_e32 v5, v22
	v_mov_b32_e32 v22, v21
	s_waitcnt vmcnt(4)
	v_mov_b32_e32 v7, v26
	;; [unrolled: 3-line block ×4, first 2 shown]
	v_mov_b32_e32 v34, v33
	v_pk_mul_f32 v[12:13], s[18:19], v[22:23]
	v_pk_mul_f32 v[14:15], s[34:35], v[22:23]
	v_mov_b32_e32 v6, v24
	v_mov_b32_e32 v8, v28
	;; [unrolled: 1-line block ×3, first 2 shown]
	v_pk_mul_f32 v[16:17], s[18:19], v[26:27]
	v_pk_mul_f32 v[18:19], s[34:35], v[26:27]
	;; [unrolled: 1-line block ×6, first 2 shown]
	v_pk_fma_f32 v[12:13], s[34:35], v[4:5], v[12:13] neg_lo:[0,0,1] neg_hi:[0,0,1]
	v_pk_fma_f32 v[4:5], s[18:19], v[4:5], v[14:15]
	v_pk_fma_f32 v[14:15], s[34:35], v[6:7], v[16:17] neg_lo:[0,0,1] neg_hi:[0,0,1]
	v_pk_fma_f32 v[6:7], s[18:19], v[6:7], v[18:19]
	;; [unrolled: 2-line block ×4, first 2 shown]
	v_mov_b32_e32 v20, v12
	v_mov_b32_e32 v21, v4
	;; [unrolled: 1-line block ×12, first 2 shown]
	ds_write_b64 v36, v[20:21] offset:8192
	ds_write_b64 v37, v[4:5] offset:8192
	;; [unrolled: 1-line block ×8, first 2 shown]
	s_cbranch_scc1 .LBB172_33
; %bb.34:
	s_mov_b32 s37, s38
	s_mov_b64 s[0:1], s[36:37]
.LBB172_35:
	s_and_b32 s4, s15, 3
	s_cmp_eq_u32 s4, 0
	s_mov_b32 s3, 0
	s_cbranch_scc1 .LBB172_37
.LBB172_36:                             ; =>This Inner Loop Header: Depth=1
	s_mov_b32 s2, s0
	s_lshl_b64 s[6:7], s[2:3], 3
	s_mov_b32 s2, s1
	v_mov_b32_e32 v5, s7
	v_add_co_u32_e32 v4, vcc, s6, v2
	s_lshl_b64 s[8:9], s[2:3], 3
	v_addc_co_u32_e32 v5, vcc, v3, v5, vcc
	v_mov_b32_e32 v7, s9
	v_add_co_u32_e32 v6, vcc, s8, v2
	v_addc_co_u32_e32 v7, vcc, v3, v7, vcc
	global_load_dwordx2 v[8:9], v[4:5], off
	global_load_dwordx2 v[10:11], v[6:7], off
	v_lshl_or_b32 v12, s0, 8, v1
	v_lshl_or_b32 v13, s1, 8, v1
	s_add_i32 s0, s0, 2
	s_add_i32 s4, s4, -1
	s_add_i32 s1, s1, 2
	s_cmp_lg_u32 s4, 0
	s_waitcnt vmcnt(1)
	v_mov_b32_e32 v4, v8
	s_waitcnt vmcnt(0)
	v_mov_b32_e32 v5, v10
	v_mov_b32_e32 v10, v9
	v_pk_mul_f32 v[6:7], s[18:19], v[10:11]
	v_pk_mul_f32 v[8:9], s[34:35], v[10:11]
	v_pk_fma_f32 v[6:7], s[34:35], v[4:5], v[6:7] neg_lo:[0,0,1] neg_hi:[0,0,1]
	v_pk_fma_f32 v[4:5], s[18:19], v[4:5], v[8:9]
	v_mov_b32_e32 v8, v6
	v_mov_b32_e32 v9, v4
	;; [unrolled: 1-line block ×3, first 2 shown]
	ds_write_b64 v12, v[8:9] offset:8192
	ds_write_b64 v13, v[4:5] offset:8192
	s_cbranch_scc1 .LBB172_36
.LBB172_37:
	s_and_b32 s0, s16, 0x7ffffffe
	s_cmp_lg_u32 s0, s16
	s_cselect_b64 s[2:3], -1, 0
.LBB172_38:
	s_and_b64 vcc, exec, s[2:3]
	s_cbranch_vccz .LBB172_41
; %bb.39:
	v_lshlrev_b32_e32 v2, 3, v0
	v_lshl_or_b32 v1, s0, 8, v2
	s_sub_i32 s2, s16, s0
	s_mul_hi_i32 s1, s14, s0
	s_mul_i32 s0, s14, s0
	s_ashr_i32 s15, s14, 31
	s_lshl_b64 s[0:1], s[0:1], 3
	s_add_u32 s0, s24, s0
	s_addc_u32 s1, s25, s1
	s_add_u32 s0, s0, s26
	s_addc_u32 s1, s1, s27
	;; [unrolled: 2-line block ×4, first 2 shown]
	v_mov_b32_e32 v3, s1
	v_add_co_u32_e32 v2, vcc, s0, v2
	v_addc_co_u32_e32 v3, vcc, 0, v3, vcc
	v_add_co_u32_e32 v2, vcc, 4, v2
	s_lshl_b64 s[0:1], s[14:15], 3
	v_add_u32_e32 v1, 0x2000, v1
	v_addc_co_u32_e32 v3, vcc, 0, v3, vcc
	v_mov_b32_e32 v4, s1
.LBB172_40:                             ; =>This Inner Loop Header: Depth=1
	global_load_dwordx2 v[6:7], v[2:3], off offset:-4
	s_add_i32 s2, s2, -1
	v_add_co_u32_e32 v2, vcc, s0, v2
	v_addc_co_u32_e32 v3, vcc, v3, v4, vcc
	s_cmp_lg_u32 s2, 0
	s_waitcnt vmcnt(0)
	v_mul_f32_e32 v5, s18, v7
	v_mul_f32_e32 v9, s17, v7
	v_fma_f32 v8, s17, v6, -v5
	v_fmac_f32_e32 v9, s18, v6
	ds_write_b64 v1, v[8:9]
	v_add_u32_e32 v1, 0x100, v1
	s_cbranch_scc1 .LBB172_40
.LBB172_41:
	s_or_b64 exec, exec, s[30:31]
	s_cmpk_eq_i32 s13, 0x6f
	s_cselect_b64 s[0:1], -1, 0
	s_cmpk_eq_i32 s12, 0x79
	s_cselect_b64 s[4:5], -1, 0
	s_cmpk_lg_i32 s12, 0x79
	s_cselect_b64 s[2:3], -1, 0
	s_and_b64 s[4:5], s[4:5], s[0:1]
	s_andn2_b64 vcc, exec, s[4:5]
	s_mov_b64 s[4:5], -1
	s_waitcnt lgkmcnt(0)
	; wave barrier
	s_waitcnt lgkmcnt(0)
	s_cbranch_vccz .LBB172_149
; %bb.42:
	s_cmpk_lg_i32 s12, 0x7a
	s_cselect_b64 s[6:7], -1, 0
	s_xor_b64 s[0:1], s[0:1], -1
	s_or_b64 s[6:7], s[6:7], s[0:1]
	s_cmp_gt_i32 s16, 3
	s_cselect_b64 s[0:1], -1, 0
	s_and_b64 vcc, exec, s[6:7]
	s_cbranch_vccz .LBB172_116
; %bb.43:
	s_andn2_b64 vcc, exec, s[2:3]
	s_mov_b64 s[2:3], -1
	s_cbranch_vccnz .LBB172_83
; %bb.44:
	s_andn2_b64 vcc, exec, s[0:1]
	s_mov_b32 s6, 0
	s_cbranch_vccnz .LBB172_67
; %bb.45:
	v_mov_b32_e32 v1, 0x2000
	v_lshl_or_b32 v1, v0, 3, v1
	s_mov_b32 s4, 0
	s_mov_b32 s5, 0
.LBB172_46:                             ; =>This Loop Header: Depth=1
                                        ;     Child Loop BB172_48 Depth 2
	s_lshl_b32 s3, s5, 5
	v_or_b32_e32 v2, s3, v0
	s_or_b32 s7, s3, 32
	v_lshlrev_b32_e32 v4, 3, v2
	v_or_b32_e32 v2, s7, v0
	s_or_b32 s6, s3, 64
	s_lshl_b32 s2, s5, 8
	v_lshlrev_b32_e32 v5, 3, v2
	v_or_b32_e32 v2, s6, v0
	v_lshlrev_b32_e32 v12, 3, v2
	v_lshl_or_b32 v13, v0, 3, s2
	ds_read_b64 v[2:3], v4 offset:8192
	ds_read_b64 v[10:11], v5 offset:8192
	;; [unrolled: 1-line block ×4, first 2 shown]
	s_cmp_eq_u32 s5, 0
	s_cbranch_scc1 .LBB172_49
; %bb.47:                               ;   in Loop: Header=BB172_46 Depth=1
	s_mov_b32 s2, 0
	v_mov_b32_e32 v14, v1
	s_mov_b32 s3, s4
.LBB172_48:                             ;   Parent Loop BB172_46 Depth=1
                                        ; =>  This Inner Loop Header: Depth=2
	ds_read2_b64 v[16:19], v14 offset1:32
	v_mov_b32_e32 v15, s3
	ds_read_b128 v[20:23], v15
	ds_read_b128 v[24:27], v15 offset:16
	ds_read_b128 v[28:31], v15 offset:256
	;; [unrolled: 1-line block ×3, first 2 shown]
	s_add_i32 s2, s2, 2
	s_addk_i32 s3, 0x200
	s_waitcnt lgkmcnt(3)
	v_mul_f32_e32 v15, v21, v17
	v_mul_f32_e32 v36, v20, v17
	v_mul_f32_e32 v37, v23, v17
	v_mul_f32_e32 v23, v23, v16
	s_waitcnt lgkmcnt(2)
	v_mul_f32_e32 v38, v25, v17
	v_mul_f32_e32 v25, v25, v16
	v_mul_f32_e32 v39, v27, v17
	v_mul_f32_e32 v27, v27, v16
	;; [unrolled: 5-line block ×4, first 2 shown]
	v_fma_f32 v15, v20, v16, -v15
	v_fmac_f32_e32 v36, v21, v16
	v_fma_f32 v20, v22, v16, -v37
	v_fmac_f32_e32 v23, v22, v17
	;; [unrolled: 2-line block ×8, first 2 shown]
	v_sub_f32_e32 v2, v2, v15
	v_sub_f32_e32 v3, v3, v36
	;; [unrolled: 1-line block ×8, first 2 shown]
	v_add_u32_e32 v14, 0x200, v14
	s_cmp_ge_u32 s2, s5
	v_sub_f32_e32 v2, v2, v17
	v_sub_f32_e32 v3, v3, v41
	;; [unrolled: 1-line block ×8, first 2 shown]
	s_cbranch_scc0 .LBB172_48
.LBB172_49:                             ;   in Loop: Header=BB172_46 Depth=1
	s_mul_i32 s8, s5, 0x108
	v_add_u32_e32 v17, 0x2000, v4
	v_mov_b32_e32 v4, s8
	v_add_u32_e32 v16, 0x2000, v5
	ds_read_b64 v[4:5], v4
	v_add_u32_e32 v15, 0x2000, v12
	v_add_u32_e32 v14, 0x2300, v13
	s_waitcnt lgkmcnt(0)
	v_cmp_gt_f32_e32 vcc, 0, v5
	v_cndmask_b32_e64 v12, v5, -v5, vcc
	v_cmp_gt_f32_e32 vcc, 0, v4
	v_cndmask_b32_e64 v13, v4, -v4, vcc
	v_cmp_ngt_f32_e32 vcc, v13, v12
	s_cbranch_vccz .LBB172_51
; %bb.50:                               ;   in Loop: Header=BB172_46 Depth=1
	v_div_scale_f32 v12, s[2:3], v5, v5, v4
	v_rcp_f32_e32 v13, v12
	v_div_scale_f32 v18, vcc, v4, v5, v4
	v_fma_f32 v19, -v12, v13, 1.0
	v_fmac_f32_e32 v13, v19, v13
	v_mul_f32_e32 v19, v18, v13
	v_fma_f32 v20, -v12, v19, v18
	v_fmac_f32_e32 v19, v20, v13
	v_fma_f32 v12, -v12, v19, v18
	v_div_fmas_f32 v12, v12, v13, v19
	v_div_fixup_f32 v13, v12, v5, v4
	v_fma_f32 v12, v4, v13, v5
	v_div_scale_f32 v18, s[2:3], v12, v12, 1.0
	v_rcp_f32_e32 v19, v18
	v_fma_f32 v20, -v18, v19, 1.0
	v_fmac_f32_e32 v19, v20, v19
	v_div_scale_f32 v20, vcc, 1.0, v12, 1.0
	v_mul_f32_e32 v21, v20, v19
	v_fma_f32 v22, -v18, v21, v20
	v_fmac_f32_e32 v21, v22, v19
	v_fma_f32 v18, -v18, v21, v20
	v_div_fmas_f32 v18, v18, v19, v21
	v_div_fixup_f32 v18, v18, v12, 1.0
	v_fma_f32 v12, v2, v13, v3
	v_fma_f32 v13, v3, v13, -v2
	v_mul_f32_e32 v12, v12, v18
	v_mul_f32_e32 v13, v13, v18
	s_cbranch_execz .LBB172_52
	s_branch .LBB172_53
.LBB172_51:                             ;   in Loop: Header=BB172_46 Depth=1
                                        ; implicit-def: $vgpr13
.LBB172_52:                             ;   in Loop: Header=BB172_46 Depth=1
	v_div_scale_f32 v12, s[2:3], v4, v4, v5
	v_rcp_f32_e32 v13, v12
	v_div_scale_f32 v18, vcc, v5, v4, v5
	v_fma_f32 v19, -v12, v13, 1.0
	v_fmac_f32_e32 v13, v19, v13
	v_mul_f32_e32 v19, v18, v13
	v_fma_f32 v20, -v12, v19, v18
	v_fmac_f32_e32 v19, v20, v13
	v_fma_f32 v12, -v12, v19, v18
	v_div_fmas_f32 v12, v12, v13, v19
	v_div_fixup_f32 v13, v12, v4, v5
	v_fmac_f32_e32 v4, v5, v13
	v_div_scale_f32 v5, s[2:3], v4, v4, 1.0
	v_rcp_f32_e32 v12, v5
	v_fma_f32 v18, -v5, v12, 1.0
	v_fmac_f32_e32 v12, v18, v12
	v_div_scale_f32 v18, vcc, 1.0, v4, 1.0
	v_mul_f32_e32 v19, v18, v12
	v_fma_f32 v20, -v5, v19, v18
	v_fmac_f32_e32 v19, v20, v12
	v_fma_f32 v5, -v5, v19, v18
	v_div_fmas_f32 v5, v5, v12, v19
	v_div_fixup_f32 v4, v5, v4, 1.0
	v_fma_f32 v5, v3, v13, v2
	v_fma_f32 v2, -v2, v13, v3
	v_mul_f32_e32 v12, v5, v4
	v_mul_f32_e32 v13, v2, v4
.LBB172_53:                             ;   in Loop: Header=BB172_46 Depth=1
	v_mov_b32_e32 v2, s8
	ds_read2_b64 v[2:5], v2 offset0:1 offset1:33
	ds_write_b64 v17, v[12:13]
	s_waitcnt lgkmcnt(1)
	v_mul_f32_e32 v17, v13, v3
	v_mul_f32_e32 v3, v12, v3
	v_fma_f32 v17, v12, v2, -v17
	v_cmp_gt_f32_e32 vcc, 0, v5
	v_fmac_f32_e32 v3, v13, v2
	v_sub_f32_e32 v2, v10, v17
	v_cndmask_b32_e64 v10, v5, -v5, vcc
	v_cmp_gt_f32_e32 vcc, 0, v4
	v_sub_f32_e32 v3, v11, v3
	v_cndmask_b32_e64 v11, v4, -v4, vcc
	v_cmp_ngt_f32_e32 vcc, v11, v10
	s_cbranch_vccz .LBB172_55
; %bb.54:                               ;   in Loop: Header=BB172_46 Depth=1
	v_div_scale_f32 v10, s[2:3], v5, v5, v4
	v_rcp_f32_e32 v11, v10
	v_div_scale_f32 v17, vcc, v4, v5, v4
	v_fma_f32 v18, -v10, v11, 1.0
	v_fmac_f32_e32 v11, v18, v11
	v_mul_f32_e32 v18, v17, v11
	v_fma_f32 v19, -v10, v18, v17
	v_fmac_f32_e32 v18, v19, v11
	v_fma_f32 v10, -v10, v18, v17
	v_div_fmas_f32 v10, v10, v11, v18
	v_div_fixup_f32 v11, v10, v5, v4
	v_fma_f32 v10, v4, v11, v5
	v_div_scale_f32 v17, s[2:3], v10, v10, 1.0
	v_rcp_f32_e32 v18, v17
	v_fma_f32 v19, -v17, v18, 1.0
	v_fmac_f32_e32 v18, v19, v18
	v_div_scale_f32 v19, vcc, 1.0, v10, 1.0
	v_mul_f32_e32 v20, v19, v18
	v_fma_f32 v21, -v17, v20, v19
	v_fmac_f32_e32 v20, v21, v18
	v_fma_f32 v17, -v17, v20, v19
	v_div_fmas_f32 v17, v17, v18, v20
	v_div_fixup_f32 v17, v17, v10, 1.0
	v_fma_f32 v10, v11, v2, v3
	v_fma_f32 v11, v11, v3, -v2
	v_mul_f32_e32 v10, v10, v17
	v_mul_f32_e32 v11, v11, v17
	s_cbranch_execz .LBB172_56
	s_branch .LBB172_57
.LBB172_55:                             ;   in Loop: Header=BB172_46 Depth=1
                                        ; implicit-def: $vgpr11
.LBB172_56:                             ;   in Loop: Header=BB172_46 Depth=1
	v_div_scale_f32 v10, s[2:3], v4, v4, v5
	v_rcp_f32_e32 v11, v10
	v_div_scale_f32 v17, vcc, v5, v4, v5
	v_fma_f32 v18, -v10, v11, 1.0
	v_fmac_f32_e32 v11, v18, v11
	v_mul_f32_e32 v18, v17, v11
	v_fma_f32 v19, -v10, v18, v17
	v_fmac_f32_e32 v18, v19, v11
	v_fma_f32 v10, -v10, v18, v17
	v_div_fmas_f32 v10, v10, v11, v18
	v_div_fixup_f32 v11, v10, v4, v5
	v_fmac_f32_e32 v4, v5, v11
	v_div_scale_f32 v5, s[2:3], v4, v4, 1.0
	v_rcp_f32_e32 v10, v5
	v_fma_f32 v17, -v5, v10, 1.0
	v_fmac_f32_e32 v10, v17, v10
	v_div_scale_f32 v17, vcc, 1.0, v4, 1.0
	v_mul_f32_e32 v18, v17, v10
	v_fma_f32 v19, -v5, v18, v17
	v_fmac_f32_e32 v18, v19, v10
	v_fma_f32 v5, -v5, v18, v17
	v_div_fmas_f32 v5, v5, v10, v18
	v_div_fixup_f32 v4, v5, v4, 1.0
	v_fma_f32 v5, v11, v3, v2
	v_fma_f32 v2, -v11, v2, v3
	v_mul_f32_e32 v10, v5, v4
	v_mul_f32_e32 v11, v2, v4
.LBB172_57:                             ;   in Loop: Header=BB172_46 Depth=1
	v_mov_b32_e32 v2, s8
	ds_read2_b64 v[2:5], v2 offset0:2 offset1:66
	s_add_i32 s7, s7, s5
	s_lshl_b32 s7, s7, 3
	ds_write_b64 v16, v[10:11]
	v_mov_b32_e32 v16, s7
	s_waitcnt lgkmcnt(1)
	v_mul_f32_e32 v17, v13, v3
	v_fma_f32 v18, v12, v2, -v17
	ds_read_b64 v[16:17], v16 offset:16
	v_mul_f32_e32 v3, v12, v3
	v_fmac_f32_e32 v3, v13, v2
	v_sub_f32_e32 v2, v8, v18
	v_sub_f32_e32 v3, v9, v3
	s_waitcnt lgkmcnt(0)
	v_mul_f32_e32 v8, v11, v17
	v_fma_f32 v8, v10, v16, -v8
	v_mul_f32_e32 v9, v10, v17
	v_cmp_gt_f32_e32 vcc, 0, v5
	v_fmac_f32_e32 v9, v11, v16
	v_sub_f32_e32 v2, v2, v8
	v_cndmask_b32_e64 v8, v5, -v5, vcc
	v_cmp_gt_f32_e32 vcc, 0, v4
	v_sub_f32_e32 v3, v3, v9
	v_cndmask_b32_e64 v9, v4, -v4, vcc
	v_cmp_ngt_f32_e32 vcc, v9, v8
	s_cbranch_vccz .LBB172_59
; %bb.58:                               ;   in Loop: Header=BB172_46 Depth=1
	v_div_scale_f32 v8, s[2:3], v5, v5, v4
	v_rcp_f32_e32 v9, v8
	v_div_scale_f32 v16, vcc, v4, v5, v4
	v_fma_f32 v17, -v8, v9, 1.0
	v_fmac_f32_e32 v9, v17, v9
	v_mul_f32_e32 v17, v16, v9
	v_fma_f32 v18, -v8, v17, v16
	v_fmac_f32_e32 v17, v18, v9
	v_fma_f32 v8, -v8, v17, v16
	v_div_fmas_f32 v8, v8, v9, v17
	v_div_fixup_f32 v9, v8, v5, v4
	v_fma_f32 v8, v4, v9, v5
	v_div_scale_f32 v16, s[2:3], v8, v8, 1.0
	v_rcp_f32_e32 v17, v16
	v_fma_f32 v18, -v16, v17, 1.0
	v_fmac_f32_e32 v17, v18, v17
	v_div_scale_f32 v18, vcc, 1.0, v8, 1.0
	v_mul_f32_e32 v19, v18, v17
	v_fma_f32 v20, -v16, v19, v18
	v_fmac_f32_e32 v19, v20, v17
	v_fma_f32 v16, -v16, v19, v18
	v_div_fmas_f32 v16, v16, v17, v19
	v_div_fixup_f32 v16, v16, v8, 1.0
	v_fma_f32 v8, v9, v2, v3
	v_fma_f32 v9, v9, v3, -v2
	v_mul_f32_e32 v8, v8, v16
	v_mul_f32_e32 v9, v9, v16
	s_cbranch_execz .LBB172_60
	s_branch .LBB172_61
.LBB172_59:                             ;   in Loop: Header=BB172_46 Depth=1
                                        ; implicit-def: $vgpr9
.LBB172_60:                             ;   in Loop: Header=BB172_46 Depth=1
	v_div_scale_f32 v8, s[2:3], v4, v4, v5
	v_rcp_f32_e32 v9, v8
	v_div_scale_f32 v16, vcc, v5, v4, v5
	v_fma_f32 v17, -v8, v9, 1.0
	v_fmac_f32_e32 v9, v17, v9
	v_mul_f32_e32 v17, v16, v9
	v_fma_f32 v18, -v8, v17, v16
	v_fmac_f32_e32 v17, v18, v9
	v_fma_f32 v8, -v8, v17, v16
	v_div_fmas_f32 v8, v8, v9, v17
	v_div_fixup_f32 v9, v8, v4, v5
	v_fmac_f32_e32 v4, v5, v9
	v_div_scale_f32 v5, s[2:3], v4, v4, 1.0
	v_rcp_f32_e32 v8, v5
	v_fma_f32 v16, -v5, v8, 1.0
	v_fmac_f32_e32 v8, v16, v8
	v_div_scale_f32 v16, vcc, 1.0, v4, 1.0
	v_mul_f32_e32 v17, v16, v8
	v_fma_f32 v18, -v5, v17, v16
	v_fmac_f32_e32 v17, v18, v8
	v_fma_f32 v5, -v5, v17, v16
	v_div_fmas_f32 v5, v5, v8, v17
	v_div_fixup_f32 v4, v5, v4, 1.0
	v_fma_f32 v5, v9, v3, v2
	v_fma_f32 v2, -v9, v2, v3
	v_mul_f32_e32 v8, v5, v4
	v_mul_f32_e32 v9, v2, v4
.LBB172_61:                             ;   in Loop: Header=BB172_46 Depth=1
	v_mov_b32_e32 v2, s8
	ds_read2_b64 v[2:5], v2 offset0:3 offset1:99
	ds_write_b64 v15, v[8:9]
	s_add_i32 s6, s6, s5
	s_lshl_b32 s2, s6, 3
	s_waitcnt lgkmcnt(1)
	v_mul_f32_e32 v15, v13, v3
	v_mul_f32_e32 v3, v12, v3
	v_fma_f32 v12, v12, v2, -v15
	v_fmac_f32_e32 v3, v13, v2
	v_mov_b32_e32 v2, s7
	v_sub_f32_e32 v12, v6, v12
	v_sub_f32_e32 v13, v7, v3
	ds_read_b64 v[2:3], v2 offset:24
	v_mov_b32_e32 v6, s2
	ds_read_b64 v[6:7], v6 offset:24
	v_cmp_gt_f32_e32 vcc, 0, v5
	s_waitcnt lgkmcnt(1)
	v_mul_f32_e32 v15, v11, v3
	v_fma_f32 v15, v10, v2, -v15
	v_mul_f32_e32 v3, v10, v3
	s_waitcnt lgkmcnt(0)
	v_mul_f32_e32 v10, v9, v7
	v_fmac_f32_e32 v3, v11, v2
	v_sub_f32_e32 v2, v12, v15
	v_fma_f32 v10, v8, v6, -v10
	v_mul_f32_e32 v7, v8, v7
	v_sub_f32_e32 v3, v13, v3
	v_fmac_f32_e32 v7, v9, v6
	v_sub_f32_e32 v6, v2, v10
	v_cndmask_b32_e64 v2, v5, -v5, vcc
	v_cmp_gt_f32_e32 vcc, 0, v4
	v_sub_f32_e32 v7, v3, v7
	v_cndmask_b32_e64 v3, v4, -v4, vcc
	v_cmp_ngt_f32_e32 vcc, v3, v2
	s_cbranch_vccz .LBB172_63
; %bb.62:                               ;   in Loop: Header=BB172_46 Depth=1
	v_div_scale_f32 v2, s[2:3], v5, v5, v4
	v_rcp_f32_e32 v3, v2
	v_div_scale_f32 v8, vcc, v4, v5, v4
	v_fma_f32 v9, -v2, v3, 1.0
	v_fmac_f32_e32 v3, v9, v3
	v_mul_f32_e32 v9, v8, v3
	v_fma_f32 v10, -v2, v9, v8
	v_fmac_f32_e32 v9, v10, v3
	v_fma_f32 v2, -v2, v9, v8
	v_div_fmas_f32 v2, v2, v3, v9
	v_div_fixup_f32 v3, v2, v5, v4
	v_fma_f32 v2, v4, v3, v5
	v_div_scale_f32 v8, s[2:3], v2, v2, 1.0
	v_rcp_f32_e32 v9, v8
	v_fma_f32 v10, -v8, v9, 1.0
	v_fmac_f32_e32 v9, v10, v9
	v_div_scale_f32 v10, vcc, 1.0, v2, 1.0
	v_mul_f32_e32 v11, v10, v9
	v_fma_f32 v12, -v8, v11, v10
	v_fmac_f32_e32 v11, v12, v9
	v_fma_f32 v8, -v8, v11, v10
	v_div_fmas_f32 v8, v8, v9, v11
	v_div_fixup_f32 v8, v8, v2, 1.0
	v_fma_f32 v2, v3, v6, v7
	v_fma_f32 v3, v3, v7, -v6
	v_mul_f32_e32 v2, v2, v8
	v_mul_f32_e32 v3, v3, v8
	s_cbranch_execz .LBB172_64
	s_branch .LBB172_65
.LBB172_63:                             ;   in Loop: Header=BB172_46 Depth=1
                                        ; implicit-def: $vgpr3
.LBB172_64:                             ;   in Loop: Header=BB172_46 Depth=1
	v_div_scale_f32 v2, s[2:3], v4, v4, v5
	v_rcp_f32_e32 v3, v2
	v_div_scale_f32 v8, vcc, v5, v4, v5
	v_fma_f32 v9, -v2, v3, 1.0
	v_fmac_f32_e32 v3, v9, v3
	v_mul_f32_e32 v9, v8, v3
	v_fma_f32 v10, -v2, v9, v8
	v_fmac_f32_e32 v9, v10, v3
	v_fma_f32 v2, -v2, v9, v8
	v_div_fmas_f32 v2, v2, v3, v9
	v_div_fixup_f32 v3, v2, v4, v5
	v_fmac_f32_e32 v4, v5, v3
	v_div_scale_f32 v2, s[2:3], v4, v4, 1.0
	v_rcp_f32_e32 v5, v2
	v_fma_f32 v8, -v2, v5, 1.0
	v_fmac_f32_e32 v5, v8, v5
	v_div_scale_f32 v8, vcc, 1.0, v4, 1.0
	v_mul_f32_e32 v9, v8, v5
	v_fma_f32 v10, -v2, v9, v8
	v_fmac_f32_e32 v9, v10, v5
	v_fma_f32 v2, -v2, v9, v8
	v_div_fmas_f32 v2, v2, v5, v9
	v_div_fixup_f32 v4, v2, v4, 1.0
	v_fma_f32 v2, v3, v7, v6
	v_fma_f32 v3, -v3, v6, v7
	v_mul_f32_e32 v2, v2, v4
	v_mul_f32_e32 v3, v3, v4
.LBB172_65:                             ;   in Loop: Header=BB172_46 Depth=1
	s_add_i32 s6, s5, 4
	s_add_i32 s2, s5, 7
	;; [unrolled: 1-line block ×3, first 2 shown]
	s_cmp_ge_i32 s2, s33
	ds_write_b64 v14, v[2:3]
	s_cbranch_scc1 .LBB172_67
; %bb.66:                               ;   in Loop: Header=BB172_46 Depth=1
	s_mov_b32 s5, s6
	s_branch .LBB172_46
.LBB172_67:
	s_cmp_ge_i32 s6, s33
	s_cbranch_scc1 .LBB172_82
; %bb.68:
	v_mov_b32_e32 v1, 0x2000
	s_add_i32 s4, s6, -1
	v_lshl_or_b32 v1, v0, 3, v1
	s_lshl_b32 s5, s6, 3
	s_mov_b32 s7, 0
	v_lshlrev_b32_e32 v8, 3, v0
	s_mov_b32 s8, s6
	s_branch .LBB172_70
.LBB172_69:                             ;   in Loop: Header=BB172_70 Depth=1
	s_add_i32 s6, s6, 1
	s_add_i32 s7, s7, 1
	;; [unrolled: 1-line block ×3, first 2 shown]
	v_add_u16_e64 v2, s8, 1
	s_cmp_ge_i32 s6, s33
	v_readfirstlane_b32 s8, v2
	ds_write_b64 v9, v[6:7]
	s_cbranch_scc1 .LBB172_82
.LBB172_70:                             ; =>This Loop Header: Depth=1
                                        ;     Child Loop BB172_73 Depth 2
                                        ;     Child Loop BB172_77 Depth 2
	v_lshl_or_b32 v4, s6, 8, v8
	ds_read_b64 v[2:3], v4 offset:8192
	s_cmp_eq_u32 s6, 0
	s_cbranch_scc1 .LBB172_78
; %bb.71:                               ;   in Loop: Header=BB172_70 Depth=1
	s_add_i32 s2, s4, s7
	s_cmp_lt_u32 s2, 7
	s_cbranch_scc1 .LBB172_75
; %bb.72:                               ;   in Loop: Header=BB172_70 Depth=1
	s_and_b32 s2, s6, -8
	s_mov_b32 s3, 0
	s_mov_b32 s9, s5
	v_mov_b32_e32 v5, v1
.LBB172_73:                             ;   Parent Loop BB172_70 Depth=1
                                        ; =>  This Inner Loop Header: Depth=2
	ds_read2_b64 v[10:13], v5 offset1:32
	v_mov_b32_e32 v6, s9
	ds_read2_b64 v[14:17], v5 offset0:64 offset1:96
	ds_read2_b64 v[18:21], v5 offset0:128 offset1:160
	;; [unrolled: 1-line block ×3, first 2 shown]
	ds_read2_b64 v[26:29], v6 offset1:32
	ds_read2_b64 v[30:33], v6 offset0:64 offset1:96
	ds_read2_b64 v[34:37], v6 offset0:128 offset1:160
	;; [unrolled: 1-line block ×3, first 2 shown]
	s_add_i32 s3, s3, 8
	s_waitcnt lgkmcnt(3)
	v_pk_mul_f32 v[6:7], v[26:27], v[10:11] op_sel:[0,1]
	v_pk_mul_f32 v[42:43], v[28:29], v[12:13] op_sel:[0,1]
	v_pk_fma_f32 v[56:57], v[26:27], v[10:11], v[6:7] op_sel:[0,0,1] op_sel_hi:[1,0,0]
	v_pk_fma_f32 v[6:7], v[26:27], v[10:11], v[6:7] op_sel:[0,0,1] op_sel_hi:[1,0,0] neg_lo:[0,0,1] neg_hi:[0,0,1]
	s_waitcnt lgkmcnt(2)
	v_pk_mul_f32 v[44:45], v[30:31], v[14:15] op_sel:[0,1]
	v_pk_fma_f32 v[10:11], v[28:29], v[12:13], v[42:43] op_sel:[0,0,1] op_sel_hi:[1,0,0]
	v_pk_fma_f32 v[12:13], v[28:29], v[12:13], v[42:43] op_sel:[0,0,1] op_sel_hi:[1,0,0] neg_lo:[0,0,1] neg_hi:[0,0,1]
	v_mov_b32_e32 v7, v57
	v_pk_mul_f32 v[46:47], v[32:33], v[16:17] op_sel:[0,1]
	v_pk_fma_f32 v[26:27], v[30:31], v[14:15], v[44:45] op_sel:[0,0,1] op_sel_hi:[1,0,0]
	v_pk_fma_f32 v[14:15], v[30:31], v[14:15], v[44:45] op_sel:[0,0,1] op_sel_hi:[1,0,0] neg_lo:[0,0,1] neg_hi:[0,0,1]
	v_mov_b32_e32 v13, v11
	v_pk_add_f32 v[2:3], v[2:3], v[6:7] neg_lo:[0,1] neg_hi:[0,1]
	s_waitcnt lgkmcnt(1)
	v_pk_mul_f32 v[48:49], v[34:35], v[18:19] op_sel:[0,1]
	v_pk_fma_f32 v[28:29], v[32:33], v[16:17], v[46:47] op_sel:[0,0,1] op_sel_hi:[1,0,0]
	v_pk_fma_f32 v[16:17], v[32:33], v[16:17], v[46:47] op_sel:[0,0,1] op_sel_hi:[1,0,0] neg_lo:[0,0,1] neg_hi:[0,0,1]
	v_mov_b32_e32 v15, v27
	v_pk_add_f32 v[2:3], v[2:3], v[12:13] neg_lo:[0,1] neg_hi:[0,1]
	v_pk_mul_f32 v[50:51], v[36:37], v[20:21] op_sel:[0,1]
	v_pk_fma_f32 v[30:31], v[34:35], v[18:19], v[48:49] op_sel:[0,0,1] op_sel_hi:[1,0,0]
	v_pk_fma_f32 v[18:19], v[34:35], v[18:19], v[48:49] op_sel:[0,0,1] op_sel_hi:[1,0,0] neg_lo:[0,0,1] neg_hi:[0,0,1]
	v_mov_b32_e32 v17, v29
	v_pk_add_f32 v[2:3], v[2:3], v[14:15] neg_lo:[0,1] neg_hi:[0,1]
	s_waitcnt lgkmcnt(0)
	v_pk_mul_f32 v[52:53], v[38:39], v[22:23] op_sel:[0,1]
	v_pk_fma_f32 v[32:33], v[36:37], v[20:21], v[50:51] op_sel:[0,0,1] op_sel_hi:[1,0,0]
	v_pk_fma_f32 v[20:21], v[36:37], v[20:21], v[50:51] op_sel:[0,0,1] op_sel_hi:[1,0,0] neg_lo:[0,0,1] neg_hi:[0,0,1]
	v_mov_b32_e32 v19, v31
	v_pk_add_f32 v[2:3], v[2:3], v[16:17] neg_lo:[0,1] neg_hi:[0,1]
	v_pk_mul_f32 v[54:55], v[40:41], v[24:25] op_sel:[0,1]
	v_pk_fma_f32 v[34:35], v[38:39], v[22:23], v[52:53] op_sel:[0,0,1] op_sel_hi:[1,0,0]
	v_pk_fma_f32 v[22:23], v[38:39], v[22:23], v[52:53] op_sel:[0,0,1] op_sel_hi:[1,0,0] neg_lo:[0,0,1] neg_hi:[0,0,1]
	v_mov_b32_e32 v21, v33
	v_pk_add_f32 v[2:3], v[2:3], v[18:19] neg_lo:[0,1] neg_hi:[0,1]
	v_pk_fma_f32 v[36:37], v[40:41], v[24:25], v[54:55] op_sel:[0,0,1] op_sel_hi:[1,0,0]
	v_pk_fma_f32 v[24:25], v[40:41], v[24:25], v[54:55] op_sel:[0,0,1] op_sel_hi:[1,0,0] neg_lo:[0,0,1] neg_hi:[0,0,1]
	v_mov_b32_e32 v23, v35
	v_pk_add_f32 v[2:3], v[2:3], v[20:21] neg_lo:[0,1] neg_hi:[0,1]
	s_addk_i32 s9, 0x800
	v_mov_b32_e32 v25, v37
	v_pk_add_f32 v[2:3], v[2:3], v[22:23] neg_lo:[0,1] neg_hi:[0,1]
	v_add_u32_e32 v5, 0x800, v5
	s_cmp_eq_u32 s2, s3
	v_pk_add_f32 v[2:3], v[2:3], v[24:25] neg_lo:[0,1] neg_hi:[0,1]
	s_cbranch_scc0 .LBB172_73
; %bb.74:                               ;   in Loop: Header=BB172_70 Depth=1
	s_and_b32 s3, s6, 7
	s_cmp_eq_u32 s3, 0
	s_cbranch_scc0 .LBB172_76
	s_branch .LBB172_78
.LBB172_75:                             ;   in Loop: Header=BB172_70 Depth=1
	s_mov_b32 s2, 0
	s_and_b32 s3, s6, 7
	s_cmp_eq_u32 s3, 0
	s_cbranch_scc1 .LBB172_78
.LBB172_76:                             ;   in Loop: Header=BB172_70 Depth=1
	s_and_b32 s3, s8, 7
	s_lshl_b32 s2, s2, 8
.LBB172_77:                             ;   Parent Loop BB172_70 Depth=1
                                        ; =>  This Inner Loop Header: Depth=2
	v_add_u32_e32 v5, s2, v1
	s_add_i32 s9, s5, s2
	ds_read_b64 v[6:7], v5
	v_mov_b32_e32 v5, s9
	ds_read_b64 v[10:11], v5
	s_addk_i32 s2, 0x100
	s_add_i32 s3, s3, -1
	s_cmp_lg_u32 s3, 0
	s_waitcnt lgkmcnt(0)
	v_pk_mul_f32 v[12:13], v[10:11], v[6:7] op_sel:[0,1]
	v_pk_fma_f32 v[14:15], v[10:11], v[6:7], v[12:13] op_sel:[0,0,1] op_sel_hi:[1,0,0]
	v_pk_fma_f32 v[6:7], v[10:11], v[6:7], v[12:13] op_sel:[0,0,1] op_sel_hi:[1,0,0] neg_lo:[0,0,1] neg_hi:[0,0,1]
	v_mov_b32_e32 v7, v15
	v_pk_add_f32 v[2:3], v[2:3], v[6:7] neg_lo:[0,1] neg_hi:[0,1]
	s_cbranch_scc1 .LBB172_77
.LBB172_78:                             ;   in Loop: Header=BB172_70 Depth=1
	s_mul_i32 s2, s6, 0x108
	v_add_u32_e32 v9, 0x2000, v4
	v_mov_b32_e32 v4, s2
	ds_read_b64 v[4:5], v4
	s_waitcnt lgkmcnt(0)
	v_cmp_gt_f32_e32 vcc, 0, v5
	v_cndmask_b32_e64 v6, v5, -v5, vcc
	v_cmp_gt_f32_e32 vcc, 0, v4
	v_cndmask_b32_e64 v7, v4, -v4, vcc
	v_cmp_ngt_f32_e32 vcc, v7, v6
	s_cbranch_vccz .LBB172_80
; %bb.79:                               ;   in Loop: Header=BB172_70 Depth=1
	v_div_scale_f32 v6, s[2:3], v5, v5, v4
	v_rcp_f32_e32 v7, v6
	v_div_scale_f32 v10, vcc, v4, v5, v4
	v_fma_f32 v11, -v6, v7, 1.0
	v_fmac_f32_e32 v7, v11, v7
	v_mul_f32_e32 v11, v10, v7
	v_fma_f32 v12, -v6, v11, v10
	v_fmac_f32_e32 v11, v12, v7
	v_fma_f32 v6, -v6, v11, v10
	v_div_fmas_f32 v6, v6, v7, v11
	v_div_fixup_f32 v6, v6, v5, v4
	v_fma_f32 v7, v4, v6, v5
	v_div_scale_f32 v10, s[2:3], v7, v7, 1.0
	v_rcp_f32_e32 v11, v10
	v_fma_f32 v12, -v10, v11, 1.0
	v_fmac_f32_e32 v11, v12, v11
	v_div_scale_f32 v12, vcc, 1.0, v7, 1.0
	v_mul_f32_e32 v13, v12, v11
	v_fma_f32 v14, -v10, v13, v12
	v_fmac_f32_e32 v13, v14, v11
	v_fma_f32 v10, -v10, v13, v12
	v_div_fmas_f32 v10, v10, v11, v13
	v_div_fixup_f32 v10, v10, v7, 1.0
	v_pk_fma_f32 v[12:13], v[2:3], v[6:7], v[2:3] op_sel:[0,0,1] op_sel_hi:[1,0,0] neg_lo:[0,0,1] neg_hi:[0,0,1]
	v_pk_fma_f32 v[6:7], v[2:3], v[6:7], v[2:3] op_sel:[0,0,1] op_sel_hi:[1,0,0]
	v_mov_b32_e32 v7, v13
	v_pk_mul_f32 v[6:7], v[6:7], v[10:11] op_sel_hi:[1,0]
	s_cbranch_execnz .LBB172_69
	s_branch .LBB172_81
.LBB172_80:                             ;   in Loop: Header=BB172_70 Depth=1
                                        ; implicit-def: $vgpr6_vgpr7
.LBB172_81:                             ;   in Loop: Header=BB172_70 Depth=1
	v_div_scale_f32 v6, s[2:3], v4, v4, v5
	v_rcp_f32_e32 v7, v6
	v_div_scale_f32 v10, vcc, v5, v4, v5
	v_fma_f32 v11, -v6, v7, 1.0
	v_fmac_f32_e32 v7, v11, v7
	v_mul_f32_e32 v11, v10, v7
	v_fma_f32 v12, -v6, v11, v10
	v_fmac_f32_e32 v11, v12, v7
	v_fma_f32 v6, -v6, v11, v10
	v_div_fmas_f32 v6, v6, v7, v11
	v_div_fixup_f32 v6, v6, v4, v5
	v_fmac_f32_e32 v4, v5, v6
	v_div_scale_f32 v5, s[2:3], v4, v4, 1.0
	v_rcp_f32_e32 v7, v5
	v_fma_f32 v10, -v5, v7, 1.0
	v_fmac_f32_e32 v7, v10, v7
	v_div_scale_f32 v10, vcc, 1.0, v4, 1.0
	v_mul_f32_e32 v11, v10, v7
	v_fma_f32 v12, -v5, v11, v10
	v_fmac_f32_e32 v11, v12, v7
	v_fma_f32 v5, -v5, v11, v10
	v_div_fmas_f32 v5, v5, v7, v11
	v_pk_mul_f32 v[6:7], v[2:3], v[6:7] op_sel_hi:[1,0]
	v_pk_add_f32 v[10:11], v[2:3], v[6:7] op_sel:[0,1] op_sel_hi:[1,0] neg_lo:[0,1] neg_hi:[0,1]
	v_pk_add_f32 v[2:3], v[2:3], v[6:7] op_sel:[0,1] op_sel_hi:[1,0]
	v_div_fixup_f32 v4, v5, v4, 1.0
	v_mov_b32_e32 v3, v11
	v_pk_mul_f32 v[6:7], v[2:3], v[4:5] op_sel_hi:[1,0]
	s_branch .LBB172_69
.LBB172_82:
	s_mov_b64 s[2:3], 0
.LBB172_83:
	s_and_b64 vcc, exec, s[2:3]
	s_cbranch_vccz .LBB172_115
; %bb.84:
	s_andn2_b64 vcc, exec, s[0:1]
	s_mov_b32 s6, s50
	s_cbranch_vccnz .LBB172_106
; %bb.85:
	v_lshlrev_b32_e32 v1, 3, v0
	v_lshl_or_b32 v2, s33, 8, v1
	s_mul_i32 s2, s33, 0x108
	v_add_u32_e32 v14, 0x1e00, v2
	s_add_i32 s4, s2, 0xfffffde0
	s_mov_b32 s5, s50
.LBB172_86:                             ; =>This Loop Header: Depth=1
                                        ;     Child Loop BB172_87 Depth 2
	s_lshl_b32 s9, s5, 5
	s_add_i32 s11, s5, -1
	v_or_b32_e32 v2, s9, v0
	s_lshl_b32 s7, s11, 5
	s_add_i32 s10, s5, -2
	v_lshlrev_b32_e32 v6, 3, v2
	v_or_b32_e32 v2, s7, v0
	s_lshl_b32 s6, s10, 5
	v_lshlrev_b32_e32 v7, 3, v2
	v_or_b32_e32 v2, s6, v0
	s_add_i32 s8, s5, -3
	v_lshlrev_b32_e32 v12, 3, v2
	v_lshl_or_b32 v13, s8, 8, v1
	ds_read_b64 v[10:11], v6 offset:8192
	ds_read_b64 v[8:9], v7 offset:8192
	;; [unrolled: 1-line block ×4, first 2 shown]
	s_cmp_le_i32 s50, s5
	s_mov_b32 s2, s4
	v_mov_b32_e32 v15, v14
	s_mov_b32 s3, s50
	s_cbranch_scc1 .LBB172_88
.LBB172_87:                             ;   Parent Loop BB172_86 Depth=1
                                        ; =>  This Inner Loop Header: Depth=2
	ds_read2_b64 v[16:19], v15 offset1:32
	v_mov_b32_e32 v32, s2
	ds_read2_b64 v[20:23], v32 offset0:34 offset1:35
	ds_read2_b64 v[24:27], v32 offset0:32 offset1:33
	;; [unrolled: 1-line block ×3, first 2 shown]
	ds_read2_b64 v[32:35], v32 offset1:1
	s_add_i32 s3, s3, -2
	s_addk_i32 s2, 0xfe00
	s_waitcnt lgkmcnt(3)
	v_mul_f32_e32 v36, v23, v19
	v_mul_f32_e32 v37, v22, v19
	v_mul_f32_e32 v38, v21, v19
	v_mul_f32_e32 v21, v21, v18
	s_waitcnt lgkmcnt(2)
	v_mul_f32_e32 v39, v27, v19
	v_mul_f32_e32 v27, v27, v18
	v_mul_f32_e32 v40, v25, v19
	v_mul_f32_e32 v25, v25, v18
	;; [unrolled: 5-line block ×4, first 2 shown]
	v_fma_f32 v22, v22, v18, -v36
	v_fmac_f32_e32 v37, v23, v18
	v_fma_f32 v23, v20, v18, -v38
	v_fmac_f32_e32 v21, v20, v19
	;; [unrolled: 2-line block ×8, first 2 shown]
	v_sub_f32_e32 v10, v10, v22
	v_sub_f32_e32 v11, v11, v37
	;; [unrolled: 1-line block ×8, first 2 shown]
	v_add_u32_e32 v15, 0xfffffe00, v15
	s_cmp_le_i32 s3, s5
	v_sub_f32_e32 v10, v10, v19
	v_sub_f32_e32 v11, v11, v42
	;; [unrolled: 1-line block ×8, first 2 shown]
	s_cbranch_scc0 .LBB172_87
.LBB172_88:                             ;   in Loop: Header=BB172_86 Depth=1
	s_mul_i32 s12, s5, 0x108
	v_add_u32_e32 v18, 0x2000, v6
	v_mov_b32_e32 v6, s12
	v_add_u32_e32 v16, 0x2000, v12
	v_add_u32_e32 v15, 0x2000, v13
	ds_read_b64 v[12:13], v6
	v_add_u32_e32 v17, 0x2000, v7
	s_waitcnt lgkmcnt(0)
	v_cmp_gt_f32_e32 vcc, 0, v13
	v_cndmask_b32_e64 v6, v13, -v13, vcc
	v_cmp_gt_f32_e32 vcc, 0, v12
	v_cndmask_b32_e64 v7, v12, -v12, vcc
	v_cmp_ngt_f32_e32 vcc, v7, v6
	s_cbranch_vccz .LBB172_90
; %bb.89:                               ;   in Loop: Header=BB172_86 Depth=1
	v_div_scale_f32 v6, s[2:3], v13, v13, v12
	v_rcp_f32_e32 v7, v6
	v_div_scale_f32 v19, vcc, v12, v13, v12
	v_fma_f32 v20, -v6, v7, 1.0
	v_fmac_f32_e32 v7, v20, v7
	v_mul_f32_e32 v20, v19, v7
	v_fma_f32 v21, -v6, v20, v19
	v_fmac_f32_e32 v20, v21, v7
	v_fma_f32 v6, -v6, v20, v19
	v_div_fmas_f32 v6, v6, v7, v20
	v_div_fixup_f32 v7, v6, v13, v12
	v_fma_f32 v6, v12, v7, v13
	v_div_scale_f32 v19, s[2:3], v6, v6, 1.0
	v_rcp_f32_e32 v20, v19
	v_fma_f32 v21, -v19, v20, 1.0
	v_fmac_f32_e32 v20, v21, v20
	v_div_scale_f32 v21, vcc, 1.0, v6, 1.0
	v_mul_f32_e32 v22, v21, v20
	v_fma_f32 v23, -v19, v22, v21
	v_fmac_f32_e32 v22, v23, v20
	v_fma_f32 v19, -v19, v22, v21
	v_div_fmas_f32 v19, v19, v20, v22
	v_div_fixup_f32 v19, v19, v6, 1.0
	v_fma_f32 v6, v10, v7, v11
	v_fma_f32 v7, v11, v7, -v10
	v_mul_f32_e32 v6, v6, v19
	v_mul_f32_e32 v7, v7, v19
	s_cbranch_execz .LBB172_91
	s_branch .LBB172_92
.LBB172_90:                             ;   in Loop: Header=BB172_86 Depth=1
                                        ; implicit-def: $vgpr7
.LBB172_91:                             ;   in Loop: Header=BB172_86 Depth=1
	v_div_scale_f32 v6, s[2:3], v12, v12, v13
	v_rcp_f32_e32 v7, v6
	v_div_scale_f32 v19, vcc, v13, v12, v13
	v_fma_f32 v20, -v6, v7, 1.0
	v_fmac_f32_e32 v7, v20, v7
	v_mul_f32_e32 v20, v19, v7
	v_fma_f32 v21, -v6, v20, v19
	v_fmac_f32_e32 v20, v21, v7
	v_fma_f32 v6, -v6, v20, v19
	v_div_fmas_f32 v6, v6, v7, v20
	v_div_fixup_f32 v7, v6, v12, v13
	v_fmac_f32_e32 v12, v13, v7
	v_div_scale_f32 v6, s[2:3], v12, v12, 1.0
	v_rcp_f32_e32 v13, v6
	v_fma_f32 v19, -v6, v13, 1.0
	v_fmac_f32_e32 v13, v19, v13
	v_div_scale_f32 v19, vcc, 1.0, v12, 1.0
	v_mul_f32_e32 v20, v19, v13
	v_fma_f32 v21, -v6, v20, v19
	v_fmac_f32_e32 v20, v21, v13
	v_fma_f32 v6, -v6, v20, v19
	v_div_fmas_f32 v6, v6, v13, v20
	v_div_fixup_f32 v12, v6, v12, 1.0
	v_fma_f32 v6, v11, v7, v10
	v_fma_f32 v7, -v10, v7, v11
	v_mul_f32_e32 v6, v6, v12
	v_mul_f32_e32 v7, v7, v12
.LBB172_92:                             ;   in Loop: Header=BB172_86 Depth=1
	s_add_i32 s2, s9, s11
	s_lshl_b32 s2, s2, 3
	v_mov_b32_e32 v10, s2
	s_add_i32 s11, s12, 0xfffffef8
	ds_read_b64 v[12:13], v10
	v_mov_b32_e32 v10, s11
	ds_read_b64 v[10:11], v10
	ds_write_b64 v18, v[6:7]
	s_waitcnt lgkmcnt(2)
	v_mul_f32_e32 v18, v7, v13
	v_fma_f32 v18, v6, v12, -v18
	v_mul_f32_e32 v13, v6, v13
	s_waitcnt lgkmcnt(1)
	v_cmp_gt_f32_e32 vcc, 0, v11
	v_fmac_f32_e32 v13, v7, v12
	v_sub_f32_e32 v12, v8, v18
	v_cndmask_b32_e64 v8, v11, -v11, vcc
	v_cmp_gt_f32_e32 vcc, 0, v10
	v_sub_f32_e32 v13, v9, v13
	v_cndmask_b32_e64 v9, v10, -v10, vcc
	v_cmp_ngt_f32_e32 vcc, v9, v8
	s_cbranch_vccz .LBB172_94
; %bb.93:                               ;   in Loop: Header=BB172_86 Depth=1
	v_div_scale_f32 v8, s[2:3], v11, v11, v10
	v_rcp_f32_e32 v9, v8
	v_div_scale_f32 v18, vcc, v10, v11, v10
	v_fma_f32 v19, -v8, v9, 1.0
	v_fmac_f32_e32 v9, v19, v9
	v_mul_f32_e32 v19, v18, v9
	v_fma_f32 v20, -v8, v19, v18
	v_fmac_f32_e32 v19, v20, v9
	v_fma_f32 v8, -v8, v19, v18
	v_div_fmas_f32 v8, v8, v9, v19
	v_div_fixup_f32 v9, v8, v11, v10
	v_fma_f32 v8, v10, v9, v11
	v_div_scale_f32 v18, s[2:3], v8, v8, 1.0
	v_rcp_f32_e32 v19, v18
	v_fma_f32 v20, -v18, v19, 1.0
	v_fmac_f32_e32 v19, v20, v19
	v_div_scale_f32 v20, vcc, 1.0, v8, 1.0
	v_mul_f32_e32 v21, v20, v19
	v_fma_f32 v22, -v18, v21, v20
	v_fmac_f32_e32 v21, v22, v19
	v_fma_f32 v18, -v18, v21, v20
	v_div_fmas_f32 v18, v18, v19, v21
	v_div_fixup_f32 v18, v18, v8, 1.0
	v_fma_f32 v8, v9, v12, v13
	v_fma_f32 v9, v9, v13, -v12
	v_mul_f32_e32 v8, v8, v18
	v_mul_f32_e32 v9, v9, v18
	s_cbranch_execz .LBB172_95
	s_branch .LBB172_96
.LBB172_94:                             ;   in Loop: Header=BB172_86 Depth=1
                                        ; implicit-def: $vgpr9
.LBB172_95:                             ;   in Loop: Header=BB172_86 Depth=1
	v_div_scale_f32 v8, s[2:3], v10, v10, v11
	v_rcp_f32_e32 v9, v8
	v_div_scale_f32 v18, vcc, v11, v10, v11
	v_fma_f32 v19, -v8, v9, 1.0
	v_fmac_f32_e32 v9, v19, v9
	v_mul_f32_e32 v19, v18, v9
	v_fma_f32 v20, -v8, v19, v18
	v_fmac_f32_e32 v19, v20, v9
	v_fma_f32 v8, -v8, v19, v18
	v_div_fmas_f32 v8, v8, v9, v19
	v_div_fixup_f32 v9, v8, v10, v11
	v_fmac_f32_e32 v10, v11, v9
	v_div_scale_f32 v8, s[2:3], v10, v10, 1.0
	v_rcp_f32_e32 v11, v8
	v_fma_f32 v18, -v8, v11, 1.0
	v_fmac_f32_e32 v11, v18, v11
	v_div_scale_f32 v18, vcc, 1.0, v10, 1.0
	v_mul_f32_e32 v19, v18, v11
	v_fma_f32 v20, -v8, v19, v18
	v_fmac_f32_e32 v19, v20, v11
	v_fma_f32 v8, -v8, v19, v18
	v_div_fmas_f32 v8, v8, v11, v19
	v_div_fixup_f32 v10, v8, v10, 1.0
	v_fma_f32 v8, v9, v13, v12
	v_fma_f32 v9, -v9, v12, v13
	v_mul_f32_e32 v8, v8, v10
	v_mul_f32_e32 v9, v9, v10
.LBB172_96:                             ;   in Loop: Header=BB172_86 Depth=1
	s_add_i32 s2, s9, s10
	s_lshl_b32 s2, s2, 3
	v_mov_b32_e32 v10, s2
	s_add_i32 s2, s7, s10
	s_lshl_b32 s2, s2, 3
	ds_read_b64 v[12:13], v10
	s_add_i32 s10, s11, 0xfffffef8
	ds_write_b64 v17, v[8:9]
	v_mov_b32_e32 v11, s2
	v_mov_b32_e32 v10, s10
	ds_read_b64 v[18:19], v11
	ds_read_b64 v[10:11], v10
	s_waitcnt lgkmcnt(3)
	v_mul_f32_e32 v17, v7, v13
	v_mul_f32_e32 v13, v6, v13
	v_fma_f32 v17, v6, v12, -v17
	v_fmac_f32_e32 v13, v7, v12
	s_waitcnt lgkmcnt(1)
	v_mul_f32_e32 v12, v9, v19
	v_sub_f32_e32 v4, v4, v17
	v_sub_f32_e32 v5, v5, v13
	v_fma_f32 v12, v8, v18, -v12
	v_mul_f32_e32 v13, v8, v19
	s_waitcnt lgkmcnt(0)
	v_cmp_gt_f32_e32 vcc, 0, v11
	v_fmac_f32_e32 v13, v9, v18
	v_sub_f32_e32 v4, v4, v12
	v_cndmask_b32_e64 v12, v11, -v11, vcc
	v_cmp_gt_f32_e32 vcc, 0, v10
	v_sub_f32_e32 v5, v5, v13
	v_cndmask_b32_e64 v13, v10, -v10, vcc
	v_cmp_ngt_f32_e32 vcc, v13, v12
	s_cbranch_vccz .LBB172_98
; %bb.97:                               ;   in Loop: Header=BB172_86 Depth=1
	v_div_scale_f32 v12, s[2:3], v11, v11, v10
	v_rcp_f32_e32 v13, v12
	v_div_scale_f32 v17, vcc, v10, v11, v10
	v_fma_f32 v18, -v12, v13, 1.0
	v_fmac_f32_e32 v13, v18, v13
	v_mul_f32_e32 v18, v17, v13
	v_fma_f32 v19, -v12, v18, v17
	v_fmac_f32_e32 v18, v19, v13
	v_fma_f32 v12, -v12, v18, v17
	v_div_fmas_f32 v12, v12, v13, v18
	v_div_fixup_f32 v13, v12, v11, v10
	v_fma_f32 v12, v10, v13, v11
	v_div_scale_f32 v17, s[2:3], v12, v12, 1.0
	v_rcp_f32_e32 v18, v17
	v_fma_f32 v19, -v17, v18, 1.0
	v_fmac_f32_e32 v18, v19, v18
	v_div_scale_f32 v19, vcc, 1.0, v12, 1.0
	v_mul_f32_e32 v20, v19, v18
	v_fma_f32 v21, -v17, v20, v19
	v_fmac_f32_e32 v20, v21, v18
	v_fma_f32 v17, -v17, v20, v19
	v_div_fmas_f32 v17, v17, v18, v20
	v_div_fixup_f32 v17, v17, v12, 1.0
	v_fma_f32 v12, v13, v4, v5
	v_fma_f32 v13, v13, v5, -v4
	v_mul_f32_e32 v12, v12, v17
	v_mul_f32_e32 v13, v13, v17
	s_cbranch_execz .LBB172_99
	s_branch .LBB172_100
.LBB172_98:                             ;   in Loop: Header=BB172_86 Depth=1
                                        ; implicit-def: $vgpr13
.LBB172_99:                             ;   in Loop: Header=BB172_86 Depth=1
	v_div_scale_f32 v12, s[2:3], v10, v10, v11
	v_rcp_f32_e32 v13, v12
	v_div_scale_f32 v17, vcc, v11, v10, v11
	v_fma_f32 v18, -v12, v13, 1.0
	v_fmac_f32_e32 v13, v18, v13
	v_mul_f32_e32 v18, v17, v13
	v_fma_f32 v19, -v12, v18, v17
	v_fmac_f32_e32 v18, v19, v13
	v_fma_f32 v12, -v12, v18, v17
	v_div_fmas_f32 v12, v12, v13, v18
	v_div_fixup_f32 v13, v12, v10, v11
	v_fmac_f32_e32 v10, v11, v13
	v_div_scale_f32 v11, s[2:3], v10, v10, 1.0
	v_rcp_f32_e32 v12, v11
	v_fma_f32 v17, -v11, v12, 1.0
	v_fmac_f32_e32 v12, v17, v12
	v_div_scale_f32 v17, vcc, 1.0, v10, 1.0
	v_mul_f32_e32 v18, v17, v12
	v_fma_f32 v19, -v11, v18, v17
	v_fmac_f32_e32 v18, v19, v12
	v_fma_f32 v11, -v11, v18, v17
	v_div_fmas_f32 v11, v11, v12, v18
	v_div_fixup_f32 v10, v11, v10, 1.0
	v_fma_f32 v11, v13, v5, v4
	v_fma_f32 v4, -v13, v4, v5
	v_mul_f32_e32 v12, v11, v10
	v_mul_f32_e32 v13, v4, v10
.LBB172_100:                            ;   in Loop: Header=BB172_86 Depth=1
	s_add_i32 s9, s9, s8
	s_lshl_b32 s2, s9, 3
	v_mov_b32_e32 v4, s2
	s_add_i32 s7, s7, s8
	ds_read_b64 v[10:11], v4
	s_lshl_b32 s2, s7, 3
	s_add_i32 s6, s6, s8
	v_mov_b32_e32 v5, s2
	s_lshl_b32 s2, s6, 3
	v_mov_b32_e32 v18, s2
	s_add_i32 s2, s10, 0xfffffef8
	ds_write_b64 v16, v[12:13]
	v_mov_b32_e32 v4, s2
	ds_read_b64 v[16:17], v5
	ds_read_b64 v[18:19], v18
	;; [unrolled: 1-line block ×3, first 2 shown]
	s_waitcnt lgkmcnt(4)
	v_mul_f32_e32 v20, v7, v11
	v_fma_f32 v20, v6, v10, -v20
	v_mul_f32_e32 v6, v6, v11
	v_fmac_f32_e32 v6, v7, v10
	v_sub_f32_e32 v3, v3, v6
	s_waitcnt lgkmcnt(2)
	v_mul_f32_e32 v6, v9, v17
	v_sub_f32_e32 v2, v2, v20
	v_fma_f32 v6, v8, v16, -v6
	v_mul_f32_e32 v7, v8, v17
	v_fmac_f32_e32 v7, v9, v16
	v_sub_f32_e32 v2, v2, v6
	s_waitcnt lgkmcnt(1)
	v_mul_f32_e32 v6, v13, v19
	v_sub_f32_e32 v3, v3, v7
	v_fma_f32 v6, v12, v18, -v6
	v_mul_f32_e32 v7, v12, v19
	s_waitcnt lgkmcnt(0)
	v_cmp_gt_f32_e32 vcc, 0, v5
	v_fmac_f32_e32 v7, v13, v18
	v_sub_f32_e32 v6, v2, v6
	v_cndmask_b32_e64 v2, v5, -v5, vcc
	v_cmp_gt_f32_e32 vcc, 0, v4
	v_sub_f32_e32 v7, v3, v7
	v_cndmask_b32_e64 v3, v4, -v4, vcc
	v_cmp_ngt_f32_e32 vcc, v3, v2
	s_cbranch_vccz .LBB172_102
; %bb.101:                              ;   in Loop: Header=BB172_86 Depth=1
	v_div_scale_f32 v2, s[2:3], v5, v5, v4
	v_rcp_f32_e32 v3, v2
	v_div_scale_f32 v8, vcc, v4, v5, v4
	v_fma_f32 v9, -v2, v3, 1.0
	v_fmac_f32_e32 v3, v9, v3
	v_mul_f32_e32 v9, v8, v3
	v_fma_f32 v10, -v2, v9, v8
	v_fmac_f32_e32 v9, v10, v3
	v_fma_f32 v2, -v2, v9, v8
	v_div_fmas_f32 v2, v2, v3, v9
	v_div_fixup_f32 v3, v2, v5, v4
	v_fma_f32 v2, v4, v3, v5
	v_div_scale_f32 v8, s[2:3], v2, v2, 1.0
	v_rcp_f32_e32 v9, v8
	v_fma_f32 v10, -v8, v9, 1.0
	v_fmac_f32_e32 v9, v10, v9
	v_div_scale_f32 v10, vcc, 1.0, v2, 1.0
	v_mul_f32_e32 v11, v10, v9
	v_fma_f32 v12, -v8, v11, v10
	v_fmac_f32_e32 v11, v12, v9
	v_fma_f32 v8, -v8, v11, v10
	v_div_fmas_f32 v8, v8, v9, v11
	v_div_fixup_f32 v8, v8, v2, 1.0
	v_fma_f32 v2, v3, v6, v7
	v_fma_f32 v3, v3, v7, -v6
	v_mul_f32_e32 v2, v2, v8
	v_mul_f32_e32 v3, v3, v8
	s_cbranch_execz .LBB172_103
	s_branch .LBB172_104
.LBB172_102:                            ;   in Loop: Header=BB172_86 Depth=1
                                        ; implicit-def: $vgpr3
.LBB172_103:                            ;   in Loop: Header=BB172_86 Depth=1
	v_div_scale_f32 v2, s[2:3], v4, v4, v5
	v_rcp_f32_e32 v3, v2
	v_div_scale_f32 v8, vcc, v5, v4, v5
	v_fma_f32 v9, -v2, v3, 1.0
	v_fmac_f32_e32 v3, v9, v3
	v_mul_f32_e32 v9, v8, v3
	v_fma_f32 v10, -v2, v9, v8
	v_fmac_f32_e32 v9, v10, v3
	v_fma_f32 v2, -v2, v9, v8
	v_div_fmas_f32 v2, v2, v3, v9
	v_div_fixup_f32 v3, v2, v4, v5
	v_fmac_f32_e32 v4, v5, v3
	v_div_scale_f32 v2, s[2:3], v4, v4, 1.0
	v_rcp_f32_e32 v5, v2
	v_fma_f32 v8, -v2, v5, 1.0
	v_fmac_f32_e32 v5, v8, v5
	v_div_scale_f32 v8, vcc, 1.0, v4, 1.0
	v_mul_f32_e32 v9, v8, v5
	v_fma_f32 v10, -v2, v9, v8
	v_fmac_f32_e32 v9, v10, v5
	v_fma_f32 v2, -v2, v9, v8
	v_div_fmas_f32 v2, v2, v5, v9
	v_div_fixup_f32 v4, v2, v4, 1.0
	v_fma_f32 v2, v3, v7, v6
	v_fma_f32 v3, -v3, v6, v7
	v_mul_f32_e32 v2, v2, v4
	v_mul_f32_e32 v3, v3, v4
.LBB172_104:                            ;   in Loop: Header=BB172_86 Depth=1
	s_add_i32 s6, s5, -4
	s_sub_i32 s4, s4, 32
	s_cmp_lt_i32 s5, 7
	ds_write_b64 v15, v[2:3]
	s_cbranch_scc1 .LBB172_106
; %bb.105:                              ;   in Loop: Header=BB172_86 Depth=1
	s_mov_b32 s5, s6
	s_branch .LBB172_86
.LBB172_106:
	s_cmp_lt_i32 s6, 0
	s_cbranch_scc1 .LBB172_115
; %bb.107:
	s_lshl_b32 s2, s33, 8
	s_lshl_b32 s3, s6, 3
	v_lshl_or_b32 v1, v0, 3, s2
	s_add_i32 s2, s2, s3
	v_add_u32_e32 v1, 0x1f00, v1
	s_add_i32 s4, s2, 0xffffff00
	v_lshlrev_b32_e32 v8, 3, v0
	s_branch .LBB172_109
.LBB172_108:                            ;   in Loop: Header=BB172_109 Depth=1
	s_add_i32 s2, s6, -1
	s_add_i32 s4, s4, -8
	s_cmp_lt_i32 s6, 1
	s_mov_b32 s6, s2
	ds_write_b64 v9, v[6:7]
	s_cbranch_scc1 .LBB172_115
.LBB172_109:                            ; =>This Loop Header: Depth=1
                                        ;     Child Loop BB172_110 Depth 2
	v_lshl_or_b32 v4, s6, 8, v8
	ds_read_b64 v[2:3], v4 offset:8192
	s_cmp_le_i32 s50, s6
	s_mov_b32 s2, s4
	v_mov_b32_e32 v5, v1
	s_mov_b32 s3, s50
	s_cbranch_scc1 .LBB172_111
.LBB172_110:                            ;   Parent Loop BB172_109 Depth=1
                                        ; =>  This Inner Loop Header: Depth=2
	v_mov_b32_e32 v9, s2
	ds_read_b64 v[6:7], v5
	ds_read_b64 v[10:11], v9
	s_add_i32 s3, s3, -1
	s_addk_i32 s2, 0xff00
	v_add_u32_e32 v5, 0xffffff00, v5
	s_cmp_le_i32 s3, s6
	s_waitcnt lgkmcnt(0)
	v_pk_mul_f32 v[12:13], v[10:11], v[6:7] op_sel:[0,1]
	v_pk_fma_f32 v[14:15], v[10:11], v[6:7], v[12:13] op_sel:[0,0,1] op_sel_hi:[1,0,0]
	v_pk_fma_f32 v[6:7], v[10:11], v[6:7], v[12:13] op_sel:[0,0,1] op_sel_hi:[1,0,0] neg_lo:[0,0,1] neg_hi:[0,0,1]
	v_mov_b32_e32 v7, v15
	v_pk_add_f32 v[2:3], v[2:3], v[6:7] neg_lo:[0,1] neg_hi:[0,1]
	s_cbranch_scc0 .LBB172_110
.LBB172_111:                            ;   in Loop: Header=BB172_109 Depth=1
	s_mul_i32 s2, s6, 0x108
	v_add_u32_e32 v9, 0x2000, v4
	v_mov_b32_e32 v4, s2
	ds_read_b64 v[4:5], v4
	s_waitcnt lgkmcnt(0)
	v_cmp_gt_f32_e32 vcc, 0, v5
	v_cndmask_b32_e64 v6, v5, -v5, vcc
	v_cmp_gt_f32_e32 vcc, 0, v4
	v_cndmask_b32_e64 v7, v4, -v4, vcc
	v_cmp_ngt_f32_e32 vcc, v7, v6
	s_cbranch_vccz .LBB172_113
; %bb.112:                              ;   in Loop: Header=BB172_109 Depth=1
	v_div_scale_f32 v6, s[2:3], v5, v5, v4
	v_rcp_f32_e32 v7, v6
	v_div_scale_f32 v10, vcc, v4, v5, v4
	v_fma_f32 v11, -v6, v7, 1.0
	v_fmac_f32_e32 v7, v11, v7
	v_mul_f32_e32 v11, v10, v7
	v_fma_f32 v12, -v6, v11, v10
	v_fmac_f32_e32 v11, v12, v7
	v_fma_f32 v6, -v6, v11, v10
	v_div_fmas_f32 v6, v6, v7, v11
	v_div_fixup_f32 v6, v6, v5, v4
	v_fma_f32 v7, v4, v6, v5
	v_div_scale_f32 v10, s[2:3], v7, v7, 1.0
	v_rcp_f32_e32 v11, v10
	v_fma_f32 v12, -v10, v11, 1.0
	v_fmac_f32_e32 v11, v12, v11
	v_div_scale_f32 v12, vcc, 1.0, v7, 1.0
	v_mul_f32_e32 v13, v12, v11
	v_fma_f32 v14, -v10, v13, v12
	v_fmac_f32_e32 v13, v14, v11
	v_fma_f32 v10, -v10, v13, v12
	v_div_fmas_f32 v10, v10, v11, v13
	v_div_fixup_f32 v10, v10, v7, 1.0
	v_pk_fma_f32 v[12:13], v[2:3], v[6:7], v[2:3] op_sel:[0,0,1] op_sel_hi:[1,0,0] neg_lo:[0,0,1] neg_hi:[0,0,1]
	v_pk_fma_f32 v[6:7], v[2:3], v[6:7], v[2:3] op_sel:[0,0,1] op_sel_hi:[1,0,0]
	v_mov_b32_e32 v7, v13
	v_pk_mul_f32 v[6:7], v[6:7], v[10:11] op_sel_hi:[1,0]
	s_cbranch_execnz .LBB172_108
	s_branch .LBB172_114
.LBB172_113:                            ;   in Loop: Header=BB172_109 Depth=1
                                        ; implicit-def: $vgpr6_vgpr7
.LBB172_114:                            ;   in Loop: Header=BB172_109 Depth=1
	v_div_scale_f32 v6, s[2:3], v4, v4, v5
	v_rcp_f32_e32 v7, v6
	v_div_scale_f32 v10, vcc, v5, v4, v5
	v_fma_f32 v11, -v6, v7, 1.0
	v_fmac_f32_e32 v7, v11, v7
	v_mul_f32_e32 v11, v10, v7
	v_fma_f32 v12, -v6, v11, v10
	v_fmac_f32_e32 v11, v12, v7
	v_fma_f32 v6, -v6, v11, v10
	v_div_fmas_f32 v6, v6, v7, v11
	v_div_fixup_f32 v6, v6, v4, v5
	v_fmac_f32_e32 v4, v5, v6
	v_div_scale_f32 v5, s[2:3], v4, v4, 1.0
	v_rcp_f32_e32 v7, v5
	v_fma_f32 v10, -v5, v7, 1.0
	v_fmac_f32_e32 v7, v10, v7
	v_div_scale_f32 v10, vcc, 1.0, v4, 1.0
	v_mul_f32_e32 v11, v10, v7
	v_fma_f32 v12, -v5, v11, v10
	v_fmac_f32_e32 v11, v12, v7
	v_fma_f32 v5, -v5, v11, v10
	v_div_fmas_f32 v5, v5, v7, v11
	v_pk_mul_f32 v[6:7], v[2:3], v[6:7] op_sel_hi:[1,0]
	v_pk_add_f32 v[10:11], v[2:3], v[6:7] op_sel:[0,1] op_sel_hi:[1,0] neg_lo:[0,1] neg_hi:[0,1]
	v_pk_add_f32 v[2:3], v[2:3], v[6:7] op_sel:[0,1] op_sel_hi:[1,0]
	v_div_fixup_f32 v4, v5, v4, 1.0
	v_mov_b32_e32 v3, v11
	v_pk_mul_f32 v[6:7], v[2:3], v[4:5] op_sel_hi:[1,0]
	s_branch .LBB172_108
.LBB172_115:
	s_mov_b64 s[4:5], 0
.LBB172_116:
	s_andn2_b64 vcc, exec, s[4:5]
	s_cbranch_vccnz .LBB172_148
; %bb.117:
	s_andn2_b64 vcc, exec, s[0:1]
	s_mov_b32 s4, s50
	s_cbranch_vccnz .LBB172_139
; %bb.118:
	v_lshlrev_b32_e32 v1, 3, v0
	v_lshl_or_b32 v2, s33, 8, v1
	s_mul_i32 s0, s33, 0x108
	v_add_u32_e32 v14, 0x1e00, v2
	s_add_i32 s2, s0, 0xfffffbf0
	s_mov_b32 s3, s50
.LBB172_119:                            ; =>This Loop Header: Depth=1
                                        ;     Child Loop BB172_120 Depth 2
	s_lshl_b32 s5, s3, 5
	v_or_b32_e32 v2, s5, v0
	s_sub_i32 s6, s5, 64
	v_lshlrev_b32_e32 v4, 3, v2
	v_or_b32_e32 v2, s6, v0
	s_addk_i32 s5, 0xffa0
	s_add_i32 s4, s3, -1
	v_lshlrev_b32_e32 v10, 3, v2
	v_or_b32_e32 v2, s5, v0
	v_lshl_or_b32 v5, s4, 8, v1
	v_lshlrev_b32_e32 v11, 3, v2
	ds_read_b64 v[2:3], v4 offset:8192
	ds_read_b64 v[12:13], v5 offset:8192
	;; [unrolled: 1-line block ×4, first 2 shown]
	s_cmp_le_i32 s50, s3
	s_mov_b32 s0, s2
	v_mov_b32_e32 v15, v14
	s_mov_b32 s1, s50
	s_cbranch_scc1 .LBB172_121
.LBB172_120:                            ;   Parent Loop BB172_119 Depth=1
                                        ; =>  This Inner Loop Header: Depth=2
	v_mov_b32_e32 v32, s0
	ds_read2_b64 v[16:19], v15 offset1:32
	ds_read2_b64 v[20:23], v32 offset0:96 offset1:97
	ds_read2_b64 v[24:27], v32 offset0:64 offset1:65
	;; [unrolled: 1-line block ×3, first 2 shown]
	ds_read2_b64 v[32:35], v32 offset1:1
	s_add_i32 s1, s1, -2
	s_add_i32 s0, s0, -16
	v_add_u32_e32 v15, 0xfffffe00, v15
	s_waitcnt lgkmcnt(3)
	v_mul_f32_e32 v36, v23, v19
	v_mul_f32_e32 v37, v22, v19
	s_waitcnt lgkmcnt(2)
	v_mul_f32_e32 v38, v27, v19
	v_mul_f32_e32 v27, v27, v18
	;; [unrolled: 3-line block ×4, first 2 shown]
	v_mul_f32_e32 v41, v21, v17
	v_mul_f32_e32 v42, v20, v17
	;; [unrolled: 1-line block ×8, first 2 shown]
	v_fma_f32 v22, v22, v18, -v36
	v_fmac_f32_e32 v37, v23, v18
	v_fma_f32 v23, v26, v18, -v38
	v_fmac_f32_e32 v27, v26, v19
	;; [unrolled: 2-line block ×8, first 2 shown]
	v_sub_f32_e32 v2, v2, v22
	v_sub_f32_e32 v3, v3, v37
	;; [unrolled: 1-line block ×8, first 2 shown]
	s_cmp_le_i32 s1, s3
	v_sub_f32_e32 v2, v2, v19
	v_sub_f32_e32 v3, v3, v42
	;; [unrolled: 1-line block ×8, first 2 shown]
	s_cbranch_scc0 .LBB172_120
.LBB172_121:                            ;   in Loop: Header=BB172_119 Depth=1
	s_mul_i32 s7, s3, 0x108
	v_add_u32_e32 v18, 0x2000, v4
	v_mov_b32_e32 v4, s7
	v_add_u32_e32 v17, 0x2000, v5
	ds_read_b64 v[4:5], v4
	v_add_u32_e32 v16, 0x2000, v10
	v_add_u32_e32 v15, 0x2000, v11
	s_waitcnt lgkmcnt(0)
	v_cmp_gt_f32_e32 vcc, 0, v5
	v_cndmask_b32_e64 v10, v5, -v5, vcc
	v_cmp_gt_f32_e32 vcc, 0, v4
	v_cndmask_b32_e64 v11, v4, -v4, vcc
	v_cmp_ngt_f32_e32 vcc, v11, v10
	s_cbranch_vccz .LBB172_123
; %bb.122:                              ;   in Loop: Header=BB172_119 Depth=1
	v_div_scale_f32 v10, s[0:1], v5, v5, v4
	v_rcp_f32_e32 v11, v10
	v_div_scale_f32 v19, vcc, v4, v5, v4
	v_fma_f32 v20, -v10, v11, 1.0
	v_fmac_f32_e32 v11, v20, v11
	v_mul_f32_e32 v20, v19, v11
	v_fma_f32 v21, -v10, v20, v19
	v_fmac_f32_e32 v20, v21, v11
	v_fma_f32 v10, -v10, v20, v19
	v_div_fmas_f32 v10, v10, v11, v20
	v_div_fixup_f32 v11, v10, v5, v4
	v_fma_f32 v10, v4, v11, v5
	v_div_scale_f32 v19, s[0:1], v10, v10, 1.0
	v_rcp_f32_e32 v20, v19
	v_fma_f32 v21, -v19, v20, 1.0
	v_fmac_f32_e32 v20, v21, v20
	v_div_scale_f32 v21, vcc, 1.0, v10, 1.0
	v_mul_f32_e32 v22, v21, v20
	v_fma_f32 v23, -v19, v22, v21
	v_fmac_f32_e32 v22, v23, v20
	v_fma_f32 v19, -v19, v22, v21
	v_div_fmas_f32 v19, v19, v20, v22
	v_div_fixup_f32 v19, v19, v10, 1.0
	v_fma_f32 v10, v2, v11, v3
	v_fma_f32 v11, v3, v11, -v2
	v_mul_f32_e32 v10, v10, v19
	v_mul_f32_e32 v11, v11, v19
	s_cbranch_execz .LBB172_124
	s_branch .LBB172_125
.LBB172_123:                            ;   in Loop: Header=BB172_119 Depth=1
                                        ; implicit-def: $vgpr11
.LBB172_124:                            ;   in Loop: Header=BB172_119 Depth=1
	v_div_scale_f32 v10, s[0:1], v4, v4, v5
	v_rcp_f32_e32 v11, v10
	v_div_scale_f32 v19, vcc, v5, v4, v5
	v_fma_f32 v20, -v10, v11, 1.0
	v_fmac_f32_e32 v11, v20, v11
	v_mul_f32_e32 v20, v19, v11
	v_fma_f32 v21, -v10, v20, v19
	v_fmac_f32_e32 v20, v21, v11
	v_fma_f32 v10, -v10, v20, v19
	v_div_fmas_f32 v10, v10, v11, v20
	v_div_fixup_f32 v11, v10, v4, v5
	v_fmac_f32_e32 v4, v5, v11
	v_div_scale_f32 v5, s[0:1], v4, v4, 1.0
	v_rcp_f32_e32 v10, v5
	v_fma_f32 v19, -v5, v10, 1.0
	v_fmac_f32_e32 v10, v19, v10
	v_div_scale_f32 v19, vcc, 1.0, v4, 1.0
	v_mul_f32_e32 v20, v19, v10
	v_fma_f32 v21, -v5, v20, v19
	v_fmac_f32_e32 v20, v21, v10
	v_fma_f32 v5, -v5, v20, v19
	v_div_fmas_f32 v5, v5, v10, v20
	v_div_fixup_f32 v4, v5, v4, 1.0
	v_fma_f32 v5, v3, v11, v2
	v_fma_f32 v2, -v2, v11, v3
	v_mul_f32_e32 v10, v5, v4
	v_mul_f32_e32 v11, v2, v4
.LBB172_125:                            ;   in Loop: Header=BB172_119 Depth=1
	s_addk_i32 s7, 0xfef8
	v_mov_b32_e32 v2, s7
	ds_read2_b64 v[2:5], v2 offset1:1
	ds_write_b64 v18, v[10:11]
	s_waitcnt lgkmcnt(1)
	v_mul_f32_e32 v18, v11, v5
	v_mul_f32_e32 v5, v10, v5
	v_fma_f32 v18, v10, v4, -v18
	v_cmp_gt_f32_e32 vcc, 0, v3
	v_fmac_f32_e32 v5, v11, v4
	v_sub_f32_e32 v4, v12, v18
	v_cndmask_b32_e64 v12, v3, -v3, vcc
	v_cmp_gt_f32_e32 vcc, 0, v2
	v_sub_f32_e32 v5, v13, v5
	v_cndmask_b32_e64 v13, v2, -v2, vcc
	v_cmp_ngt_f32_e32 vcc, v13, v12
	s_cbranch_vccz .LBB172_127
; %bb.126:                              ;   in Loop: Header=BB172_119 Depth=1
	v_div_scale_f32 v12, s[0:1], v3, v3, v2
	v_rcp_f32_e32 v13, v12
	v_div_scale_f32 v18, vcc, v2, v3, v2
	v_fma_f32 v19, -v12, v13, 1.0
	v_fmac_f32_e32 v13, v19, v13
	v_mul_f32_e32 v19, v18, v13
	v_fma_f32 v20, -v12, v19, v18
	v_fmac_f32_e32 v19, v20, v13
	v_fma_f32 v12, -v12, v19, v18
	v_div_fmas_f32 v12, v12, v13, v19
	v_div_fixup_f32 v13, v12, v3, v2
	v_fma_f32 v12, v2, v13, v3
	v_div_scale_f32 v18, s[0:1], v12, v12, 1.0
	v_rcp_f32_e32 v19, v18
	v_fma_f32 v20, -v18, v19, 1.0
	v_fmac_f32_e32 v19, v20, v19
	v_div_scale_f32 v20, vcc, 1.0, v12, 1.0
	v_mul_f32_e32 v21, v20, v19
	v_fma_f32 v22, -v18, v21, v20
	v_fmac_f32_e32 v21, v22, v19
	v_fma_f32 v18, -v18, v21, v20
	v_div_fmas_f32 v18, v18, v19, v21
	v_div_fixup_f32 v18, v18, v12, 1.0
	v_fma_f32 v12, v13, v4, v5
	v_fma_f32 v13, v13, v5, -v4
	v_mul_f32_e32 v12, v12, v18
	v_mul_f32_e32 v13, v13, v18
	s_cbranch_execz .LBB172_128
	s_branch .LBB172_129
.LBB172_127:                            ;   in Loop: Header=BB172_119 Depth=1
                                        ; implicit-def: $vgpr13
.LBB172_128:                            ;   in Loop: Header=BB172_119 Depth=1
	v_div_scale_f32 v12, s[0:1], v2, v2, v3
	v_rcp_f32_e32 v13, v12
	v_div_scale_f32 v18, vcc, v3, v2, v3
	v_fma_f32 v19, -v12, v13, 1.0
	v_fmac_f32_e32 v13, v19, v13
	v_mul_f32_e32 v19, v18, v13
	v_fma_f32 v20, -v12, v19, v18
	v_fmac_f32_e32 v19, v20, v13
	v_fma_f32 v12, -v12, v19, v18
	v_div_fmas_f32 v12, v12, v13, v19
	v_div_fixup_f32 v13, v12, v2, v3
	v_fmac_f32_e32 v2, v3, v13
	v_div_scale_f32 v3, s[0:1], v2, v2, 1.0
	v_rcp_f32_e32 v12, v3
	v_fma_f32 v18, -v3, v12, 1.0
	v_fmac_f32_e32 v12, v18, v12
	v_div_scale_f32 v18, vcc, 1.0, v2, 1.0
	v_mul_f32_e32 v19, v18, v12
	v_fma_f32 v20, -v3, v19, v18
	v_fmac_f32_e32 v19, v20, v12
	v_fma_f32 v3, -v3, v19, v18
	v_div_fmas_f32 v3, v3, v12, v19
	v_div_fixup_f32 v2, v3, v2, 1.0
	v_fma_f32 v3, v13, v5, v4
	v_mul_f32_e32 v12, v3, v2
	v_fma_f32 v3, -v13, v4, v5
	v_mul_f32_e32 v13, v3, v2
.LBB172_129:                            ;   in Loop: Header=BB172_119 Depth=1
	s_add_i32 s6, s6, s3
	s_lshl_b32 s0, s6, 3
	v_mov_b32_e32 v2, s0
	ds_read_b64 v[18:19], v2
	s_add_i32 s6, s7, 0xfffffef8
	v_mov_b32_e32 v2, s6
	ds_read2_b64 v[2:5], v2 offset1:1
	ds_write_b64 v17, v[12:13]
	s_waitcnt lgkmcnt(2)
	v_mul_f32_e32 v17, v11, v19
	v_fma_f32 v17, v10, v18, -v17
	v_mul_f32_e32 v19, v10, v19
	v_sub_f32_e32 v8, v8, v17
	s_waitcnt lgkmcnt(1)
	v_mul_f32_e32 v17, v13, v5
	v_fmac_f32_e32 v19, v11, v18
	v_fma_f32 v17, v12, v4, -v17
	v_mul_f32_e32 v5, v12, v5
	v_cmp_gt_f32_e32 vcc, 0, v3
	v_sub_f32_e32 v9, v9, v19
	v_fmac_f32_e32 v5, v13, v4
	v_sub_f32_e32 v4, v8, v17
	v_cndmask_b32_e64 v8, v3, -v3, vcc
	v_cmp_gt_f32_e32 vcc, 0, v2
	v_sub_f32_e32 v5, v9, v5
	v_cndmask_b32_e64 v9, v2, -v2, vcc
	v_cmp_ngt_f32_e32 vcc, v9, v8
	s_cbranch_vccz .LBB172_131
; %bb.130:                              ;   in Loop: Header=BB172_119 Depth=1
	v_div_scale_f32 v8, s[0:1], v3, v3, v2
	v_rcp_f32_e32 v9, v8
	v_div_scale_f32 v17, vcc, v2, v3, v2
	v_fma_f32 v18, -v8, v9, 1.0
	v_fmac_f32_e32 v9, v18, v9
	v_mul_f32_e32 v18, v17, v9
	v_fma_f32 v19, -v8, v18, v17
	v_fmac_f32_e32 v18, v19, v9
	v_fma_f32 v8, -v8, v18, v17
	v_div_fmas_f32 v8, v8, v9, v18
	v_div_fixup_f32 v9, v8, v3, v2
	v_fma_f32 v8, v2, v9, v3
	v_div_scale_f32 v17, s[0:1], v8, v8, 1.0
	v_rcp_f32_e32 v18, v17
	v_fma_f32 v19, -v17, v18, 1.0
	v_fmac_f32_e32 v18, v19, v18
	v_div_scale_f32 v19, vcc, 1.0, v8, 1.0
	v_mul_f32_e32 v20, v19, v18
	v_fma_f32 v21, -v17, v20, v19
	v_fmac_f32_e32 v20, v21, v18
	v_fma_f32 v17, -v17, v20, v19
	v_div_fmas_f32 v17, v17, v18, v20
	v_div_fixup_f32 v17, v17, v8, 1.0
	v_fma_f32 v8, v9, v4, v5
	v_fma_f32 v9, v9, v5, -v4
	v_mul_f32_e32 v8, v8, v17
	v_mul_f32_e32 v9, v9, v17
	s_cbranch_execz .LBB172_132
	s_branch .LBB172_133
.LBB172_131:                            ;   in Loop: Header=BB172_119 Depth=1
                                        ; implicit-def: $vgpr9
.LBB172_132:                            ;   in Loop: Header=BB172_119 Depth=1
	v_div_scale_f32 v8, s[0:1], v2, v2, v3
	v_rcp_f32_e32 v9, v8
	v_div_scale_f32 v17, vcc, v3, v2, v3
	v_fma_f32 v18, -v8, v9, 1.0
	v_fmac_f32_e32 v9, v18, v9
	v_mul_f32_e32 v18, v17, v9
	v_fma_f32 v19, -v8, v18, v17
	v_fmac_f32_e32 v18, v19, v9
	v_fma_f32 v8, -v8, v18, v17
	v_div_fmas_f32 v8, v8, v9, v18
	v_div_fixup_f32 v9, v8, v2, v3
	v_fmac_f32_e32 v2, v3, v9
	v_div_scale_f32 v3, s[0:1], v2, v2, 1.0
	v_rcp_f32_e32 v8, v3
	v_fma_f32 v17, -v3, v8, 1.0
	v_fmac_f32_e32 v8, v17, v8
	v_div_scale_f32 v17, vcc, 1.0, v2, 1.0
	v_mul_f32_e32 v18, v17, v8
	v_fma_f32 v19, -v3, v18, v17
	v_fmac_f32_e32 v18, v19, v8
	v_fma_f32 v3, -v3, v18, v17
	v_div_fmas_f32 v3, v3, v8, v18
	v_div_fixup_f32 v2, v3, v2, 1.0
	v_fma_f32 v3, v9, v5, v4
	v_mul_f32_e32 v8, v3, v2
	v_fma_f32 v3, -v9, v4, v5
	v_mul_f32_e32 v9, v3, v2
.LBB172_133:                            ;   in Loop: Header=BB172_119 Depth=1
	s_add_i32 s5, s5, s4
	s_lshl_b32 s0, s5, 3
	v_mov_b32_e32 v2, s0
	ds_read2_b64 v[18:21], v2 offset1:1
	s_add_i32 s0, s6, 0xfffffef8
	v_mov_b32_e32 v2, s0
	ds_write_b64 v16, v[8:9]
	ds_read2_b64 v[2:5], v2 offset1:1
	s_waitcnt lgkmcnt(2)
	v_mul_f32_e32 v16, v11, v21
	v_fma_f32 v16, v10, v20, -v16
	v_mul_f32_e32 v10, v10, v21
	v_fmac_f32_e32 v10, v11, v20
	v_sub_f32_e32 v7, v7, v10
	v_mul_f32_e32 v10, v13, v19
	v_sub_f32_e32 v6, v6, v16
	v_fma_f32 v10, v12, v18, -v10
	v_mul_f32_e32 v11, v12, v19
	v_fmac_f32_e32 v11, v13, v18
	v_sub_f32_e32 v6, v6, v10
	s_waitcnt lgkmcnt(0)
	v_mul_f32_e32 v10, v9, v5
	v_mul_f32_e32 v5, v8, v5
	v_cmp_gt_f32_e32 vcc, 0, v3
	v_sub_f32_e32 v7, v7, v11
	v_fma_f32 v10, v8, v4, -v10
	v_fmac_f32_e32 v5, v9, v4
	v_cndmask_b32_e64 v4, v3, -v3, vcc
	v_cmp_gt_f32_e32 vcc, 0, v2
	v_sub_f32_e32 v7, v7, v5
	v_cndmask_b32_e64 v5, v2, -v2, vcc
	v_cmp_ngt_f32_e32 vcc, v5, v4
	v_sub_f32_e32 v6, v6, v10
	s_cbranch_vccz .LBB172_135
; %bb.134:                              ;   in Loop: Header=BB172_119 Depth=1
	v_div_scale_f32 v4, s[0:1], v3, v3, v2
	v_rcp_f32_e32 v5, v4
	v_div_scale_f32 v8, vcc, v2, v3, v2
	v_fma_f32 v9, -v4, v5, 1.0
	v_fmac_f32_e32 v5, v9, v5
	v_mul_f32_e32 v9, v8, v5
	v_fma_f32 v10, -v4, v9, v8
	v_fmac_f32_e32 v9, v10, v5
	v_fma_f32 v4, -v4, v9, v8
	v_div_fmas_f32 v4, v4, v5, v9
	v_div_fixup_f32 v5, v4, v3, v2
	v_fma_f32 v4, v2, v5, v3
	v_div_scale_f32 v8, s[0:1], v4, v4, 1.0
	v_rcp_f32_e32 v9, v8
	v_fma_f32 v10, -v8, v9, 1.0
	v_fmac_f32_e32 v9, v10, v9
	v_div_scale_f32 v10, vcc, 1.0, v4, 1.0
	v_mul_f32_e32 v11, v10, v9
	v_fma_f32 v12, -v8, v11, v10
	v_fmac_f32_e32 v11, v12, v9
	v_fma_f32 v8, -v8, v11, v10
	v_div_fmas_f32 v8, v8, v9, v11
	v_div_fixup_f32 v8, v8, v4, 1.0
	v_fma_f32 v4, v5, v6, v7
	v_fma_f32 v5, v5, v7, -v6
	v_mul_f32_e32 v4, v4, v8
	v_mul_f32_e32 v5, v5, v8
	s_cbranch_execz .LBB172_136
	s_branch .LBB172_137
.LBB172_135:                            ;   in Loop: Header=BB172_119 Depth=1
                                        ; implicit-def: $vgpr5
.LBB172_136:                            ;   in Loop: Header=BB172_119 Depth=1
	v_div_scale_f32 v4, s[0:1], v2, v2, v3
	v_rcp_f32_e32 v5, v4
	v_div_scale_f32 v8, vcc, v3, v2, v3
	v_fma_f32 v9, -v4, v5, 1.0
	v_fmac_f32_e32 v5, v9, v5
	v_mul_f32_e32 v9, v8, v5
	v_fma_f32 v10, -v4, v9, v8
	v_fmac_f32_e32 v9, v10, v5
	v_fma_f32 v4, -v4, v9, v8
	v_div_fmas_f32 v4, v4, v5, v9
	v_div_fixup_f32 v5, v4, v2, v3
	v_fmac_f32_e32 v2, v3, v5
	v_div_scale_f32 v3, s[0:1], v2, v2, 1.0
	v_rcp_f32_e32 v4, v3
	v_fma_f32 v8, -v3, v4, 1.0
	v_fmac_f32_e32 v4, v8, v4
	v_div_scale_f32 v8, vcc, 1.0, v2, 1.0
	v_mul_f32_e32 v9, v8, v4
	v_fma_f32 v10, -v3, v9, v8
	v_fmac_f32_e32 v9, v10, v4
	v_fma_f32 v3, -v3, v9, v8
	v_div_fmas_f32 v3, v3, v4, v9
	v_div_fixup_f32 v2, v3, v2, 1.0
	v_fma_f32 v3, v5, v7, v6
	v_mul_f32_e32 v4, v3, v2
	v_fma_f32 v3, -v5, v6, v7
	v_mul_f32_e32 v5, v3, v2
.LBB172_137:                            ;   in Loop: Header=BB172_119 Depth=1
	s_add_i32 s4, s3, -4
	s_addk_i32 s2, 0xfc00
	s_cmp_lt_i32 s3, 7
	ds_write_b64 v15, v[4:5]
	s_cbranch_scc1 .LBB172_139
; %bb.138:                              ;   in Loop: Header=BB172_119 Depth=1
	s_mov_b32 s3, s4
	s_branch .LBB172_119
.LBB172_139:
	s_cmp_lt_i32 s4, 0
	s_cbranch_scc1 .LBB172_148
; %bb.140:
	v_lshlrev_b32_e32 v1, 3, v0
	s_lshl_b32 s0, s4, 8
	s_lshl_b32 s1, s33, 3
	v_lshl_or_b32 v2, s33, 8, v1
	s_add_i32 s0, s0, s1
	v_add_u32_e32 v8, 0x1f00, v2
	s_add_i32 s2, s0, -8
	s_branch .LBB172_142
.LBB172_141:                            ;   in Loop: Header=BB172_142 Depth=1
	s_add_i32 s0, s4, -1
	s_addk_i32 s2, 0xff00
	s_cmp_lt_i32 s4, 1
	s_mov_b32 s4, s0
	ds_write_b64 v9, v[6:7]
	s_cbranch_scc1 .LBB172_148
.LBB172_142:                            ; =>This Loop Header: Depth=1
                                        ;     Child Loop BB172_143 Depth 2
	v_lshl_or_b32 v4, s4, 8, v1
	ds_read_b64 v[2:3], v4 offset:8192
	s_cmp_le_i32 s50, s4
	s_mov_b32 s0, s2
	v_mov_b32_e32 v5, v8
	s_mov_b32 s1, s50
	s_cbranch_scc1 .LBB172_144
.LBB172_143:                            ;   Parent Loop BB172_142 Depth=1
                                        ; =>  This Inner Loop Header: Depth=2
	v_mov_b32_e32 v9, s0
	ds_read_b64 v[6:7], v5
	ds_read_b64 v[10:11], v9
	s_add_i32 s1, s1, -1
	s_add_i32 s0, s0, -8
	v_add_u32_e32 v5, 0xffffff00, v5
	s_cmp_le_i32 s1, s4
	s_waitcnt lgkmcnt(0)
	v_pk_mul_f32 v[12:13], v[10:11], v[6:7] op_sel:[0,1]
	v_pk_fma_f32 v[14:15], v[10:11], v[6:7], v[12:13] op_sel:[0,0,1] op_sel_hi:[1,0,0]
	v_pk_fma_f32 v[6:7], v[10:11], v[6:7], v[12:13] op_sel:[0,0,1] op_sel_hi:[1,0,0] neg_lo:[0,0,1] neg_hi:[0,0,1]
	v_mov_b32_e32 v7, v15
	v_pk_add_f32 v[2:3], v[2:3], v[6:7] neg_lo:[0,1] neg_hi:[0,1]
	s_cbranch_scc0 .LBB172_143
.LBB172_144:                            ;   in Loop: Header=BB172_142 Depth=1
	s_mul_i32 s0, s4, 0x108
	v_add_u32_e32 v9, 0x2000, v4
	v_mov_b32_e32 v4, s0
	ds_read_b64 v[4:5], v4
	s_waitcnt lgkmcnt(0)
	v_cmp_gt_f32_e32 vcc, 0, v5
	v_cndmask_b32_e64 v6, v5, -v5, vcc
	v_cmp_gt_f32_e32 vcc, 0, v4
	v_cndmask_b32_e64 v7, v4, -v4, vcc
	v_cmp_ngt_f32_e32 vcc, v7, v6
	s_cbranch_vccz .LBB172_146
; %bb.145:                              ;   in Loop: Header=BB172_142 Depth=1
	v_div_scale_f32 v6, s[0:1], v5, v5, v4
	v_rcp_f32_e32 v7, v6
	v_div_scale_f32 v10, vcc, v4, v5, v4
	v_fma_f32 v11, -v6, v7, 1.0
	v_fmac_f32_e32 v7, v11, v7
	v_mul_f32_e32 v11, v10, v7
	v_fma_f32 v12, -v6, v11, v10
	v_fmac_f32_e32 v11, v12, v7
	v_fma_f32 v6, -v6, v11, v10
	v_div_fmas_f32 v6, v6, v7, v11
	v_div_fixup_f32 v6, v6, v5, v4
	v_fma_f32 v7, v4, v6, v5
	v_div_scale_f32 v10, s[0:1], v7, v7, 1.0
	v_rcp_f32_e32 v11, v10
	v_fma_f32 v12, -v10, v11, 1.0
	v_fmac_f32_e32 v11, v12, v11
	v_div_scale_f32 v12, vcc, 1.0, v7, 1.0
	v_mul_f32_e32 v13, v12, v11
	v_fma_f32 v14, -v10, v13, v12
	v_fmac_f32_e32 v13, v14, v11
	v_fma_f32 v10, -v10, v13, v12
	v_div_fmas_f32 v10, v10, v11, v13
	v_div_fixup_f32 v10, v10, v7, 1.0
	v_pk_fma_f32 v[12:13], v[2:3], v[6:7], v[2:3] op_sel:[0,0,1] op_sel_hi:[1,0,0] neg_lo:[0,0,1] neg_hi:[0,0,1]
	v_pk_fma_f32 v[6:7], v[2:3], v[6:7], v[2:3] op_sel:[0,0,1] op_sel_hi:[1,0,0]
	v_mov_b32_e32 v7, v13
	v_pk_mul_f32 v[6:7], v[6:7], v[10:11] op_sel_hi:[1,0]
	s_cbranch_execnz .LBB172_141
	s_branch .LBB172_147
.LBB172_146:                            ;   in Loop: Header=BB172_142 Depth=1
                                        ; implicit-def: $vgpr6_vgpr7
.LBB172_147:                            ;   in Loop: Header=BB172_142 Depth=1
	v_div_scale_f32 v6, s[0:1], v4, v4, v5
	v_rcp_f32_e32 v7, v6
	v_div_scale_f32 v10, vcc, v5, v4, v5
	v_fma_f32 v11, -v6, v7, 1.0
	v_fmac_f32_e32 v7, v11, v7
	v_mul_f32_e32 v11, v10, v7
	v_fma_f32 v12, -v6, v11, v10
	v_fmac_f32_e32 v11, v12, v7
	v_fma_f32 v6, -v6, v11, v10
	v_div_fmas_f32 v6, v6, v7, v11
	v_div_fixup_f32 v6, v6, v4, v5
	v_fmac_f32_e32 v4, v5, v6
	v_div_scale_f32 v5, s[0:1], v4, v4, 1.0
	v_rcp_f32_e32 v7, v5
	v_fma_f32 v10, -v5, v7, 1.0
	v_fmac_f32_e32 v7, v10, v7
	v_div_scale_f32 v10, vcc, 1.0, v4, 1.0
	v_mul_f32_e32 v11, v10, v7
	v_fma_f32 v12, -v5, v11, v10
	v_fmac_f32_e32 v11, v12, v7
	v_fma_f32 v5, -v5, v11, v10
	v_div_fmas_f32 v5, v5, v7, v11
	v_pk_mul_f32 v[6:7], v[2:3], v[6:7] op_sel_hi:[1,0]
	v_pk_add_f32 v[10:11], v[2:3], v[6:7] op_sel:[0,1] op_sel_hi:[1,0] neg_lo:[0,1] neg_hi:[0,1]
	v_pk_add_f32 v[2:3], v[2:3], v[6:7] op_sel:[0,1] op_sel_hi:[1,0]
	v_div_fixup_f32 v4, v5, v4, 1.0
	v_mov_b32_e32 v3, v11
	v_pk_mul_f32 v[6:7], v[2:3], v[4:5] op_sel_hi:[1,0]
	s_branch .LBB172_141
.LBB172_148:
	s_mov_b64 s[4:5], 0
.LBB172_149:
	s_andn2_b64 vcc, exec, s[4:5]
	s_cbranch_vccnz .LBB172_188
; %bb.150:
	s_cmp_lt_i32 s16, 4
	s_mov_b32 s4, 0
	s_cbranch_scc1 .LBB172_173
; %bb.151:
	v_mov_b32_e32 v1, 0x2000
	v_lshl_or_b32 v1, v0, 3, v1
	s_mov_b32 s2, 0
	s_mov_b32 s3, 0
.LBB172_152:                            ; =>This Loop Header: Depth=1
                                        ;     Child Loop BB172_154 Depth 2
	s_lshl_b32 s0, s3, 5
	v_or_b32_e32 v2, s0, v0
	s_or_b32 s6, s0, 32
	v_lshlrev_b32_e32 v4, 3, v2
	v_or_b32_e32 v2, s6, v0
	s_or_b32 s5, s0, 64
	v_lshlrev_b32_e32 v5, 3, v2
	;; [unrolled: 3-line block ×3, first 2 shown]
	v_or_b32_e32 v2, s4, v0
	v_lshlrev_b32_e32 v13, 3, v2
	ds_read_b64 v[2:3], v4 offset:8192
	ds_read_b64 v[10:11], v5 offset:8192
	;; [unrolled: 1-line block ×4, first 2 shown]
	s_cmp_eq_u32 s3, 0
	s_cbranch_scc1 .LBB172_155
; %bb.153:                              ;   in Loop: Header=BB172_152 Depth=1
	s_mov_b32 s0, 0
	s_mov_b32 s1, s2
	v_mov_b32_e32 v14, v1
.LBB172_154:                            ;   Parent Loop BB172_152 Depth=1
                                        ; =>  This Inner Loop Header: Depth=2
	v_mov_b32_e32 v15, s1
	ds_read2_b64 v[16:19], v14 offset1:32
	ds_read_b128 v[20:23], v15
	ds_read_b128 v[24:27], v15 offset:256
	ds_read_b128 v[28:31], v15 offset:512
	;; [unrolled: 1-line block ×3, first 2 shown]
	s_add_i32 s0, s0, 2
	s_add_i32 s1, s1, 16
	v_add_u32_e32 v14, 0x200, v14
	s_waitcnt lgkmcnt(3)
	v_mul_f32_e32 v15, v21, v17
	v_mul_f32_e32 v36, v20, v17
	s_waitcnt lgkmcnt(2)
	v_mul_f32_e32 v37, v25, v17
	v_mul_f32_e32 v25, v25, v16
	;; [unrolled: 3-line block ×4, first 2 shown]
	v_mul_f32_e32 v40, v23, v19
	v_mul_f32_e32 v41, v22, v19
	;; [unrolled: 1-line block ×8, first 2 shown]
	v_fma_f32 v15, v20, v16, -v15
	v_fmac_f32_e32 v36, v21, v16
	v_fma_f32 v20, v24, v16, -v37
	v_fmac_f32_e32 v25, v24, v17
	;; [unrolled: 2-line block ×8, first 2 shown]
	v_sub_f32_e32 v2, v2, v15
	v_sub_f32_e32 v3, v3, v36
	;; [unrolled: 1-line block ×8, first 2 shown]
	s_cmp_ge_u32 s0, s3
	v_sub_f32_e32 v2, v2, v17
	v_sub_f32_e32 v3, v3, v41
	;; [unrolled: 1-line block ×8, first 2 shown]
	s_cbranch_scc0 .LBB172_154
.LBB172_155:                            ;   in Loop: Header=BB172_152 Depth=1
	s_mul_i32 s7, s3, 0x108
	v_add_u32_e32 v17, 0x2000, v4
	v_mov_b32_e32 v4, s7
	v_add_u32_e32 v16, 0x2000, v5
	ds_read_b64 v[4:5], v4
	v_add_u32_e32 v15, 0x2000, v12
	v_add_u32_e32 v14, 0x2000, v13
	s_waitcnt lgkmcnt(0)
	v_cmp_gt_f32_e32 vcc, 0, v5
	v_cndmask_b32_e64 v12, v5, -v5, vcc
	v_cmp_gt_f32_e32 vcc, 0, v4
	v_cndmask_b32_e64 v13, v4, -v4, vcc
	v_cmp_ngt_f32_e32 vcc, v13, v12
	s_cbranch_vccz .LBB172_157
; %bb.156:                              ;   in Loop: Header=BB172_152 Depth=1
	v_div_scale_f32 v12, s[0:1], v5, v5, v4
	v_rcp_f32_e32 v13, v12
	v_div_scale_f32 v18, vcc, v4, v5, v4
	v_fma_f32 v19, -v12, v13, 1.0
	v_fmac_f32_e32 v13, v19, v13
	v_mul_f32_e32 v19, v18, v13
	v_fma_f32 v20, -v12, v19, v18
	v_fmac_f32_e32 v19, v20, v13
	v_fma_f32 v12, -v12, v19, v18
	v_div_fmas_f32 v12, v12, v13, v19
	v_div_fixup_f32 v13, v12, v5, v4
	v_fma_f32 v12, v4, v13, v5
	v_div_scale_f32 v18, s[0:1], v12, v12, 1.0
	v_rcp_f32_e32 v19, v18
	v_fma_f32 v20, -v18, v19, 1.0
	v_fmac_f32_e32 v19, v20, v19
	v_div_scale_f32 v20, vcc, 1.0, v12, 1.0
	v_mul_f32_e32 v21, v20, v19
	v_fma_f32 v22, -v18, v21, v20
	v_fmac_f32_e32 v21, v22, v19
	v_fma_f32 v18, -v18, v21, v20
	v_div_fmas_f32 v18, v18, v19, v21
	v_div_fixup_f32 v18, v18, v12, 1.0
	v_fma_f32 v12, v2, v13, v3
	v_fma_f32 v13, v3, v13, -v2
	v_mul_f32_e32 v12, v12, v18
	v_mul_f32_e32 v13, v13, v18
	s_cbranch_execz .LBB172_158
	s_branch .LBB172_159
.LBB172_157:                            ;   in Loop: Header=BB172_152 Depth=1
                                        ; implicit-def: $vgpr13
.LBB172_158:                            ;   in Loop: Header=BB172_152 Depth=1
	v_div_scale_f32 v12, s[0:1], v4, v4, v5
	v_rcp_f32_e32 v13, v12
	v_div_scale_f32 v18, vcc, v5, v4, v5
	v_fma_f32 v19, -v12, v13, 1.0
	v_fmac_f32_e32 v13, v19, v13
	v_mul_f32_e32 v19, v18, v13
	v_fma_f32 v20, -v12, v19, v18
	v_fmac_f32_e32 v19, v20, v13
	v_fma_f32 v12, -v12, v19, v18
	v_div_fmas_f32 v12, v12, v13, v19
	v_div_fixup_f32 v13, v12, v4, v5
	v_fmac_f32_e32 v4, v5, v13
	v_div_scale_f32 v5, s[0:1], v4, v4, 1.0
	v_rcp_f32_e32 v12, v5
	v_fma_f32 v18, -v5, v12, 1.0
	v_fmac_f32_e32 v12, v18, v12
	v_div_scale_f32 v18, vcc, 1.0, v4, 1.0
	v_mul_f32_e32 v19, v18, v12
	v_fma_f32 v20, -v5, v19, v18
	v_fmac_f32_e32 v19, v20, v12
	v_fma_f32 v5, -v5, v19, v18
	v_div_fmas_f32 v5, v5, v12, v19
	v_div_fixup_f32 v4, v5, v4, 1.0
	v_fma_f32 v5, v3, v13, v2
	v_fma_f32 v2, -v2, v13, v3
	v_mul_f32_e32 v12, v5, v4
	v_mul_f32_e32 v13, v2, v4
.LBB172_159:                            ;   in Loop: Header=BB172_152 Depth=1
	s_add_i32 s6, s6, s3
	s_lshl_b32 s0, s6, 3
	v_mov_b32_e32 v2, s0
	ds_read_b128 v[2:5], v2
	ds_write_b64 v17, v[12:13]
	s_waitcnt lgkmcnt(1)
	v_mul_f32_e32 v17, v13, v3
	v_mul_f32_e32 v3, v12, v3
	v_fma_f32 v17, v12, v2, -v17
	v_cmp_gt_f32_e32 vcc, 0, v5
	v_fmac_f32_e32 v3, v13, v2
	v_sub_f32_e32 v2, v10, v17
	v_cndmask_b32_e64 v10, v5, -v5, vcc
	v_cmp_gt_f32_e32 vcc, 0, v4
	v_sub_f32_e32 v3, v11, v3
	v_cndmask_b32_e64 v11, v4, -v4, vcc
	v_cmp_ngt_f32_e32 vcc, v11, v10
	s_cbranch_vccz .LBB172_161
; %bb.160:                              ;   in Loop: Header=BB172_152 Depth=1
	v_div_scale_f32 v10, s[0:1], v5, v5, v4
	v_rcp_f32_e32 v11, v10
	v_div_scale_f32 v17, vcc, v4, v5, v4
	v_fma_f32 v18, -v10, v11, 1.0
	v_fmac_f32_e32 v11, v18, v11
	v_mul_f32_e32 v18, v17, v11
	v_fma_f32 v19, -v10, v18, v17
	v_fmac_f32_e32 v18, v19, v11
	v_fma_f32 v10, -v10, v18, v17
	v_div_fmas_f32 v10, v10, v11, v18
	v_div_fixup_f32 v11, v10, v5, v4
	v_fma_f32 v10, v4, v11, v5
	v_div_scale_f32 v17, s[0:1], v10, v10, 1.0
	v_rcp_f32_e32 v18, v17
	v_fma_f32 v19, -v17, v18, 1.0
	v_fmac_f32_e32 v18, v19, v18
	v_div_scale_f32 v19, vcc, 1.0, v10, 1.0
	v_mul_f32_e32 v20, v19, v18
	v_fma_f32 v21, -v17, v20, v19
	v_fmac_f32_e32 v20, v21, v18
	v_fma_f32 v17, -v17, v20, v19
	v_div_fmas_f32 v17, v17, v18, v20
	v_div_fixup_f32 v17, v17, v10, 1.0
	v_fma_f32 v10, v11, v2, v3
	v_fma_f32 v11, v11, v3, -v2
	v_mul_f32_e32 v10, v10, v17
	v_mul_f32_e32 v11, v11, v17
	s_cbranch_execz .LBB172_162
	s_branch .LBB172_163
.LBB172_161:                            ;   in Loop: Header=BB172_152 Depth=1
                                        ; implicit-def: $vgpr11
.LBB172_162:                            ;   in Loop: Header=BB172_152 Depth=1
	v_div_scale_f32 v10, s[0:1], v4, v4, v5
	v_rcp_f32_e32 v11, v10
	v_div_scale_f32 v17, vcc, v5, v4, v5
	v_fma_f32 v18, -v10, v11, 1.0
	v_fmac_f32_e32 v11, v18, v11
	v_mul_f32_e32 v18, v17, v11
	v_fma_f32 v19, -v10, v18, v17
	v_fmac_f32_e32 v18, v19, v11
	v_fma_f32 v10, -v10, v18, v17
	v_div_fmas_f32 v10, v10, v11, v18
	v_div_fixup_f32 v11, v10, v4, v5
	v_fmac_f32_e32 v4, v5, v11
	v_div_scale_f32 v5, s[0:1], v4, v4, 1.0
	v_rcp_f32_e32 v10, v5
	v_fma_f32 v17, -v5, v10, 1.0
	v_fmac_f32_e32 v10, v17, v10
	v_div_scale_f32 v17, vcc, 1.0, v4, 1.0
	v_mul_f32_e32 v18, v17, v10
	v_fma_f32 v19, -v5, v18, v17
	v_fmac_f32_e32 v18, v19, v10
	v_fma_f32 v5, -v5, v18, v17
	v_div_fmas_f32 v5, v5, v10, v18
	v_div_fixup_f32 v4, v5, v4, 1.0
	v_fma_f32 v5, v11, v3, v2
	v_fma_f32 v2, -v11, v2, v3
	v_mul_f32_e32 v10, v5, v4
	v_mul_f32_e32 v11, v2, v4
.LBB172_163:                            ;   in Loop: Header=BB172_152 Depth=1
	s_add_i32 s5, s5, s3
	s_lshl_b32 s0, s5, 3
	v_mov_b32_e32 v2, s0
	ds_read_b128 v[18:21], v2
	v_mov_b32_e32 v2, s7
	ds_read_b64 v[2:3], v2 offset:528
	ds_write_b64 v16, v[10:11]
	s_waitcnt lgkmcnt(2)
	v_mul_f32_e32 v4, v13, v19
	v_mul_f32_e32 v5, v12, v19
	v_fma_f32 v4, v12, v18, -v4
	v_fmac_f32_e32 v5, v13, v18
	v_sub_f32_e32 v4, v8, v4
	v_mul_f32_e32 v8, v11, v21
	v_sub_f32_e32 v5, v9, v5
	v_fma_f32 v8, v10, v20, -v8
	v_mul_f32_e32 v9, v10, v21
	s_waitcnt lgkmcnt(1)
	v_cmp_gt_f32_e32 vcc, 0, v3
	v_fmac_f32_e32 v9, v11, v20
	v_sub_f32_e32 v4, v4, v8
	v_cndmask_b32_e64 v8, v3, -v3, vcc
	v_cmp_gt_f32_e32 vcc, 0, v2
	v_sub_f32_e32 v5, v5, v9
	v_cndmask_b32_e64 v9, v2, -v2, vcc
	v_cmp_ngt_f32_e32 vcc, v9, v8
	s_cbranch_vccz .LBB172_165
; %bb.164:                              ;   in Loop: Header=BB172_152 Depth=1
	v_div_scale_f32 v8, s[0:1], v3, v3, v2
	v_rcp_f32_e32 v9, v8
	v_div_scale_f32 v16, vcc, v2, v3, v2
	v_fma_f32 v17, -v8, v9, 1.0
	v_fmac_f32_e32 v9, v17, v9
	v_mul_f32_e32 v17, v16, v9
	v_fma_f32 v18, -v8, v17, v16
	v_fmac_f32_e32 v17, v18, v9
	v_fma_f32 v8, -v8, v17, v16
	v_div_fmas_f32 v8, v8, v9, v17
	v_div_fixup_f32 v9, v8, v3, v2
	v_fma_f32 v8, v2, v9, v3
	v_div_scale_f32 v16, s[0:1], v8, v8, 1.0
	v_rcp_f32_e32 v17, v16
	v_fma_f32 v18, -v16, v17, 1.0
	v_fmac_f32_e32 v17, v18, v17
	v_div_scale_f32 v18, vcc, 1.0, v8, 1.0
	v_mul_f32_e32 v19, v18, v17
	v_fma_f32 v20, -v16, v19, v18
	v_fmac_f32_e32 v19, v20, v17
	v_fma_f32 v16, -v16, v19, v18
	v_div_fmas_f32 v16, v16, v17, v19
	v_div_fixup_f32 v16, v16, v8, 1.0
	v_fma_f32 v8, v9, v4, v5
	v_fma_f32 v9, v9, v5, -v4
	v_mul_f32_e32 v8, v8, v16
	v_mul_f32_e32 v9, v9, v16
	s_cbranch_execz .LBB172_166
	s_branch .LBB172_167
.LBB172_165:                            ;   in Loop: Header=BB172_152 Depth=1
                                        ; implicit-def: $vgpr9
.LBB172_166:                            ;   in Loop: Header=BB172_152 Depth=1
	v_div_scale_f32 v8, s[0:1], v2, v2, v3
	v_rcp_f32_e32 v9, v8
	v_div_scale_f32 v16, vcc, v3, v2, v3
	v_fma_f32 v17, -v8, v9, 1.0
	v_fmac_f32_e32 v9, v17, v9
	v_mul_f32_e32 v17, v16, v9
	v_fma_f32 v18, -v8, v17, v16
	v_fmac_f32_e32 v17, v18, v9
	v_fma_f32 v8, -v8, v17, v16
	v_div_fmas_f32 v8, v8, v9, v17
	v_div_fixup_f32 v9, v8, v2, v3
	v_fmac_f32_e32 v2, v3, v9
	v_div_scale_f32 v3, s[0:1], v2, v2, 1.0
	v_rcp_f32_e32 v8, v3
	v_fma_f32 v16, -v3, v8, 1.0
	v_fmac_f32_e32 v8, v16, v8
	v_div_scale_f32 v16, vcc, 1.0, v2, 1.0
	v_mul_f32_e32 v17, v16, v8
	v_fma_f32 v18, -v3, v17, v16
	v_fmac_f32_e32 v17, v18, v8
	v_fma_f32 v3, -v3, v17, v16
	v_div_fmas_f32 v3, v3, v8, v17
	v_div_fixup_f32 v2, v3, v2, 1.0
	v_fma_f32 v3, v9, v5, v4
	v_mul_f32_e32 v8, v3, v2
	v_fma_f32 v3, -v9, v4, v5
	v_mul_f32_e32 v9, v3, v2
.LBB172_167:                            ;   in Loop: Header=BB172_152 Depth=1
	s_add_i32 s4, s4, s3
	s_lshl_b32 s0, s4, 3
	v_mov_b32_e32 v2, s0
	ds_read_b128 v[16:19], v2
	ds_write_b64 v15, v[8:9]
	ds_read_b128 v[2:5], v2 offset:16
	s_waitcnt lgkmcnt(2)
	v_mul_f32_e32 v15, v13, v17
	v_mul_f32_e32 v17, v12, v17
	v_fma_f32 v12, v12, v16, -v15
	v_sub_f32_e32 v6, v6, v12
	v_mul_f32_e32 v12, v11, v19
	v_fmac_f32_e32 v17, v13, v16
	v_fma_f32 v12, v10, v18, -v12
	v_mul_f32_e32 v10, v10, v19
	v_sub_f32_e32 v7, v7, v17
	v_fmac_f32_e32 v10, v11, v18
	v_sub_f32_e32 v7, v7, v10
	s_waitcnt lgkmcnt(0)
	v_mul_f32_e32 v10, v9, v3
	v_mul_f32_e32 v3, v8, v3
	v_cmp_gt_f32_e32 vcc, 0, v5
	v_fma_f32 v10, v8, v2, -v10
	v_fmac_f32_e32 v3, v9, v2
	v_cndmask_b32_e64 v2, v5, -v5, vcc
	v_cmp_gt_f32_e32 vcc, 0, v4
	v_sub_f32_e32 v7, v7, v3
	v_cndmask_b32_e64 v3, v4, -v4, vcc
	v_sub_f32_e32 v6, v6, v12
	v_cmp_ngt_f32_e32 vcc, v3, v2
	v_sub_f32_e32 v6, v6, v10
	s_cbranch_vccz .LBB172_169
; %bb.168:                              ;   in Loop: Header=BB172_152 Depth=1
	v_div_scale_f32 v2, s[0:1], v5, v5, v4
	v_rcp_f32_e32 v3, v2
	v_div_scale_f32 v8, vcc, v4, v5, v4
	v_fma_f32 v9, -v2, v3, 1.0
	v_fmac_f32_e32 v3, v9, v3
	v_mul_f32_e32 v9, v8, v3
	v_fma_f32 v10, -v2, v9, v8
	v_fmac_f32_e32 v9, v10, v3
	v_fma_f32 v2, -v2, v9, v8
	v_div_fmas_f32 v2, v2, v3, v9
	v_div_fixup_f32 v3, v2, v5, v4
	v_fma_f32 v2, v4, v3, v5
	v_div_scale_f32 v8, s[0:1], v2, v2, 1.0
	v_rcp_f32_e32 v9, v8
	v_fma_f32 v10, -v8, v9, 1.0
	v_fmac_f32_e32 v9, v10, v9
	v_div_scale_f32 v10, vcc, 1.0, v2, 1.0
	v_mul_f32_e32 v11, v10, v9
	v_fma_f32 v12, -v8, v11, v10
	v_fmac_f32_e32 v11, v12, v9
	v_fma_f32 v8, -v8, v11, v10
	v_div_fmas_f32 v8, v8, v9, v11
	v_div_fixup_f32 v8, v8, v2, 1.0
	v_fma_f32 v2, v3, v6, v7
	v_fma_f32 v3, v3, v7, -v6
	v_mul_f32_e32 v2, v2, v8
	v_mul_f32_e32 v3, v3, v8
	s_cbranch_execz .LBB172_170
	s_branch .LBB172_171
.LBB172_169:                            ;   in Loop: Header=BB172_152 Depth=1
                                        ; implicit-def: $vgpr3
.LBB172_170:                            ;   in Loop: Header=BB172_152 Depth=1
	v_div_scale_f32 v2, s[0:1], v4, v4, v5
	v_rcp_f32_e32 v3, v2
	v_div_scale_f32 v8, vcc, v5, v4, v5
	v_fma_f32 v9, -v2, v3, 1.0
	v_fmac_f32_e32 v3, v9, v3
	v_mul_f32_e32 v9, v8, v3
	v_fma_f32 v10, -v2, v9, v8
	v_fmac_f32_e32 v9, v10, v3
	v_fma_f32 v2, -v2, v9, v8
	v_div_fmas_f32 v2, v2, v3, v9
	v_div_fixup_f32 v3, v2, v4, v5
	v_fmac_f32_e32 v4, v5, v3
	v_div_scale_f32 v2, s[0:1], v4, v4, 1.0
	v_rcp_f32_e32 v5, v2
	v_fma_f32 v8, -v2, v5, 1.0
	v_fmac_f32_e32 v5, v8, v5
	v_div_scale_f32 v8, vcc, 1.0, v4, 1.0
	v_mul_f32_e32 v9, v8, v5
	v_fma_f32 v10, -v2, v9, v8
	v_fmac_f32_e32 v9, v10, v5
	v_fma_f32 v2, -v2, v9, v8
	v_div_fmas_f32 v2, v2, v5, v9
	v_div_fixup_f32 v4, v2, v4, 1.0
	v_fma_f32 v2, v3, v7, v6
	v_fma_f32 v3, -v3, v6, v7
	v_mul_f32_e32 v2, v2, v4
	v_mul_f32_e32 v3, v3, v4
.LBB172_171:                            ;   in Loop: Header=BB172_152 Depth=1
	s_add_i32 s4, s3, 4
	s_add_i32 s0, s3, 7
	s_addk_i32 s2, 0x400
	s_cmp_ge_i32 s0, s33
	ds_write_b64 v14, v[2:3]
	s_cbranch_scc1 .LBB172_173
; %bb.172:                              ;   in Loop: Header=BB172_152 Depth=1
	s_mov_b32 s3, s4
	s_branch .LBB172_152
.LBB172_173:
	s_cmp_ge_i32 s4, s33
	s_cbranch_scc1 .LBB172_188
; %bb.174:
	v_mov_b32_e32 v1, 0x2000
	s_add_i32 s2, s4, -1
	v_lshl_or_b32 v1, v0, 3, v1
	s_lshl_b32 s3, s4, 8
	s_mov_b32 s5, 0
	v_lshlrev_b32_e32 v8, 3, v0
	s_mov_b32 s6, s4
	s_branch .LBB172_176
.LBB172_175:                            ;   in Loop: Header=BB172_176 Depth=1
	s_add_i32 s4, s4, 1
	s_add_i32 s5, s5, 1
	s_addk_i32 s3, 0x100
	v_add_u16_e64 v2, s6, 1
	s_cmp_ge_i32 s4, s33
	v_readfirstlane_b32 s6, v2
	ds_write_b64 v9, v[6:7]
	s_cbranch_scc1 .LBB172_188
.LBB172_176:                            ; =>This Loop Header: Depth=1
                                        ;     Child Loop BB172_179 Depth 2
                                        ;     Child Loop BB172_183 Depth 2
	v_lshl_or_b32 v4, s4, 8, v8
	ds_read_b64 v[2:3], v4 offset:8192
	s_cmp_eq_u32 s4, 0
	s_cbranch_scc1 .LBB172_184
; %bb.177:                              ;   in Loop: Header=BB172_176 Depth=1
	s_add_i32 s0, s2, s5
	s_cmp_lt_u32 s0, 7
	s_cbranch_scc1 .LBB172_181
; %bb.178:                              ;   in Loop: Header=BB172_176 Depth=1
	s_and_b32 s0, s4, -8
	s_mov_b32 s1, 0
	s_mov_b32 s7, s3
	v_mov_b32_e32 v5, v1
.LBB172_179:                            ;   Parent Loop BB172_176 Depth=1
                                        ; =>  This Inner Loop Header: Depth=2
	ds_read2_b64 v[10:13], v5 offset1:32
	v_mov_b32_e32 v6, s7
	ds_read2_b64 v[14:17], v5 offset0:64 offset1:96
	ds_read2_b64 v[18:21], v5 offset0:128 offset1:160
	;; [unrolled: 1-line block ×3, first 2 shown]
	ds_read_b128 v[26:29], v6
	ds_read_b128 v[30:33], v6 offset:16
	ds_read_b128 v[34:37], v6 offset:32
	;; [unrolled: 1-line block ×3, first 2 shown]
	s_add_i32 s1, s1, 8
	s_waitcnt lgkmcnt(3)
	v_pk_mul_f32 v[6:7], v[26:27], v[10:11] op_sel:[0,1]
	v_pk_mul_f32 v[42:43], v[28:29], v[12:13] op_sel:[0,1]
	v_pk_fma_f32 v[56:57], v[26:27], v[10:11], v[6:7] op_sel:[0,0,1] op_sel_hi:[1,0,0]
	v_pk_fma_f32 v[6:7], v[26:27], v[10:11], v[6:7] op_sel:[0,0,1] op_sel_hi:[1,0,0] neg_lo:[0,0,1] neg_hi:[0,0,1]
	s_waitcnt lgkmcnt(2)
	v_pk_mul_f32 v[44:45], v[30:31], v[14:15] op_sel:[0,1]
	v_pk_fma_f32 v[10:11], v[28:29], v[12:13], v[42:43] op_sel:[0,0,1] op_sel_hi:[1,0,0]
	v_pk_fma_f32 v[12:13], v[28:29], v[12:13], v[42:43] op_sel:[0,0,1] op_sel_hi:[1,0,0] neg_lo:[0,0,1] neg_hi:[0,0,1]
	v_mov_b32_e32 v7, v57
	v_pk_mul_f32 v[46:47], v[32:33], v[16:17] op_sel:[0,1]
	v_pk_fma_f32 v[26:27], v[30:31], v[14:15], v[44:45] op_sel:[0,0,1] op_sel_hi:[1,0,0]
	v_pk_fma_f32 v[14:15], v[30:31], v[14:15], v[44:45] op_sel:[0,0,1] op_sel_hi:[1,0,0] neg_lo:[0,0,1] neg_hi:[0,0,1]
	v_mov_b32_e32 v13, v11
	v_pk_add_f32 v[2:3], v[2:3], v[6:7] neg_lo:[0,1] neg_hi:[0,1]
	s_waitcnt lgkmcnt(1)
	v_pk_mul_f32 v[48:49], v[34:35], v[18:19] op_sel:[0,1]
	v_pk_fma_f32 v[28:29], v[32:33], v[16:17], v[46:47] op_sel:[0,0,1] op_sel_hi:[1,0,0]
	v_pk_fma_f32 v[16:17], v[32:33], v[16:17], v[46:47] op_sel:[0,0,1] op_sel_hi:[1,0,0] neg_lo:[0,0,1] neg_hi:[0,0,1]
	v_mov_b32_e32 v15, v27
	v_pk_add_f32 v[2:3], v[2:3], v[12:13] neg_lo:[0,1] neg_hi:[0,1]
	v_pk_mul_f32 v[50:51], v[36:37], v[20:21] op_sel:[0,1]
	v_pk_fma_f32 v[30:31], v[34:35], v[18:19], v[48:49] op_sel:[0,0,1] op_sel_hi:[1,0,0]
	v_pk_fma_f32 v[18:19], v[34:35], v[18:19], v[48:49] op_sel:[0,0,1] op_sel_hi:[1,0,0] neg_lo:[0,0,1] neg_hi:[0,0,1]
	v_mov_b32_e32 v17, v29
	v_pk_add_f32 v[2:3], v[2:3], v[14:15] neg_lo:[0,1] neg_hi:[0,1]
	s_waitcnt lgkmcnt(0)
	v_pk_mul_f32 v[52:53], v[38:39], v[22:23] op_sel:[0,1]
	v_pk_fma_f32 v[32:33], v[36:37], v[20:21], v[50:51] op_sel:[0,0,1] op_sel_hi:[1,0,0]
	v_pk_fma_f32 v[20:21], v[36:37], v[20:21], v[50:51] op_sel:[0,0,1] op_sel_hi:[1,0,0] neg_lo:[0,0,1] neg_hi:[0,0,1]
	v_mov_b32_e32 v19, v31
	v_pk_add_f32 v[2:3], v[2:3], v[16:17] neg_lo:[0,1] neg_hi:[0,1]
	v_pk_mul_f32 v[54:55], v[40:41], v[24:25] op_sel:[0,1]
	v_pk_fma_f32 v[34:35], v[38:39], v[22:23], v[52:53] op_sel:[0,0,1] op_sel_hi:[1,0,0]
	v_pk_fma_f32 v[22:23], v[38:39], v[22:23], v[52:53] op_sel:[0,0,1] op_sel_hi:[1,0,0] neg_lo:[0,0,1] neg_hi:[0,0,1]
	v_mov_b32_e32 v21, v33
	v_pk_add_f32 v[2:3], v[2:3], v[18:19] neg_lo:[0,1] neg_hi:[0,1]
	v_pk_fma_f32 v[36:37], v[40:41], v[24:25], v[54:55] op_sel:[0,0,1] op_sel_hi:[1,0,0]
	v_pk_fma_f32 v[24:25], v[40:41], v[24:25], v[54:55] op_sel:[0,0,1] op_sel_hi:[1,0,0] neg_lo:[0,0,1] neg_hi:[0,0,1]
	v_mov_b32_e32 v23, v35
	v_pk_add_f32 v[2:3], v[2:3], v[20:21] neg_lo:[0,1] neg_hi:[0,1]
	s_add_i32 s7, s7, 64
	v_mov_b32_e32 v25, v37
	v_pk_add_f32 v[2:3], v[2:3], v[22:23] neg_lo:[0,1] neg_hi:[0,1]
	v_add_u32_e32 v5, 0x800, v5
	s_cmp_eq_u32 s0, s1
	v_pk_add_f32 v[2:3], v[2:3], v[24:25] neg_lo:[0,1] neg_hi:[0,1]
	s_cbranch_scc0 .LBB172_179
; %bb.180:                              ;   in Loop: Header=BB172_176 Depth=1
	s_and_b32 s1, s4, 7
	s_cmp_eq_u32 s1, 0
	s_cbranch_scc0 .LBB172_182
	s_branch .LBB172_184
.LBB172_181:                            ;   in Loop: Header=BB172_176 Depth=1
	s_mov_b32 s0, 0
	s_and_b32 s1, s4, 7
	s_cmp_eq_u32 s1, 0
	s_cbranch_scc1 .LBB172_184
.LBB172_182:                            ;   in Loop: Header=BB172_176 Depth=1
	s_and_b32 s1, s6, 7
	s_lshl_b32 s7, s0, 3
	v_lshl_add_u32 v5, s0, 8, v1
.LBB172_183:                            ;   Parent Loop BB172_176 Depth=1
                                        ; =>  This Inner Loop Header: Depth=2
	s_add_i32 s0, s3, s7
	v_mov_b32_e32 v9, s0
	ds_read_b64 v[6:7], v5
	ds_read_b64 v[10:11], v9
	s_add_i32 s7, s7, 8
	s_add_i32 s1, s1, -1
	v_add_u32_e32 v5, 0x100, v5
	s_cmp_lg_u32 s1, 0
	s_waitcnt lgkmcnt(0)
	v_pk_mul_f32 v[12:13], v[10:11], v[6:7] op_sel:[0,1]
	v_pk_fma_f32 v[14:15], v[10:11], v[6:7], v[12:13] op_sel:[0,0,1] op_sel_hi:[1,0,0]
	v_pk_fma_f32 v[6:7], v[10:11], v[6:7], v[12:13] op_sel:[0,0,1] op_sel_hi:[1,0,0] neg_lo:[0,0,1] neg_hi:[0,0,1]
	v_mov_b32_e32 v7, v15
	v_pk_add_f32 v[2:3], v[2:3], v[6:7] neg_lo:[0,1] neg_hi:[0,1]
	s_cbranch_scc1 .LBB172_183
.LBB172_184:                            ;   in Loop: Header=BB172_176 Depth=1
	s_mul_i32 s0, s4, 0x108
	v_add_u32_e32 v9, 0x2000, v4
	v_mov_b32_e32 v4, s0
	ds_read_b64 v[4:5], v4
	s_waitcnt lgkmcnt(0)
	v_cmp_gt_f32_e32 vcc, 0, v5
	v_cndmask_b32_e64 v6, v5, -v5, vcc
	v_cmp_gt_f32_e32 vcc, 0, v4
	v_cndmask_b32_e64 v7, v4, -v4, vcc
	v_cmp_ngt_f32_e32 vcc, v7, v6
	s_cbranch_vccz .LBB172_186
; %bb.185:                              ;   in Loop: Header=BB172_176 Depth=1
	v_div_scale_f32 v6, s[0:1], v5, v5, v4
	v_rcp_f32_e32 v7, v6
	v_div_scale_f32 v10, vcc, v4, v5, v4
	v_fma_f32 v11, -v6, v7, 1.0
	v_fmac_f32_e32 v7, v11, v7
	v_mul_f32_e32 v11, v10, v7
	v_fma_f32 v12, -v6, v11, v10
	v_fmac_f32_e32 v11, v12, v7
	v_fma_f32 v6, -v6, v11, v10
	v_div_fmas_f32 v6, v6, v7, v11
	v_div_fixup_f32 v6, v6, v5, v4
	v_fma_f32 v7, v4, v6, v5
	v_div_scale_f32 v10, s[0:1], v7, v7, 1.0
	v_rcp_f32_e32 v11, v10
	v_fma_f32 v12, -v10, v11, 1.0
	v_fmac_f32_e32 v11, v12, v11
	v_div_scale_f32 v12, vcc, 1.0, v7, 1.0
	v_mul_f32_e32 v13, v12, v11
	v_fma_f32 v14, -v10, v13, v12
	v_fmac_f32_e32 v13, v14, v11
	v_fma_f32 v10, -v10, v13, v12
	v_div_fmas_f32 v10, v10, v11, v13
	v_div_fixup_f32 v10, v10, v7, 1.0
	v_pk_fma_f32 v[12:13], v[2:3], v[6:7], v[2:3] op_sel:[0,0,1] op_sel_hi:[1,0,0] neg_lo:[0,0,1] neg_hi:[0,0,1]
	v_pk_fma_f32 v[6:7], v[2:3], v[6:7], v[2:3] op_sel:[0,0,1] op_sel_hi:[1,0,0]
	v_mov_b32_e32 v7, v13
	v_pk_mul_f32 v[6:7], v[6:7], v[10:11] op_sel_hi:[1,0]
	s_cbranch_execnz .LBB172_175
	s_branch .LBB172_187
.LBB172_186:                            ;   in Loop: Header=BB172_176 Depth=1
                                        ; implicit-def: $vgpr6_vgpr7
.LBB172_187:                            ;   in Loop: Header=BB172_176 Depth=1
	v_div_scale_f32 v6, s[0:1], v4, v4, v5
	v_rcp_f32_e32 v7, v6
	v_div_scale_f32 v10, vcc, v5, v4, v5
	v_fma_f32 v11, -v6, v7, 1.0
	v_fmac_f32_e32 v7, v11, v7
	v_mul_f32_e32 v11, v10, v7
	v_fma_f32 v12, -v6, v11, v10
	v_fmac_f32_e32 v11, v12, v7
	v_fma_f32 v6, -v6, v11, v10
	v_div_fmas_f32 v6, v6, v7, v11
	v_div_fixup_f32 v6, v6, v4, v5
	v_fmac_f32_e32 v4, v5, v6
	v_div_scale_f32 v5, s[0:1], v4, v4, 1.0
	v_rcp_f32_e32 v7, v5
	v_fma_f32 v10, -v5, v7, 1.0
	v_fmac_f32_e32 v7, v10, v7
	v_div_scale_f32 v10, vcc, 1.0, v4, 1.0
	v_mul_f32_e32 v11, v10, v7
	v_fma_f32 v12, -v5, v11, v10
	v_fmac_f32_e32 v11, v12, v7
	v_fma_f32 v5, -v5, v11, v10
	v_div_fmas_f32 v5, v5, v7, v11
	v_pk_mul_f32 v[6:7], v[2:3], v[6:7] op_sel_hi:[1,0]
	v_pk_add_f32 v[10:11], v[2:3], v[6:7] op_sel:[0,1] op_sel_hi:[1,0] neg_lo:[0,1] neg_hi:[0,1]
	v_pk_add_f32 v[2:3], v[2:3], v[6:7] op_sel:[0,1] op_sel_hi:[1,0]
	v_div_fixup_f32 v4, v5, v4, 1.0
	v_mov_b32_e32 v3, v11
	v_pk_mul_f32 v[6:7], v[2:3], v[4:5] op_sel_hi:[1,0]
	s_branch .LBB172_175
.LBB172_188:
	s_and_saveexec_b64 s[0:1], s[28:29]
	s_cbranch_execz .LBB172_195
; %bb.189:
	s_ashr_i32 s15, s14, 31
	s_mov_b32 s6, 0
	s_cmp_lt_u32 s16, 4
	v_lshlrev_b32_e32 v4, 3, v0
	s_cbranch_scc1 .LBB172_192
; %bb.190:
	v_mov_b32_e32 v1, s49
	v_add_co_u32_e32 v2, vcc, s48, v4
	v_addc_co_u32_e32 v3, vcc, 0, v1, vcc
	v_mov_b32_e32 v1, 0x2000
	s_mul_hi_i32 s9, s14, 24
	s_lshl_b64 s[0:1], s[14:15], 5
	s_lshl_b64 s[2:3], s[14:15], 4
	;; [unrolled: 1-line block ×3, first 2 shown]
	s_and_b32 s6, s16, 0x7ffffffc
	v_lshl_or_b32 v0, v0, 3, v1
	s_mul_i32 s7, s14, 24
	s_mov_b32 s8, 0
	v_mov_b32_e32 v1, s5
	v_mov_b32_e32 v5, s3
	;; [unrolled: 1-line block ×4, first 2 shown]
.LBB172_191:                            ; =>This Inner Loop Header: Depth=1
	v_add_co_u32_e32 v16, vcc, s4, v2
	ds_read2_b64 v[8:11], v0 offset1:32
	v_addc_co_u32_e32 v17, vcc, v3, v1, vcc
	v_add_co_u32_e32 v18, vcc, s2, v2
	v_addc_co_u32_e32 v19, vcc, v3, v5, vcc
	ds_read2_b64 v[12:15], v0 offset0:64 offset1:96
	v_add_co_u32_e32 v20, vcc, s7, v2
	v_addc_co_u32_e32 v21, vcc, v3, v6, vcc
	s_add_i32 s8, s8, 4
	s_waitcnt lgkmcnt(1)
	global_store_dwordx2 v[2:3], v[8:9], off
	global_store_dwordx2 v[16:17], v[10:11], off
	s_waitcnt lgkmcnt(0)
	global_store_dwordx2 v[18:19], v[12:13], off
	global_store_dwordx2 v[20:21], v[14:15], off
	v_add_co_u32_e32 v2, vcc, s0, v2
	v_add_u32_e32 v0, 0x400, v0
	s_cmp_lg_u32 s6, s8
	v_addc_co_u32_e32 v3, vcc, v3, v7, vcc
	s_cbranch_scc1 .LBB172_191
.LBB172_192:
	s_and_b32 s2, s16, 3
	s_cmp_eq_u32 s2, 0
	s_cbranch_scc1 .LBB172_195
; %bb.193:
	s_mul_hi_i32 s1, s14, s6
	s_mul_i32 s0, s14, s6
	s_lshl_b64 s[0:1], s[0:1], 3
	s_add_u32 s0, s24, s0
	s_addc_u32 s1, s25, s1
	s_add_u32 s0, s0, s26
	s_addc_u32 s1, s1, s27
	;; [unrolled: 2-line block ×4, first 2 shown]
	v_mov_b32_e32 v1, s1
	v_add_co_u32_e32 v0, vcc, s0, v4
	s_lshl_b64 s[0:1], s[14:15], 3
	v_lshl_or_b32 v2, s6, 8, v4
	v_addc_co_u32_e32 v1, vcc, 0, v1, vcc
	v_add_u32_e32 v2, 0x2000, v2
	v_mov_b32_e32 v3, s1
.LBB172_194:                            ; =>This Inner Loop Header: Depth=1
	ds_read_b64 v[4:5], v2
	s_add_i32 s2, s2, -1
	v_add_u32_e32 v2, 0x100, v2
	s_cmp_lg_u32 s2, 0
	s_waitcnt lgkmcnt(0)
	global_store_dwordx2 v[0:1], v[4:5], off
	v_add_co_u32_e32 v0, vcc, s0, v0
	v_addc_co_u32_e32 v1, vcc, v1, v3, vcc
	s_cbranch_scc1 .LBB172_194
.LBB172_195:
	s_endpgm
	.section	.rodata,"a",@progbits
	.p2align	6, 0x0
	.amdhsa_kernel _ZL31rocblas_trsm_small_right_deviceI19rocblas_complex_numIfES1_PKS1_PS1_Li32EEv13rocblas_fill_18rocblas_operation_17rocblas_diagonal_iiT0_T1_lilT2_lili
		.amdhsa_group_segment_fixed_size 16384
		.amdhsa_private_segment_fixed_size 0
		.amdhsa_kernarg_size 360
		.amdhsa_user_sgpr_count 6
		.amdhsa_user_sgpr_private_segment_buffer 1
		.amdhsa_user_sgpr_dispatch_ptr 0
		.amdhsa_user_sgpr_queue_ptr 0
		.amdhsa_user_sgpr_kernarg_segment_ptr 1
		.amdhsa_user_sgpr_dispatch_id 0
		.amdhsa_user_sgpr_flat_scratch_init 0
		.amdhsa_user_sgpr_kernarg_preload_length 0
		.amdhsa_user_sgpr_kernarg_preload_offset 0
		.amdhsa_user_sgpr_private_segment_size 0
		.amdhsa_uses_dynamic_stack 0
		.amdhsa_system_sgpr_private_segment_wavefront_offset 0
		.amdhsa_system_sgpr_workgroup_id_x 1
		.amdhsa_system_sgpr_workgroup_id_y 0
		.amdhsa_system_sgpr_workgroup_id_z 1
		.amdhsa_system_sgpr_workgroup_info 0
		.amdhsa_system_vgpr_workitem_id 0
		.amdhsa_next_free_vgpr 58
		.amdhsa_next_free_sgpr 60
		.amdhsa_accum_offset 60
		.amdhsa_reserve_vcc 1
		.amdhsa_reserve_flat_scratch 0
		.amdhsa_float_round_mode_32 0
		.amdhsa_float_round_mode_16_64 0
		.amdhsa_float_denorm_mode_32 3
		.amdhsa_float_denorm_mode_16_64 3
		.amdhsa_dx10_clamp 1
		.amdhsa_ieee_mode 1
		.amdhsa_fp16_overflow 0
		.amdhsa_tg_split 0
		.amdhsa_exception_fp_ieee_invalid_op 0
		.amdhsa_exception_fp_denorm_src 0
		.amdhsa_exception_fp_ieee_div_zero 0
		.amdhsa_exception_fp_ieee_overflow 0
		.amdhsa_exception_fp_ieee_underflow 0
		.amdhsa_exception_fp_ieee_inexact 0
		.amdhsa_exception_int_div_zero 0
	.end_amdhsa_kernel
	.section	.text._ZL31rocblas_trsm_small_right_deviceI19rocblas_complex_numIfES1_PKS1_PS1_Li32EEv13rocblas_fill_18rocblas_operation_17rocblas_diagonal_iiT0_T1_lilT2_lili,"axG",@progbits,_ZL31rocblas_trsm_small_right_deviceI19rocblas_complex_numIfES1_PKS1_PS1_Li32EEv13rocblas_fill_18rocblas_operation_17rocblas_diagonal_iiT0_T1_lilT2_lili,comdat
.Lfunc_end172:
	.size	_ZL31rocblas_trsm_small_right_deviceI19rocblas_complex_numIfES1_PKS1_PS1_Li32EEv13rocblas_fill_18rocblas_operation_17rocblas_diagonal_iiT0_T1_lilT2_lili, .Lfunc_end172-_ZL31rocblas_trsm_small_right_deviceI19rocblas_complex_numIfES1_PKS1_PS1_Li32EEv13rocblas_fill_18rocblas_operation_17rocblas_diagonal_iiT0_T1_lilT2_lili
                                        ; -- End function
	.section	.AMDGPU.csdata,"",@progbits
; Kernel info:
; codeLenInByte = 15772
; NumSgprs: 64
; NumVgprs: 58
; NumAgprs: 0
; TotalNumVgprs: 58
; ScratchSize: 0
; MemoryBound: 0
; FloatMode: 240
; IeeeMode: 1
; LDSByteSize: 16384 bytes/workgroup (compile time only)
; SGPRBlocks: 7
; VGPRBlocks: 7
; NumSGPRsForWavesPerEU: 64
; NumVGPRsForWavesPerEU: 58
; AccumOffset: 60
; Occupancy: 1
; WaveLimiterHint : 0
; COMPUTE_PGM_RSRC2:SCRATCH_EN: 0
; COMPUTE_PGM_RSRC2:USER_SGPR: 6
; COMPUTE_PGM_RSRC2:TRAP_HANDLER: 0
; COMPUTE_PGM_RSRC2:TGID_X_EN: 1
; COMPUTE_PGM_RSRC2:TGID_Y_EN: 0
; COMPUTE_PGM_RSRC2:TGID_Z_EN: 1
; COMPUTE_PGM_RSRC2:TIDIG_COMP_CNT: 0
; COMPUTE_PGM_RSRC3_GFX90A:ACCUM_OFFSET: 14
; COMPUTE_PGM_RSRC3_GFX90A:TG_SPLIT: 0
	.section	.text._ZL38rocblas_trsm_small_left_device_sharedBILi64ELi32ELb0E19rocblas_complex_numIfES1_PKS1_PS1_Ev13rocblas_fill_18rocblas_operation_17rocblas_diagonal_iiT3_T4_lilT5_lili,"axG",@progbits,_ZL38rocblas_trsm_small_left_device_sharedBILi64ELi32ELb0E19rocblas_complex_numIfES1_PKS1_PS1_Ev13rocblas_fill_18rocblas_operation_17rocblas_diagonal_iiT3_T4_lilT5_lili,comdat
	.globl	_ZL38rocblas_trsm_small_left_device_sharedBILi64ELi32ELb0E19rocblas_complex_numIfES1_PKS1_PS1_Ev13rocblas_fill_18rocblas_operation_17rocblas_diagonal_iiT3_T4_lilT5_lili ; -- Begin function _ZL38rocblas_trsm_small_left_device_sharedBILi64ELi32ELb0E19rocblas_complex_numIfES1_PKS1_PS1_Ev13rocblas_fill_18rocblas_operation_17rocblas_diagonal_iiT3_T4_lilT5_lili
	.p2align	8
	.type	_ZL38rocblas_trsm_small_left_device_sharedBILi64ELi32ELb0E19rocblas_complex_numIfES1_PKS1_PS1_Ev13rocblas_fill_18rocblas_operation_17rocblas_diagonal_iiT3_T4_lilT5_lili,@function
_ZL38rocblas_trsm_small_left_device_sharedBILi64ELi32ELb0E19rocblas_complex_numIfES1_PKS1_PS1_Ev13rocblas_fill_18rocblas_operation_17rocblas_diagonal_iiT3_T4_lilT5_lili: ; @_ZL38rocblas_trsm_small_left_device_sharedBILi64ELi32ELb0E19rocblas_complex_numIfES1_PKS1_PS1_Ev13rocblas_fill_18rocblas_operation_17rocblas_diagonal_iiT3_T4_lilT5_lili
; %bb.0:
	s_add_u32 s0, s0, s10
	s_load_dwordx4 s[20:23], s[4:5], 0x4
	s_load_dwordx2 s[30:31], s[4:5], 0x14
	s_load_dwordx4 s[16:19], s[4:5], 0x38
	s_load_dwordx2 s[24:25], s[4:5], 0x48
	s_load_dword s42, s[4:5], 0x68
	s_addc_u32 s1, s1, 0
	s_waitcnt lgkmcnt(0)
	s_min_i32 s33, s22, 64
	s_mov_b32 s43, 0
	s_add_i32 s52, s33, -1
	v_cmp_gt_i32_e32 vcc, s33, v0
	s_and_saveexec_b64 s[26:27], vcc
	s_cbranch_execz .LBB173_35
; %bb.1:
	s_load_dword s28, s[4:5], 0x30
	s_load_dwordx4 s[12:15], s[4:5], 0x20
	s_mul_i32 s6, s9, s17
	s_mul_hi_u32 s7, s9, s16
	s_mul_i32 s16, s9, s16
	s_waitcnt lgkmcnt(0)
	s_ashr_i32 s29, s28, 31
	s_cmpk_lg_i32 s20, 0x71
	s_cselect_b64 s[34:35], -1, 0
	s_add_i32 s17, s7, s6
	v_cndmask_b32_e64 v1, 0, 1, s[34:35]
	s_cmp_lt_u32 s52, 3
	v_cmp_ne_u32_e64 s[6:7], 1, v1
	s_cbranch_scc1 .LBB173_20
; %bb.2:
	s_lshl_b64 s[10:11], s[16:17], 3
	s_add_u32 s36, s12, s10
	s_addc_u32 s37, s13, s11
	s_lshl_b64 s[10:11], s[14:15], 3
	s_add_u32 s10, s36, s10
	s_addc_u32 s11, s37, s11
	v_lshlrev_b32_e32 v1, 3, v0
	v_mov_b32_e32 v3, s11
	v_add_co_u32_e32 v2, vcc, s10, v1
	s_mul_hi_i32 s10, s28, 24
	s_lshl_b64 s[36:37], s[28:29], 5
	s_lshl_b64 s[38:39], s[28:29], 4
	;; [unrolled: 1-line block ×3, first 2 shown]
	v_addc_co_u32_e32 v3, vcc, 0, v3, vcc
	s_and_b32 s43, s33, -4
	s_mul_i32 s44, s28, 24
	s_mov_b32 s45, 0
	v_mov_b32_e32 v8, s41
	v_mov_b32_e32 v9, s39
	v_mov_b32_e32 v10, s10
	v_mov_b32_e32 v11, s37
	s_branch .LBB173_4
.LBB173_3:                              ;   in Loop: Header=BB173_4 Depth=1
	global_load_dword v4, v[6:7], off
	s_add_i32 s45, s45, 4
	v_add_co_u32_e32 v2, vcc, s36, v2
	v_addc_co_u32_e32 v3, vcc, v3, v11, vcc
	s_cmp_eq_u32 s43, s45
	s_waitcnt vmcnt(0)
	ds_write_b64 v1, v[4:5] offset:1536
	v_add_u32_e32 v1, 0x800, v1
	s_cbranch_scc1 .LBB173_20
.LBB173_4:                              ; =>This Inner Loop Header: Depth=1
	s_and_b64 vcc, exec, s[34:35]
	s_cbranch_vccz .LBB173_6
; %bb.5:                                ;   in Loop: Header=BB173_4 Depth=1
	global_load_dword v5, v[2:3], off offset:4
	s_cbranch_execz .LBB173_7
	s_branch .LBB173_8
.LBB173_6:                              ;   in Loop: Header=BB173_4 Depth=1
                                        ; implicit-def: $vgpr5
.LBB173_7:                              ;   in Loop: Header=BB173_4 Depth=1
	global_load_dword v4, v[2:3], off offset:4
	s_waitcnt vmcnt(0)
	v_xor_b32_e32 v5, 0x80000000, v4
.LBB173_8:                              ;   in Loop: Header=BB173_4 Depth=1
	global_load_dword v4, v[2:3], off
	v_add_co_u32_e64 v6, s[10:11], s40, v2
	s_and_b64 vcc, exec, s[6:7]
	v_addc_co_u32_e64 v7, s[10:11], v3, v8, s[10:11]
	s_waitcnt vmcnt(0)
	ds_write_b64 v1, v[4:5]
	s_cbranch_vccnz .LBB173_10
; %bb.9:                                ;   in Loop: Header=BB173_4 Depth=1
	global_load_dword v5, v[6:7], off offset:4
	s_cbranch_execz .LBB173_11
	s_branch .LBB173_12
.LBB173_10:                             ;   in Loop: Header=BB173_4 Depth=1
                                        ; implicit-def: $vgpr5
.LBB173_11:                             ;   in Loop: Header=BB173_4 Depth=1
	global_load_dword v4, v[6:7], off offset:4
	s_waitcnt vmcnt(0)
	v_xor_b32_e32 v5, 0x80000000, v4
.LBB173_12:                             ;   in Loop: Header=BB173_4 Depth=1
	global_load_dword v4, v[6:7], off
	v_add_co_u32_e64 v6, s[10:11], s38, v2
	s_and_b64 vcc, exec, s[6:7]
	v_addc_co_u32_e64 v7, s[10:11], v3, v9, s[10:11]
	s_waitcnt vmcnt(0)
	ds_write_b64 v1, v[4:5] offset:512
	s_cbranch_vccnz .LBB173_14
; %bb.13:                               ;   in Loop: Header=BB173_4 Depth=1
	global_load_dword v5, v[6:7], off offset:4
	s_cbranch_execz .LBB173_15
	s_branch .LBB173_16
.LBB173_14:                             ;   in Loop: Header=BB173_4 Depth=1
                                        ; implicit-def: $vgpr5
.LBB173_15:                             ;   in Loop: Header=BB173_4 Depth=1
	global_load_dword v4, v[6:7], off offset:4
	s_waitcnt vmcnt(0)
	v_xor_b32_e32 v5, 0x80000000, v4
.LBB173_16:                             ;   in Loop: Header=BB173_4 Depth=1
	global_load_dword v4, v[6:7], off
	v_add_co_u32_e64 v6, s[10:11], s44, v2
	s_and_b64 vcc, exec, s[6:7]
	v_addc_co_u32_e64 v7, s[10:11], v3, v10, s[10:11]
	s_waitcnt vmcnt(0)
	ds_write_b64 v1, v[4:5] offset:1024
	s_cbranch_vccnz .LBB173_18
; %bb.17:                               ;   in Loop: Header=BB173_4 Depth=1
	global_load_dword v5, v[6:7], off offset:4
	s_cbranch_execnz .LBB173_3
	s_branch .LBB173_19
.LBB173_18:                             ;   in Loop: Header=BB173_4 Depth=1
                                        ; implicit-def: $vgpr5
.LBB173_19:                             ;   in Loop: Header=BB173_4 Depth=1
	global_load_dword v4, v[6:7], off offset:4
	s_waitcnt vmcnt(0)
	v_xor_b32_e32 v5, 0x80000000, v4
	s_branch .LBB173_3
.LBB173_20:
	s_and_b32 s34, s33, 3
	s_cmp_eq_u32 s34, 0
	s_cbranch_scc1 .LBB173_27
; %bb.21:
	s_lshl_b64 s[10:11], s[16:17], 3
	s_mul_i32 s16, s29, s43
	s_mul_hi_u32 s17, s28, s43
	s_add_i32 s17, s17, s16
	s_mul_i32 s16, s28, s43
	s_lshl_b64 s[16:17], s[16:17], 3
	s_add_u32 s16, s10, s16
	s_addc_u32 s17, s11, s17
	s_lshl_b64 s[10:11], s[14:15], 3
	s_add_u32 s10, s16, s10
	s_addc_u32 s11, s17, s11
	s_add_u32 s10, s12, s10
	v_lshlrev_b32_e32 v2, 3, v0
	s_addc_u32 s11, s13, s11
	v_lshl_or_b32 v1, s43, 9, v2
	v_mov_b32_e32 v3, s11
	v_add_co_u32_e32 v2, vcc, s10, v2
	v_addc_co_u32_e32 v3, vcc, 0, v3, vcc
	v_add_co_u32_e32 v2, vcc, 4, v2
	s_lshl_b64 s[10:11], s[28:29], 3
	v_addc_co_u32_e32 v3, vcc, 0, v3, vcc
	v_mov_b32_e32 v6, s11
	s_branch .LBB173_23
.LBB173_22:                             ;   in Loop: Header=BB173_23 Depth=1
	global_load_dword v4, v[2:3], off offset:-4
	s_add_i32 s34, s34, -1
	v_add_co_u32_e32 v2, vcc, s10, v2
	s_cmp_lg_u32 s34, 0
	v_addc_co_u32_e32 v3, vcc, v3, v6, vcc
	s_waitcnt vmcnt(0)
	ds_write_b64 v1, v[4:5]
	v_add_u32_e32 v1, 0x200, v1
	s_cbranch_scc0 .LBB173_27
.LBB173_23:                             ; =>This Inner Loop Header: Depth=1
	s_and_b64 vcc, exec, s[6:7]
	s_cbranch_vccnz .LBB173_25
; %bb.24:                               ;   in Loop: Header=BB173_23 Depth=1
	global_load_dword v5, v[2:3], off
	s_cbranch_execnz .LBB173_22
	s_branch .LBB173_26
.LBB173_25:                             ;   in Loop: Header=BB173_23 Depth=1
                                        ; implicit-def: $vgpr5
.LBB173_26:                             ;   in Loop: Header=BB173_23 Depth=1
	global_load_dword v4, v[2:3], off
	s_waitcnt vmcnt(0)
	v_xor_b32_e32 v5, 0x80000000, v4
	s_branch .LBB173_22
.LBB173_27:
	v_mul_u32_u24_e32 v1, 0x41, v0
	s_cmpk_lg_i32 s21, 0x84
	v_lshlrev_b32_e32 v1, 3, v1
	s_mov_b64 s[6:7], -1
	s_cbranch_scc0 .LBB173_33
; %bb.28:
	ds_read_b64 v[2:3], v1
	s_mov_b32 s6, 0
	s_waitcnt lgkmcnt(0)
	v_cmp_gt_f32_e32 vcc, 0, v3
	v_cndmask_b32_e64 v4, v3, -v3, vcc
	v_cmp_gt_f32_e32 vcc, 0, v2
	v_cndmask_b32_e64 v5, v2, -v2, vcc
	v_cmp_ngt_f32_e32 vcc, v5, v4
                                        ; implicit-def: $vgpr4_vgpr5
	s_and_saveexec_b64 s[10:11], vcc
	s_xor_b64 s[10:11], exec, s[10:11]
	s_cbranch_execz .LBB173_30
; %bb.29:
	v_div_scale_f32 v4, s[12:13], v3, v3, v2
	v_rcp_f32_e32 v5, v4
	v_div_scale_f32 v6, vcc, v2, v3, v2
	s_mov_b32 s7, -1.0
	v_fma_f32 v7, -v4, v5, 1.0
	v_fmac_f32_e32 v5, v7, v5
	v_mul_f32_e32 v7, v6, v5
	v_fma_f32 v8, -v4, v7, v6
	v_fmac_f32_e32 v7, v8, v5
	v_fma_f32 v4, -v4, v7, v6
	v_div_fmas_f32 v4, v4, v5, v7
	v_div_fixup_f32 v4, v4, v3, v2
	v_fmac_f32_e32 v3, v2, v4
	v_div_scale_f32 v2, s[12:13], v3, v3, 1.0
	v_rcp_f32_e32 v5, v2
	v_fma_f32 v6, -v2, v5, 1.0
	v_fmac_f32_e32 v5, v6, v5
	v_div_scale_f32 v6, vcc, 1.0, v3, 1.0
	v_mul_f32_e32 v7, v6, v5
	v_fma_f32 v8, -v2, v7, v6
	v_fmac_f32_e32 v7, v8, v5
	v_fma_f32 v2, -v2, v7, v6
	v_div_fmas_f32 v2, v2, v5, v7
	v_mul_f32_e32 v5, 0, v4
	v_div_fixup_f32 v2, v2, v3, 1.0
	v_pk_add_f32 v[4:5], v[4:5], s[6:7]
	v_pk_mul_f32 v[4:5], v[4:5], v[2:3] op_sel_hi:[1,0]
                                        ; implicit-def: $vgpr2_vgpr3
.LBB173_30:
	s_andn2_saveexec_b64 s[6:7], s[10:11]
	s_cbranch_execz .LBB173_32
; %bb.31:
	v_div_scale_f32 v4, s[10:11], v2, v2, v3
	v_rcp_f32_e32 v5, v4
	v_div_scale_f32 v6, vcc, v3, v2, v3
	v_fma_f32 v7, -v4, v5, 1.0
	v_fmac_f32_e32 v5, v7, v5
	v_mul_f32_e32 v7, v6, v5
	v_fma_f32 v8, -v4, v7, v6
	v_fmac_f32_e32 v7, v8, v5
	v_fma_f32 v4, -v4, v7, v6
	v_div_fmas_f32 v4, v4, v5, v7
	v_div_fixup_f32 v5, v4, v2, v3
	v_fmac_f32_e32 v2, v3, v5
	v_div_scale_f32 v3, s[10:11], v2, v2, 1.0
	v_rcp_f32_e32 v4, v3
	s_mov_b32 s10, 1.0
	s_mov_b32 s11, 0
	v_fma_f32 v6, -v3, v4, 1.0
	v_fmac_f32_e32 v4, v6, v4
	v_div_scale_f32 v6, vcc, 1.0, v2, 1.0
	v_mul_f32_e32 v7, v6, v4
	v_fma_f32 v8, -v3, v7, v6
	v_fmac_f32_e32 v7, v8, v4
	v_fma_f32 v3, -v3, v7, v6
	v_div_fmas_f32 v3, v3, v4, v7
	v_mul_f32_e32 v4, 0, v5
	v_pk_add_f32 v[6:7], v[4:5], s[10:11]
	v_pk_add_f32 v[4:5], v[4:5], s[10:11] neg_lo:[1,0] neg_hi:[1,0]
	v_div_fixup_f32 v2, v3, v2, 1.0
	v_mov_b32_e32 v7, v5
	v_pk_mul_f32 v[4:5], v[6:7], v[2:3] op_sel_hi:[1,0]
.LBB173_32:
	s_or_b64 exec, exec, s[6:7]
	s_mov_b64 s[6:7], 0
	ds_write_b64 v1, v[4:5]
.LBB173_33:
	s_and_b64 vcc, exec, s[6:7]
	s_cbranch_vccz .LBB173_35
; %bb.34:
	v_mov_b32_e32 v2, 1.0
	v_mov_b32_e32 v3, 0
	ds_write_b64 v1, v[2:3]
.LBB173_35:
	s_or_b64 exec, exec, s[26:27]
	s_load_dword s21, s[4:5], 0x50
	s_load_dwordx2 s[6:7], s[4:5], 0x58
	s_waitcnt lgkmcnt(0)
	s_ashr_i32 s53, s21, 31
	s_mul_i32 s5, s9, s7
	s_mul_hi_u32 s7, s9, s6
	s_mul_i32 s4, s9, s6
	s_add_i32 s5, s7, s5
	s_lshl_b64 s[16:17], s[4:5], 3
	s_add_u32 s4, s18, s16
	s_addc_u32 s5, s19, s17
	s_lshl_b64 s[24:25], s[24:25], 3
	s_add_u32 s6, s4, s24
	s_addc_u32 s7, s5, s25
	s_lshl_b32 s26, s8, 6
	s_add_i32 s42, s42, -1
	s_sub_i32 s4, s23, s26
	s_cmp_ge_u32 s8, s42
	s_cselect_b32 s8, s4, 64
	s_mul_hi_i32 s5, s21, s26
	s_mul_i32 s4, s21, s26
	s_ashr_i32 s27, s26, 31
	s_lshl_b64 s[4:5], s[4:5], 3
	s_add_u32 s23, s6, s4
	s_addc_u32 s54, s7, s5
	s_cmp_gt_i32 s22, 0
	v_cmp_gt_i32_e32 vcc, s8, v0
	s_cselect_b64 s[4:5], -1, 0
	s_mov_b32 s6, 0
	s_and_b64 s[28:29], vcc, s[4:5]
	s_and_saveexec_b64 s[34:35], s[28:29]
	s_cbranch_execz .LBB173_48
; %bb.36:
	s_cmp_lt_i32 s22, 2
	s_mov_b64 s[4:5], -1
	s_cbranch_scc1 .LBB173_45
; %bb.37:
	v_mad_i64_i32 v[2:3], s[4:5], s21, v0, 0
	s_add_i32 s5, s33, -2
	v_lshlrev_b64 v[2:3], 3, v[2:3]
	s_lshr_b32 s55, s5, 1
	v_mov_b32_e32 v4, s54
	v_add_co_u32_e32 v1, vcc, s23, v2
	s_mov_b32 s40, 1
	s_add_i32 s55, s55, 1
	s_mov_b32 s43, 0
	v_addc_co_u32_e32 v2, vcc, v4, v3, vcc
	s_mov_b32 s36, s30
	s_mov_b32 s37, s30
	;; [unrolled: 1-line block ×5, first 2 shown]
	s_cmp_lt_u32 s5, 6
	s_mov_b32 s5, s40
	s_cbranch_scc1 .LBB173_41
; %bb.38:
	s_and_b32 s56, s55, -4
	v_lshlrev_b32_e32 v3, 3, v0
	s_mov_b32 s42, s43
.LBB173_39:                             ; =>This Inner Loop Header: Depth=1
	s_lshl_b64 s[4:5], s[42:43], 3
	s_mov_b32 s41, s43
	s_add_i32 s44, s40, 2
	s_add_i32 s46, s42, 2
	s_mov_b32 s47, s43
	s_mov_b32 s45, s43
	s_add_i32 s48, s40, 4
	s_add_i32 s50, s42, 4
	s_mov_b32 s51, s43
	;; [unrolled: 4-line block ×3, first 2 shown]
	s_mov_b32 s59, s43
	v_mov_b32_e32 v5, s5
	v_add_co_u32_e32 v4, vcc, s4, v1
	s_lshl_b64 s[14:15], s[40:41], 3
	s_lshl_b64 s[6:7], s[46:47], 3
	;; [unrolled: 1-line block ×7, first 2 shown]
	v_addc_co_u32_e32 v5, vcc, v2, v5, vcc
	v_mov_b32_e32 v7, s15
	v_mov_b32_e32 v9, s7
	v_add_co_u32_e32 v6, vcc, s6, v1
	v_mov_b32_e32 v11, s9
	v_add_co_u32_e64 v8, s[4:5], s8, v1
	v_mov_b32_e32 v13, s11
	v_add_co_u32_e64 v10, s[6:7], s10, v1
	;; [unrolled: 2-line block ×5, first 2 shown]
	v_add_co_u32_e64 v18, s[14:15], s14, v1
	v_addc_co_u32_e64 v19, s[14:15], v2, v7, s[14:15]
	v_addc_co_u32_e32 v7, vcc, v2, v9, vcc
	v_addc_co_u32_e64 v9, vcc, v2, v11, s[4:5]
	v_addc_co_u32_e64 v11, vcc, v2, v13, s[6:7]
	;; [unrolled: 1-line block ×5, first 2 shown]
	global_load_dwordx2 v[20:21], v[4:5], off
	global_load_dwordx2 v[22:23], v[18:19], off
	;; [unrolled: 1-line block ×8, first 2 shown]
	v_lshl_or_b32 v36, s42, 9, v3
	v_lshl_or_b32 v37, s40, 9, v3
	s_add_i32 s42, s42, 8
	s_add_i32 s56, s56, -4
	s_add_i32 s40, s40, 8
	s_cmp_lg_u32 s56, 0
	v_lshl_or_b32 v38, s46, 9, v3
	v_lshl_or_b32 v39, s44, 9, v3
	;; [unrolled: 1-line block ×6, first 2 shown]
	s_waitcnt vmcnt(7)
	v_mov_b32_e32 v4, v20
	s_waitcnt vmcnt(6)
	v_mov_b32_e32 v5, v22
	v_mov_b32_e32 v22, v21
	s_waitcnt vmcnt(4)
	v_mov_b32_e32 v7, v26
	;; [unrolled: 3-line block ×4, first 2 shown]
	v_mov_b32_e32 v34, v33
	v_pk_mul_f32 v[12:13], s[38:39], v[22:23]
	v_pk_mul_f32 v[14:15], s[36:37], v[22:23]
	v_mov_b32_e32 v6, v24
	v_mov_b32_e32 v8, v28
	;; [unrolled: 1-line block ×3, first 2 shown]
	v_pk_mul_f32 v[16:17], s[38:39], v[26:27]
	v_pk_mul_f32 v[18:19], s[36:37], v[26:27]
	;; [unrolled: 1-line block ×6, first 2 shown]
	v_pk_fma_f32 v[12:13], s[36:37], v[4:5], v[12:13] neg_lo:[0,0,1] neg_hi:[0,0,1]
	v_pk_fma_f32 v[4:5], s[38:39], v[4:5], v[14:15]
	v_pk_fma_f32 v[14:15], s[36:37], v[6:7], v[16:17] neg_lo:[0,0,1] neg_hi:[0,0,1]
	v_pk_fma_f32 v[6:7], s[38:39], v[6:7], v[18:19]
	;; [unrolled: 2-line block ×4, first 2 shown]
	v_mov_b32_e32 v20, v12
	v_mov_b32_e32 v21, v4
	;; [unrolled: 1-line block ×12, first 2 shown]
	ds_write_b64 v36, v[20:21] offset:32768
	ds_write_b64 v37, v[4:5] offset:32768
	;; [unrolled: 1-line block ×8, first 2 shown]
	s_cbranch_scc1 .LBB173_39
; %bb.40:
	s_mov_b32 s43, s40
	s_mov_b64 s[4:5], s[42:43]
.LBB173_41:
	s_and_b32 s6, s55, 3
	s_cmp_eq_u32 s6, 0
	s_mov_b32 s7, 0
	s_cbranch_scc1 .LBB173_44
; %bb.42:
	s_sub_i32 s6, 0, s6
	v_mov_b32_e32 v3, s6
	v_lshlrev_b32_e32 v4, 3, v0
.LBB173_43:                             ; =>This Inner Loop Header: Depth=1
	s_mov_b32 s6, s4
	s_lshl_b64 s[8:9], s[6:7], 3
	s_mov_b32 s6, s5
	v_mov_b32_e32 v5, s9
	v_add_co_u32_e32 v6, vcc, s8, v1
	s_lshl_b64 s[10:11], s[6:7], 3
	v_addc_co_u32_e32 v7, vcc, v2, v5, vcc
	v_mov_b32_e32 v5, s11
	v_add_co_u32_e32 v8, vcc, s10, v1
	v_addc_co_u32_e32 v9, vcc, v2, v5, vcc
	global_load_dwordx2 v[10:11], v[6:7], off
	global_load_dwordx2 v[12:13], v[8:9], off
	v_add_co_u32_e32 v3, vcc, 1, v3
	v_lshl_or_b32 v5, s4, 9, v4
	v_lshl_or_b32 v14, s5, 9, v4
	s_add_i32 s4, s4, 2
	s_add_i32 s5, s5, 2
	s_andn2_b64 vcc, exec, vcc
	s_waitcnt vmcnt(1)
	v_mov_b32_e32 v6, v10
	s_waitcnt vmcnt(0)
	v_mov_b32_e32 v7, v12
	v_mov_b32_e32 v12, v11
	v_pk_mul_f32 v[8:9], s[38:39], v[12:13]
	v_pk_mul_f32 v[10:11], s[36:37], v[12:13]
	v_pk_fma_f32 v[8:9], s[36:37], v[6:7], v[8:9] neg_lo:[0,0,1] neg_hi:[0,0,1]
	v_pk_fma_f32 v[6:7], s[38:39], v[6:7], v[10:11]
	v_mov_b32_e32 v10, v8
	v_mov_b32_e32 v11, v6
	;; [unrolled: 1-line block ×3, first 2 shown]
	ds_write_b64 v5, v[10:11] offset:32768
	ds_write_b64 v14, v[6:7] offset:32768
	s_cbranch_vccnz .LBB173_43
.LBB173_44:
	s_and_b32 s6, s33, 0x7e
	s_cmp_lg_u32 s33, s6
	s_cselect_b64 s[4:5], -1, 0
.LBB173_45:
	s_and_b64 vcc, exec, s[4:5]
	s_cbranch_vccz .LBB173_48
; %bb.46:
	s_sub_i32 s4, s33, s6
	s_lshl_b64 s[8:9], s[26:27], 3
	s_lshl_b32 s5, s6, 3
	v_lshlrev_b32_e32 v2, 3, v0
	s_add_u32 s5, s18, s5
	v_lshl_or_b32 v1, s6, 9, v2
	s_addc_u32 s6, s19, 0
	s_add_u32 s5, s5, s24
	s_addc_u32 s7, s6, s25
	s_add_u32 s6, s5, s16
	v_mov_b32_e32 v3, s9
	v_add_co_u32_e32 v4, vcc, s8, v2
	s_addc_u32 s7, s7, s17
	v_addc_co_u32_e32 v5, vcc, 0, v3, vcc
	v_pk_mov_b32 v[2:3], s[6:7], s[6:7] op_sel:[0,1]
	v_mad_u64_u32 v[2:3], s[6:7], v4, s21, v[2:3]
	v_mul_lo_u32 v4, v4, s53
	v_mul_lo_u32 v5, v5, s21
	v_add3_u32 v3, v5, v3, v4
	v_add_co_u32_e32 v2, vcc, 4, v2
	v_add_u32_e32 v1, 0x8000, v1
	v_addc_co_u32_e32 v3, vcc, 0, v3, vcc
.LBB173_47:                             ; =>This Inner Loop Header: Depth=1
	global_load_dwordx2 v[4:5], v[2:3], off offset:-4
	s_add_i32 s4, s4, -1
	v_add_co_u32_e32 v2, vcc, 8, v2
	v_addc_co_u32_e32 v3, vcc, 0, v3, vcc
	s_cmp_lg_u32 s4, 0
	s_waitcnt vmcnt(0)
	v_mul_f32_e32 v6, s31, v5
	v_mul_f32_e32 v7, s30, v5
	v_fma_f32 v6, s30, v4, -v6
	v_fmac_f32_e32 v7, s31, v4
	ds_write_b64 v1, v[6:7]
	v_add_u32_e32 v1, 0x200, v1
	s_cbranch_scc1 .LBB173_47
.LBB173_48:
	s_or_b64 exec, exec, s[34:35]
	s_cmpk_eq_i32 s20, 0x6f
	s_mov_b64 s[4:5], -1
	s_waitcnt lgkmcnt(0)
	; wave barrier
	s_waitcnt lgkmcnt(0)
	s_cbranch_scc1 .LBB173_77
; %bb.49:
	v_mov_b32_e32 v1, 0x8000
	s_mov_b32 s5, 0
	v_lshl_or_b32 v1, v0, 3, v1
	v_lshlrev_b32_e32 v10, 3, v0
	v_mov_b32_e32 v11, 0
	s_mov_b32 s4, s5
	s_mov_b32 s14, s5
	s_branch .LBB173_51
.LBB173_50:                             ;   in Loop: Header=BB173_51 Depth=1
	s_cmp_ge_i32 s14, s33
	s_cselect_b64 s[6:7], -1, 0
	s_add_i32 s4, s4, 1
	s_cmp_eq_u32 s4, 3
	s_cselect_b64 s[8:9], -1, 0
	s_or_b64 s[6:7], s[6:7], s[8:9]
	s_andn2_b64 vcc, exec, s[6:7]
	s_cbranch_vccz .LBB173_76
.LBB173_51:                             ; =>This Loop Header: Depth=1
                                        ;     Child Loop BB173_54 Depth 2
                                        ;       Child Loop BB173_55 Depth 3
                                        ;       Child Loop BB173_59 Depth 3
                                        ;         Child Loop BB173_61 Depth 4
                                        ;         Child Loop BB173_67 Depth 4
                                        ;       Child Loop BB173_70 Depth 3
                                        ;         Child Loop BB173_72 Depth 4
	s_lshl_b64 s[6:7], s[4:5], 2
	s_getpc_b64 s[8:9]
	s_add_u32 s8, s8, __const._ZL38rocblas_trsm_small_left_device_sharedBILi64ELi32ELb0E19rocblas_complex_numIfES1_PKS1_PS1_Ev13rocblas_fill_18rocblas_operation_17rocblas_diagonal_iiT3_T4_lilT5_lili.step_sizes@rel32@lo+4
	s_addc_u32 s9, s9, __const._ZL38rocblas_trsm_small_left_device_sharedBILi64ELi32ELb0E19rocblas_complex_numIfES1_PKS1_PS1_Ev13rocblas_fill_18rocblas_operation_17rocblas_diagonal_iiT3_T4_lilT5_lili.step_sizes@rel32@hi+12
	s_add_u32 s6, s6, s8
	s_addc_u32 s7, s7, s9
	s_load_dword s15, s[6:7], 0x0
	s_waitcnt lgkmcnt(0)
	s_add_i32 s20, s15, -1
	s_add_i32 s6, s20, s14
	s_cmp_ge_i32 s6, s33
	s_cbranch_scc1 .LBB173_50
; %bb.52:                               ;   in Loop: Header=BB173_51 Depth=1
	s_max_i32 s30, s15, 1
	s_cmp_lg_u32 s4, 2
	s_cselect_b64 s[6:7], -1, 0
	s_and_b32 s31, s30, 0x7ffffffe
	s_cmp_lg_u32 s30, s31
	s_cselect_b64 s[8:9], -1, 0
	v_lshl_add_u32 v12, s14, 9, v1
	s_lshl_b32 s34, s15, 9
	s_mul_i32 s35, s14, 0x208
	s_mul_i32 s36, s15, 0x208
	s_branch .LBB173_54
.LBB173_53:                             ;   in Loop: Header=BB173_54 Depth=2
	s_add_i32 s14, s14, s15
	s_add_i32 s10, s20, s14
	;; [unrolled: 1-line block ×3, first 2 shown]
	s_cmp_ge_i32 s10, s33
	v_add_u32_e32 v12, s34, v12
	s_cbranch_scc1 .LBB173_50
.LBB173_54:                             ;   Parent Loop BB173_51 Depth=1
                                        ; =>  This Loop Header: Depth=2
                                        ;       Child Loop BB173_55 Depth 3
                                        ;       Child Loop BB173_59 Depth 3
                                        ;         Child Loop BB173_61 Depth 4
                                        ;         Child Loop BB173_67 Depth 4
                                        ;       Child Loop BB173_70 Depth 3
                                        ;         Child Loop BB173_72 Depth 4
	v_mov_b32_e32 v2, 0
	v_mov_b32_e32 v3, v12
	s_mov_b32 s10, s30
.LBB173_55:                             ;   Parent Loop BB173_51 Depth=1
                                        ;     Parent Loop BB173_54 Depth=2
                                        ; =>    This Inner Loop Header: Depth=3
	ds_read_b64 v[4:5], v3
	s_add_i32 s10, s10, -1
	v_add_u32_e32 v3, 0x200, v3
	s_cmp_eq_u32 s10, 0
	s_waitcnt lgkmcnt(0)
	buffer_store_dword v5, v2, s[0:3], 0 offen offset:4
	buffer_store_dword v4, v2, s[0:3], 0 offen
	v_add_u32_e32 v2, 8, v2
	s_cbranch_scc0 .LBB173_55
; %bb.56:                               ;   in Loop: Header=BB173_54 Depth=2
	s_cmp_lt_i32 s14, 1
	s_cbranch_scc1 .LBB173_68
; %bb.57:                               ;   in Loop: Header=BB173_54 Depth=2
	s_mov_b32 s37, s14
	s_mov_b32 s38, 0
	;; [unrolled: 1-line block ×3, first 2 shown]
	s_branch .LBB173_59
.LBB173_58:                             ;   in Loop: Header=BB173_59 Depth=3
	s_add_i32 s39, s39, 1
	s_add_i32 s38, s38, 8
	s_cmp_ge_i32 s39, s14
	s_cbranch_scc1 .LBB173_68
.LBB173_59:                             ;   Parent Loop BB173_51 Depth=1
                                        ;     Parent Loop BB173_54 Depth=2
                                        ; =>    This Loop Header: Depth=3
                                        ;         Child Loop BB173_61 Depth 4
                                        ;         Child Loop BB173_67 Depth 4
	s_waitcnt lgkmcnt(0)
	v_lshl_or_b32 v2, s39, 9, v10
	ds_read_b64 v[2:3], v2 offset:32768
	s_and_b64 vcc, exec, s[6:7]
	s_cbranch_vccz .LBB173_63
; %bb.60:                               ;   in Loop: Header=BB173_59 Depth=3
	s_mov_b32 s10, s39
	s_waitcnt lgkmcnt(0)
	v_mov_b32_e32 v6, v2
	v_mov_b32_e32 v7, v2
	;; [unrolled: 1-line block ×6, first 2 shown]
	s_mov_b32 s11, 1
	s_mov_b32 s12, 0
	;; [unrolled: 1-line block ×3, first 2 shown]
.LBB173_61:                             ;   Parent Loop BB173_51 Depth=1
                                        ;     Parent Loop BB173_54 Depth=2
                                        ;       Parent Loop BB173_59 Depth=3
                                        ; =>      This Inner Loop Header: Depth=4
	buffer_load_dword v14, v5, s[0:3], 0 offen
	buffer_load_dword v16, v5, s[0:3], 0 offen offset:4
	buffer_load_dword v15, v5, s[0:3], 0 offen offset:8
	;; [unrolled: 1-line block ×3, first 2 shown]
	s_add_i32 s40, s11, s37
	s_add_i32 s41, s12, s14
	s_lshl_b32 s41, s41, 6
	s_lshl_b32 s40, s40, 6
	s_add_i32 s40, s40, s10
	s_add_i32 s41, s41, s39
	s_lshl_b32 s41, s41, 3
	s_lshl_b32 s40, s40, 3
	v_mov_b32_e32 v13, s41
	v_mov_b32_e32 v20, s40
	ds_read_b64 v[18:19], v13
	ds_read_b64 v[20:21], v20
	s_add_i32 s12, s12, 2
	s_add_i32 s11, s11, 2
	s_add_i32 s13, s13, -2
	s_waitcnt lgkmcnt(1)
	v_mov_b32_e32 v22, v18
	s_waitcnt lgkmcnt(0)
	v_mov_b32_e32 v23, v20
	v_mov_b32_e32 v20, v19
	v_pk_mul_f32 v[18:19], v[20:21], v[8:9]
	v_pk_mul_f32 v[20:21], v[20:21], v[6:7]
	v_pk_fma_f32 v[18:19], v[22:23], v[6:7], v[18:19] neg_lo:[0,0,1] neg_hi:[0,0,1]
	v_pk_fma_f32 v[20:21], v[22:23], v[8:9], v[20:21]
	s_cmp_lg_u32 s13, 0
	s_waitcnt vmcnt(1)
	v_pk_add_f32 v[14:15], v[14:15], v[18:19] neg_lo:[0,1] neg_hi:[0,1]
	s_waitcnt vmcnt(0)
	v_pk_add_f32 v[16:17], v[16:17], v[20:21] neg_lo:[0,1] neg_hi:[0,1]
	buffer_store_dword v14, v5, s[0:3], 0 offen
	buffer_store_dword v16, v5, s[0:3], 0 offen offset:4
	buffer_store_dword v15, v5, s[0:3], 0 offen offset:8
	;; [unrolled: 1-line block ×3, first 2 shown]
	v_add_u32_e32 v5, 16, v5
	s_cbranch_scc1 .LBB173_61
; %bb.62:                               ;   in Loop: Header=BB173_59 Depth=3
	s_mov_b64 s[10:11], s[8:9]
	s_mov_b32 s12, s31
	s_branch .LBB173_65
.LBB173_63:                             ;   in Loop: Header=BB173_59 Depth=3
	s_mov_b64 s[10:11], 0
                                        ; implicit-def: $vgpr4_vgpr5
	s_mov_b32 s12, s31
	s_cbranch_execz .LBB173_65
; %bb.64:                               ;   in Loop: Header=BB173_59 Depth=3
	s_waitcnt lgkmcnt(0)
	v_mov_b32_e32 v4, v3
	s_mov_b64 s[10:11], -1
	s_mov_b32 s12, 0
.LBB173_65:                             ;   in Loop: Header=BB173_59 Depth=3
	s_andn2_b64 vcc, exec, s[10:11]
	s_cbranch_vccnz .LBB173_58
; %bb.66:                               ;   in Loop: Header=BB173_59 Depth=3
	s_add_i32 s11, s14, s12
	s_sub_i32 s10, s30, s12
	s_lshl_b32 s11, s11, 9
	s_lshl_b32 s12, s12, 3
	s_waitcnt lgkmcnt(0)
	v_mov_b32_e32 v5, v3
	v_mov_b32_e32 v3, v2
	s_add_i32 s11, s38, s11
	v_add_u32_e32 v6, s12, v11
.LBB173_67:                             ;   Parent Loop BB173_51 Depth=1
                                        ;     Parent Loop BB173_54 Depth=2
                                        ;       Parent Loop BB173_59 Depth=3
                                        ; =>      This Inner Loop Header: Depth=4
	buffer_load_dword v8, v6, s[0:3], 0 offen
	buffer_load_dword v9, v6, s[0:3], 0 offen offset:4
	v_mov_b32_e32 v7, s11
	ds_read_b64 v[14:15], v7
	s_add_i32 s10, s10, -1
	s_addk_i32 s11, 0x200
	s_cmp_eq_u32 s10, 0
	s_waitcnt lgkmcnt(0)
	v_pk_mul_f32 v[16:17], v[14:15], v[4:5]
	v_pk_fma_f32 v[18:19], v[14:15], v[2:3], v[16:17] op_sel:[0,0,1] op_sel_hi:[1,1,0] neg_lo:[0,0,1] neg_hi:[0,0,1]
	v_pk_fma_f32 v[14:15], v[14:15], v[2:3], v[16:17] op_sel:[0,0,1] op_sel_hi:[1,1,0]
	v_mov_b32_e32 v19, v15
	s_waitcnt vmcnt(0)
	v_pk_add_f32 v[8:9], v[8:9], v[18:19] neg_lo:[0,1] neg_hi:[0,1]
	buffer_store_dword v8, v6, s[0:3], 0 offen
	buffer_store_dword v9, v6, s[0:3], 0 offen offset:4
	v_add_u32_e32 v6, 8, v6
	s_cbranch_scc0 .LBB173_67
	s_branch .LBB173_58
.LBB173_68:                             ;   in Loop: Header=BB173_54 Depth=2
	s_lshl_b32 s12, s14, 6
	s_mov_b32 s13, 0
	s_mov_b32 s37, s35
	s_branch .LBB173_70
.LBB173_69:                             ;   in Loop: Header=BB173_70 Depth=3
	s_mul_i32 s10, s39, 0x208
	v_mov_b32_e32 v4, s10
	ds_read_b64 v[4:5], v4
	s_lshl_b32 s10, s13, 3
	s_add_i32 s13, s13, 1
	s_addk_i32 s37, 0x200
	v_add_u32_e32 v8, s10, v11
	s_waitcnt vmcnt(0) lgkmcnt(0)
	v_mul_f32_e32 v6, v5, v3
	v_mul_f32_e32 v7, v4, v3
	v_fma_f32 v6, v4, v2, -v6
	v_fmac_f32_e32 v7, v5, v2
	v_add_lshl_u32 v2, s38, v0, 3
	s_cmp_eq_u32 s13, s30
	buffer_store_dword v6, v8, s[0:3], 0 offen
	buffer_store_dword v7, v8, s[0:3], 0 offen offset:4
	ds_write_b64 v2, v[6:7] offset:32768
	s_cbranch_scc1 .LBB173_53
.LBB173_70:                             ;   Parent Loop BB173_51 Depth=1
                                        ;     Parent Loop BB173_54 Depth=2
                                        ; =>    This Loop Header: Depth=3
                                        ;         Child Loop BB173_72 Depth 4
	s_cmp_lg_u32 s13, 0
	s_cbranch_scc0 .LBB173_74
; %bb.71:                               ;   in Loop: Header=BB173_70 Depth=3
	s_lshl_b32 s10, s13, 3
	v_add_u32_e32 v4, s10, v11
	s_waitcnt lgkmcnt(0)
	buffer_load_dword v2, v4, s[0:3], 0 offen
	buffer_load_dword v3, v4, s[0:3], 0 offen offset:4
	v_mov_b32_e32 v5, 0
	s_mov_b32 s10, 0
	s_mov_b32 s11, s37
.LBB173_72:                             ;   Parent Loop BB173_51 Depth=1
                                        ;     Parent Loop BB173_54 Depth=2
                                        ;       Parent Loop BB173_70 Depth=3
                                        ; =>      This Inner Loop Header: Depth=4
	buffer_load_dword v7, v5, s[0:3], 0 offen offset:4
	buffer_load_dword v6, v5, s[0:3], 0 offen
	v_mov_b32_e32 v8, s11
	ds_read_b64 v[8:9], v8
	s_add_i32 s10, s10, 1
	s_add_i32 s11, s11, 8
	v_add_u32_e32 v5, 8, v5
	s_cmp_ge_u32 s10, s13
	s_waitcnt vmcnt(1)
	v_mov_b32_e32 v14, v7
	s_waitcnt lgkmcnt(0)
	v_pk_mul_f32 v[14:15], v[8:9], v[14:15] op_sel_hi:[1,0]
	s_waitcnt vmcnt(0)
	v_pk_fma_f32 v[16:17], v[8:9], v[6:7], v[14:15] op_sel:[0,0,1] op_sel_hi:[1,1,0] neg_lo:[0,0,1] neg_hi:[0,0,1]
	v_pk_fma_f32 v[6:7], v[8:9], v[6:7], v[14:15] op_sel:[0,0,1] op_sel_hi:[1,0,0]
	v_mov_b32_e32 v17, v7
	v_pk_add_f32 v[2:3], v[2:3], v[16:17] neg_lo:[0,1] neg_hi:[0,1]
	buffer_store_dword v2, v4, s[0:3], 0 offen
	buffer_store_dword v3, v4, s[0:3], 0 offen offset:4
	s_cbranch_scc0 .LBB173_72
; %bb.73:                               ;   in Loop: Header=BB173_70 Depth=3
	s_add_i32 s39, s13, s14
	s_lshl_b32 s38, s39, 6
	s_branch .LBB173_69
.LBB173_74:                             ;   in Loop: Header=BB173_70 Depth=3
                                        ; implicit-def: $vgpr2
                                        ; implicit-def: $sgpr39
                                        ; implicit-def: $sgpr38
	s_cbranch_execz .LBB173_69
; %bb.75:                               ;   in Loop: Header=BB173_70 Depth=3
	s_waitcnt lgkmcnt(0)
	buffer_load_dword v2, off, s[0:3], 0
	buffer_load_dword v3, off, s[0:3], 0 offset:4
	s_mov_b32 s38, s12
	s_mov_b32 s39, s14
	s_branch .LBB173_69
.LBB173_76:
	s_mov_b64 s[4:5], 0
.LBB173_77:
	s_and_b64 vcc, exec, s[4:5]
	s_cbranch_vccz .LBB173_104
; %bb.78:
	v_mov_b32_e32 v1, 0x8000
	s_lshl_b32 s14, s33, 9
	s_mov_b32 s5, 0
	v_lshl_or_b32 v1, v0, 3, v1
	s_addk_i32 s14, 0xfe00
	v_mov_b32_e32 v10, 0
	v_lshlrev_b32_e32 v11, 3, v0
	s_mov_b32 s4, s5
	s_mov_b32 s15, s52
	s_branch .LBB173_80
.LBB173_79:                             ;   in Loop: Header=BB173_80 Depth=1
	s_cmp_lt_i32 s15, 0
	s_cselect_b64 s[6:7], -1, 0
	s_add_i32 s4, s4, 1
	s_cmp_eq_u32 s4, 3
	s_cselect_b64 s[8:9], -1, 0
	s_or_b64 s[6:7], s[6:7], s[8:9]
	s_and_b64 vcc, exec, s[6:7]
	s_cbranch_vccnz .LBB173_104
.LBB173_80:                             ; =>This Loop Header: Depth=1
                                        ;     Child Loop BB173_83 Depth 2
                                        ;       Child Loop BB173_84 Depth 3
                                        ;       Child Loop BB173_95 Depth 3
                                        ;         Child Loop BB173_97 Depth 4
                                        ;         Child Loop BB173_103 Depth 4
                                        ;       Child Loop BB173_88 Depth 3
                                        ;         Child Loop BB173_90 Depth 4
	s_lshl_b64 s[6:7], s[4:5], 2
	s_getpc_b64 s[8:9]
	s_add_u32 s8, s8, __const._ZL38rocblas_trsm_small_left_device_sharedBILi64ELi32ELb0E19rocblas_complex_numIfES1_PKS1_PS1_Ev13rocblas_fill_18rocblas_operation_17rocblas_diagonal_iiT3_T4_lilT5_lili.step_sizes@rel32@lo+4
	s_addc_u32 s9, s9, __const._ZL38rocblas_trsm_small_left_device_sharedBILi64ELi32ELb0E19rocblas_complex_numIfES1_PKS1_PS1_Ev13rocblas_fill_18rocblas_operation_17rocblas_diagonal_iiT3_T4_lilT5_lili.step_sizes@rel32@hi+12
	s_add_u32 s6, s6, s8
	s_addc_u32 s7, s7, s9
	s_load_dword s20, s[6:7], 0x0
	s_waitcnt lgkmcnt(0)
	s_add_i32 s30, s20, -1
	s_cmp_lt_i32 s15, s30
	s_cbranch_scc1 .LBB173_79
; %bb.81:                               ;   in Loop: Header=BB173_80 Depth=1
	s_max_i32 s31, s20, 1
	s_cmp_lg_u32 s4, 2
	s_cselect_b64 s[6:7], -1, 0
	s_and_b32 s34, s31, 0x7ffffffe
	s_cmp_lg_u32 s31, s34
	s_cselect_b64 s[8:9], -1, 0
	s_lshl_b32 s10, s20, 9
	s_sub_i32 s35, 0, s10
	s_lshl_b32 s10, s15, 3
	s_add_i32 s36, s14, s10
	s_lshl_b32 s10, s20, 3
	v_lshl_add_u32 v12, s15, 9, v1
	s_sub_i32 s37, 0, s10
	s_mul_i32 s38, s15, 0x208
	s_mul_i32 s39, s20, 0xfffffdf8
	s_branch .LBB173_83
.LBB173_82:                             ;   in Loop: Header=BB173_83 Depth=2
	s_sub_i32 s15, s15, s20
	s_add_i32 s36, s36, s37
	s_add_i32 s38, s38, s39
	s_cmp_lt_i32 s15, s30
	v_add_u32_e32 v12, s35, v12
	s_cbranch_scc1 .LBB173_79
.LBB173_83:                             ;   Parent Loop BB173_80 Depth=1
                                        ; =>  This Loop Header: Depth=2
                                        ;       Child Loop BB173_84 Depth 3
                                        ;       Child Loop BB173_95 Depth 3
                                        ;         Child Loop BB173_97 Depth 4
                                        ;         Child Loop BB173_103 Depth 4
                                        ;       Child Loop BB173_88 Depth 3
                                        ;         Child Loop BB173_90 Depth 4
	v_mov_b32_e32 v2, 0
	v_mov_b32_e32 v3, v12
	s_mov_b32 s10, s31
.LBB173_84:                             ;   Parent Loop BB173_80 Depth=1
                                        ;     Parent Loop BB173_83 Depth=2
                                        ; =>    This Inner Loop Header: Depth=3
	ds_read_b64 v[4:5], v3
	s_add_i32 s10, s10, -1
	v_add_u32_e32 v3, 0xfffffe00, v3
	s_cmp_eq_u32 s10, 0
	s_waitcnt lgkmcnt(0)
	buffer_store_dword v5, v2, s[0:3], 0 offen offset:4
	buffer_store_dword v4, v2, s[0:3], 0 offen
	v_add_u32_e32 v2, 8, v2
	s_cbranch_scc0 .LBB173_84
; %bb.85:                               ;   in Loop: Header=BB173_83 Depth=2
	s_cmp_le_i32 s52, s15
	s_mov_b32 s40, s36
	s_mov_b32 s41, s52
	s_cbranch_scc0 .LBB173_95
.LBB173_86:                             ;   in Loop: Header=BB173_83 Depth=2
	s_mov_b32 s12, 0
	s_mov_b32 s13, s38
	s_branch .LBB173_88
.LBB173_87:                             ;   in Loop: Header=BB173_88 Depth=3
	s_mul_i32 s10, s40, 0x208
	v_mov_b32_e32 v4, s10
	ds_read_b64 v[4:5], v4
	s_lshl_b32 s10, s12, 3
	s_add_i32 s12, s12, 1
	s_add_i32 s13, s13, -8
	v_add_u32_e32 v8, s10, v10
	s_waitcnt vmcnt(0) lgkmcnt(0)
	v_mul_f32_e32 v6, v5, v3
	v_mul_f32_e32 v7, v4, v3
	v_fma_f32 v6, v4, v2, -v6
	v_fmac_f32_e32 v7, v5, v2
	v_lshl_or_b32 v2, s40, 9, v11
	s_cmp_eq_u32 s12, s31
	buffer_store_dword v6, v8, s[0:3], 0 offen
	buffer_store_dword v7, v8, s[0:3], 0 offen offset:4
	ds_write_b64 v2, v[6:7] offset:32768
	s_cbranch_scc1 .LBB173_82
.LBB173_88:                             ;   Parent Loop BB173_80 Depth=1
                                        ;     Parent Loop BB173_83 Depth=2
                                        ; =>    This Loop Header: Depth=3
                                        ;         Child Loop BB173_90 Depth 4
	s_cmp_lg_u32 s12, 0
	s_cbranch_scc0 .LBB173_92
; %bb.89:                               ;   in Loop: Header=BB173_88 Depth=3
	s_lshl_b32 s10, s12, 3
	v_add_u32_e32 v4, s10, v10
	s_waitcnt lgkmcnt(0)
	buffer_load_dword v2, v4, s[0:3], 0 offen
	buffer_load_dword v3, v4, s[0:3], 0 offen offset:4
	v_mov_b32_e32 v5, 0
	s_mov_b32 s10, 0
	s_mov_b32 s11, s13
.LBB173_90:                             ;   Parent Loop BB173_80 Depth=1
                                        ;     Parent Loop BB173_83 Depth=2
                                        ;       Parent Loop BB173_88 Depth=3
                                        ; =>      This Inner Loop Header: Depth=4
	buffer_load_dword v7, v5, s[0:3], 0 offen offset:4
	buffer_load_dword v6, v5, s[0:3], 0 offen
	v_mov_b32_e32 v8, s11
	ds_read_b64 v[8:9], v8
	s_add_i32 s10, s10, 1
	s_addk_i32 s11, 0xfe00
	v_add_u32_e32 v5, 8, v5
	s_cmp_ge_u32 s10, s12
	s_waitcnt vmcnt(1)
	v_mov_b32_e32 v14, v7
	s_waitcnt lgkmcnt(0)
	v_pk_mul_f32 v[14:15], v[8:9], v[14:15] op_sel_hi:[1,0]
	s_waitcnt vmcnt(0)
	v_pk_fma_f32 v[16:17], v[8:9], v[6:7], v[14:15] op_sel:[0,0,1] op_sel_hi:[1,1,0] neg_lo:[0,0,1] neg_hi:[0,0,1]
	v_pk_fma_f32 v[6:7], v[8:9], v[6:7], v[14:15] op_sel:[0,0,1] op_sel_hi:[1,0,0]
	v_mov_b32_e32 v17, v7
	v_pk_add_f32 v[2:3], v[2:3], v[16:17] neg_lo:[0,1] neg_hi:[0,1]
	buffer_store_dword v2, v4, s[0:3], 0 offen
	buffer_store_dword v3, v4, s[0:3], 0 offen offset:4
	s_cbranch_scc0 .LBB173_90
; %bb.91:                               ;   in Loop: Header=BB173_88 Depth=3
	s_sub_i32 s40, s15, s12
	s_branch .LBB173_87
.LBB173_92:                             ;   in Loop: Header=BB173_88 Depth=3
                                        ; implicit-def: $vgpr2
                                        ; implicit-def: $sgpr40
	s_cbranch_execz .LBB173_87
; %bb.93:                               ;   in Loop: Header=BB173_88 Depth=3
	s_waitcnt lgkmcnt(0)
	buffer_load_dword v2, off, s[0:3], 0
	buffer_load_dword v3, off, s[0:3], 0 offset:4
	s_mov_b32 s40, s15
	s_branch .LBB173_87
.LBB173_94:                             ;   in Loop: Header=BB173_95 Depth=3
	s_add_i32 s41, s41, -1
	s_addk_i32 s40, 0xfe00
	s_cmp_le_i32 s41, s15
	s_cbranch_scc1 .LBB173_86
.LBB173_95:                             ;   Parent Loop BB173_80 Depth=1
                                        ;     Parent Loop BB173_83 Depth=2
                                        ; =>    This Loop Header: Depth=3
                                        ;         Child Loop BB173_97 Depth 4
                                        ;         Child Loop BB173_103 Depth 4
	s_lshl_b32 s10, s41, 6
	s_waitcnt lgkmcnt(0)
	v_or_b32_e32 v2, s10, v0
	v_lshlrev_b32_e32 v2, 3, v2
	ds_read_b64 v[2:3], v2 offset:32768
	s_and_b64 vcc, exec, s[6:7]
	s_cbranch_vccz .LBB173_99
; %bb.96:                               ;   in Loop: Header=BB173_95 Depth=3
	s_add_i32 s10, s10, s15
	s_mov_b32 s11, s10
	s_waitcnt lgkmcnt(0)
	v_mov_b32_e32 v6, v2
	v_mov_b32_e32 v7, v2
	;; [unrolled: 1-line block ×6, first 2 shown]
	s_mov_b32 s12, 1
	s_mov_b32 s13, 0
	s_mov_b32 s42, s34
.LBB173_97:                             ;   Parent Loop BB173_80 Depth=1
                                        ;     Parent Loop BB173_83 Depth=2
                                        ;       Parent Loop BB173_95 Depth=3
                                        ; =>      This Inner Loop Header: Depth=4
	buffer_load_dword v14, v5, s[0:3], 0 offen
	buffer_load_dword v16, v5, s[0:3], 0 offen offset:4
	buffer_load_dword v15, v5, s[0:3], 0 offen offset:8
	;; [unrolled: 1-line block ×3, first 2 shown]
	s_sub_i32 s43, s11, s12
	s_sub_i32 s44, s10, s13
	s_lshl_b32 s44, s44, 3
	s_lshl_b32 s43, s43, 3
	v_mov_b32_e32 v13, s44
	v_mov_b32_e32 v20, s43
	ds_read_b64 v[18:19], v13
	ds_read_b64 v[20:21], v20
	s_add_i32 s13, s13, 2
	s_add_i32 s12, s12, 2
	s_add_i32 s42, s42, -2
	s_waitcnt lgkmcnt(1)
	v_mov_b32_e32 v22, v18
	s_waitcnt lgkmcnt(0)
	v_mov_b32_e32 v23, v20
	v_mov_b32_e32 v20, v19
	v_pk_mul_f32 v[18:19], v[20:21], v[8:9]
	v_pk_mul_f32 v[20:21], v[20:21], v[6:7]
	v_pk_fma_f32 v[18:19], v[22:23], v[6:7], v[18:19] neg_lo:[0,0,1] neg_hi:[0,0,1]
	v_pk_fma_f32 v[20:21], v[22:23], v[8:9], v[20:21]
	s_cmp_lg_u32 s42, 0
	s_waitcnt vmcnt(1)
	v_pk_add_f32 v[14:15], v[14:15], v[18:19] neg_lo:[0,1] neg_hi:[0,1]
	s_waitcnt vmcnt(0)
	v_pk_add_f32 v[16:17], v[16:17], v[20:21] neg_lo:[0,1] neg_hi:[0,1]
	buffer_store_dword v14, v5, s[0:3], 0 offen
	buffer_store_dword v16, v5, s[0:3], 0 offen offset:4
	buffer_store_dword v15, v5, s[0:3], 0 offen offset:8
	;; [unrolled: 1-line block ×3, first 2 shown]
	v_add_u32_e32 v5, 16, v5
	s_cbranch_scc1 .LBB173_97
; %bb.98:                               ;   in Loop: Header=BB173_95 Depth=3
	s_mov_b64 s[10:11], s[8:9]
	s_mov_b32 s12, s34
	s_branch .LBB173_101
.LBB173_99:                             ;   in Loop: Header=BB173_95 Depth=3
	s_mov_b64 s[10:11], 0
                                        ; implicit-def: $vgpr4_vgpr5
	s_mov_b32 s12, s34
	s_cbranch_execz .LBB173_101
; %bb.100:                              ;   in Loop: Header=BB173_95 Depth=3
	s_waitcnt lgkmcnt(0)
	v_mov_b32_e32 v4, v3
	s_mov_b64 s[10:11], -1
	s_mov_b32 s12, 0
.LBB173_101:                            ;   in Loop: Header=BB173_95 Depth=3
	s_andn2_b64 vcc, exec, s[10:11]
	s_cbranch_vccnz .LBB173_94
; %bb.102:                              ;   in Loop: Header=BB173_95 Depth=3
	s_lshl_b32 s13, s12, 3
	s_waitcnt lgkmcnt(0)
	v_mov_b32_e32 v5, v3
	v_mov_b32_e32 v3, v2
	s_sub_i32 s10, s40, s13
	s_sub_i32 s11, s31, s12
	v_add_u32_e32 v6, s13, v10
.LBB173_103:                            ;   Parent Loop BB173_80 Depth=1
                                        ;     Parent Loop BB173_83 Depth=2
                                        ;       Parent Loop BB173_95 Depth=3
                                        ; =>      This Inner Loop Header: Depth=4
	buffer_load_dword v8, v6, s[0:3], 0 offen
	buffer_load_dword v9, v6, s[0:3], 0 offen offset:4
	v_mov_b32_e32 v7, s10
	ds_read_b64 v[14:15], v7
	s_add_i32 s10, s10, -8
	s_add_i32 s11, s11, -1
	s_cmp_eq_u32 s11, 0
	s_waitcnt lgkmcnt(0)
	v_pk_mul_f32 v[16:17], v[14:15], v[4:5]
	v_pk_fma_f32 v[18:19], v[14:15], v[2:3], v[16:17] op_sel:[0,0,1] op_sel_hi:[1,1,0] neg_lo:[0,0,1] neg_hi:[0,0,1]
	v_pk_fma_f32 v[14:15], v[14:15], v[2:3], v[16:17] op_sel:[0,0,1] op_sel_hi:[1,1,0]
	v_mov_b32_e32 v19, v15
	s_waitcnt vmcnt(0)
	v_pk_add_f32 v[8:9], v[8:9], v[18:19] neg_lo:[0,1] neg_hi:[0,1]
	buffer_store_dword v8, v6, s[0:3], 0 offen
	buffer_store_dword v9, v6, s[0:3], 0 offen offset:4
	v_add_u32_e32 v6, 8, v6
	s_cbranch_scc0 .LBB173_103
	s_branch .LBB173_94
.LBB173_104:
	s_waitcnt lgkmcnt(0)
	; wave barrier
	s_waitcnt lgkmcnt(0)
	s_and_saveexec_b64 s[4:5], s[28:29]
	s_cbranch_execz .LBB173_111
; %bb.105:
	s_cmp_lt_i32 s22, 8
	s_mov_b32 s4, 0
	s_cbranch_scc1 .LBB173_108
; %bb.106:
	v_mad_i64_i32 v[2:3], s[4:5], s21, v0, 0
	v_lshlrev_b64 v[2:3], 3, v[2:3]
	v_mov_b32_e32 v4, s54
	v_add_co_u32_e32 v1, vcc, s23, v2
	v_addc_co_u32_e32 v2, vcc, v4, v3, vcc
	v_mov_b32_e32 v3, 0x8000
	s_lshl_b32 s4, s33, 3
	v_lshl_or_b32 v3, v0, 3, v3
	s_and_b32 s5, s4, 0x3c0
	s_mov_b32 s4, 0
	s_mov_b64 s[6:7], 0
.LBB173_107:                            ; =>This Inner Loop Header: Depth=1
	ds_read2st64_b64 v[4:7], v3 offset1:1
	ds_read2st64_b64 v[8:11], v3 offset0:2 offset1:3
	ds_read2st64_b64 v[12:15], v3 offset0:4 offset1:5
	;; [unrolled: 1-line block ×3, first 2 shown]
	s_add_i32 s4, s4, 8
	v_add_co_u32_e32 v20, vcc, s6, v1
	s_add_u32 s6, s6, 64
	v_mov_b32_e32 v21, s7
	s_addc_u32 s7, s7, 0
	v_add_u32_e32 v3, 0x1000, v3
	v_addc_co_u32_e32 v21, vcc, v2, v21, vcc
	s_cmp_lg_u32 s5, s6
	s_waitcnt lgkmcnt(3)
	global_store_dwordx4 v[20:21], v[4:7], off
	s_waitcnt lgkmcnt(2)
	global_store_dwordx4 v[20:21], v[8:11], off offset:16
	s_waitcnt lgkmcnt(1)
	global_store_dwordx4 v[20:21], v[12:15], off offset:32
	;; [unrolled: 2-line block ×3, first 2 shown]
	s_cbranch_scc1 .LBB173_107
.LBB173_108:
	s_and_b32 s6, s33, 7
	s_cmp_eq_u32 s6, 0
	s_mov_b32 s5, 0
	s_cbranch_scc1 .LBB173_111
; %bb.109:
	s_lshl_b64 s[8:9], s[26:27], 3
	v_lshlrev_b32_e32 v2, 3, v0
	v_mov_b32_e32 v0, s9
	v_add_co_u32_e32 v3, vcc, s8, v2
	s_lshl_b64 s[8:9], s[4:5], 3
	s_add_u32 s5, s18, s8
	s_addc_u32 s7, s19, s9
	s_add_u32 s5, s5, s24
	s_addc_u32 s7, s7, s25
	;; [unrolled: 2-line block ×3, first 2 shown]
	v_addc_co_u32_e32 v4, vcc, 0, v0, vcc
	v_pk_mov_b32 v[0:1], s[8:9], s[8:9] op_sel:[0,1]
	v_mad_u64_u32 v[0:1], s[8:9], v3, s21, v[0:1]
	v_mul_lo_u32 v3, v3, s53
	v_mul_lo_u32 v4, v4, s21
	v_lshl_or_b32 v2, s4, 9, v2
	v_add3_u32 v1, v4, v1, v3
	v_add_u32_e32 v2, 0x8000, v2
.LBB173_110:                            ; =>This Inner Loop Header: Depth=1
	ds_read_b64 v[4:5], v2
	s_add_i32 s6, s6, -1
	v_add_u32_e32 v2, 0x200, v2
	s_cmp_lg_u32 s6, 0
	s_waitcnt lgkmcnt(0)
	global_store_dwordx2 v[0:1], v[4:5], off
	v_add_co_u32_e32 v0, vcc, 8, v0
	v_addc_co_u32_e32 v1, vcc, 0, v1, vcc
	s_cbranch_scc1 .LBB173_110
.LBB173_111:
	s_endpgm
	.section	.rodata,"a",@progbits
	.p2align	6, 0x0
	.amdhsa_kernel _ZL38rocblas_trsm_small_left_device_sharedBILi64ELi32ELb0E19rocblas_complex_numIfES1_PKS1_PS1_Ev13rocblas_fill_18rocblas_operation_17rocblas_diagonal_iiT3_T4_lilT5_lili
		.amdhsa_group_segment_fixed_size 65536
		.amdhsa_private_segment_fixed_size 272
		.amdhsa_kernarg_size 360
		.amdhsa_user_sgpr_count 8
		.amdhsa_user_sgpr_private_segment_buffer 1
		.amdhsa_user_sgpr_dispatch_ptr 0
		.amdhsa_user_sgpr_queue_ptr 0
		.amdhsa_user_sgpr_kernarg_segment_ptr 1
		.amdhsa_user_sgpr_dispatch_id 0
		.amdhsa_user_sgpr_flat_scratch_init 1
		.amdhsa_user_sgpr_kernarg_preload_length 0
		.amdhsa_user_sgpr_kernarg_preload_offset 0
		.amdhsa_user_sgpr_private_segment_size 0
		.amdhsa_uses_dynamic_stack 0
		.amdhsa_system_sgpr_private_segment_wavefront_offset 1
		.amdhsa_system_sgpr_workgroup_id_x 1
		.amdhsa_system_sgpr_workgroup_id_y 0
		.amdhsa_system_sgpr_workgroup_id_z 1
		.amdhsa_system_sgpr_workgroup_info 0
		.amdhsa_system_vgpr_workitem_id 0
		.amdhsa_next_free_vgpr 44
		.amdhsa_next_free_sgpr 66
		.amdhsa_accum_offset 44
		.amdhsa_reserve_vcc 1
		.amdhsa_reserve_flat_scratch 0
		.amdhsa_float_round_mode_32 0
		.amdhsa_float_round_mode_16_64 0
		.amdhsa_float_denorm_mode_32 3
		.amdhsa_float_denorm_mode_16_64 3
		.amdhsa_dx10_clamp 1
		.amdhsa_ieee_mode 1
		.amdhsa_fp16_overflow 0
		.amdhsa_tg_split 0
		.amdhsa_exception_fp_ieee_invalid_op 0
		.amdhsa_exception_fp_denorm_src 0
		.amdhsa_exception_fp_ieee_div_zero 0
		.amdhsa_exception_fp_ieee_overflow 0
		.amdhsa_exception_fp_ieee_underflow 0
		.amdhsa_exception_fp_ieee_inexact 0
		.amdhsa_exception_int_div_zero 0
	.end_amdhsa_kernel
	.section	.text._ZL38rocblas_trsm_small_left_device_sharedBILi64ELi32ELb0E19rocblas_complex_numIfES1_PKS1_PS1_Ev13rocblas_fill_18rocblas_operation_17rocblas_diagonal_iiT3_T4_lilT5_lili,"axG",@progbits,_ZL38rocblas_trsm_small_left_device_sharedBILi64ELi32ELb0E19rocblas_complex_numIfES1_PKS1_PS1_Ev13rocblas_fill_18rocblas_operation_17rocblas_diagonal_iiT3_T4_lilT5_lili,comdat
.Lfunc_end173:
	.size	_ZL38rocblas_trsm_small_left_device_sharedBILi64ELi32ELb0E19rocblas_complex_numIfES1_PKS1_PS1_Ev13rocblas_fill_18rocblas_operation_17rocblas_diagonal_iiT3_T4_lilT5_lili, .Lfunc_end173-_ZL38rocblas_trsm_small_left_device_sharedBILi64ELi32ELb0E19rocblas_complex_numIfES1_PKS1_PS1_Ev13rocblas_fill_18rocblas_operation_17rocblas_diagonal_iiT3_T4_lilT5_lili
                                        ; -- End function
	.section	.AMDGPU.csdata,"",@progbits
; Kernel info:
; codeLenInByte = 5288
; NumSgprs: 70
; NumVgprs: 44
; NumAgprs: 0
; TotalNumVgprs: 44
; ScratchSize: 272
; MemoryBound: 0
; FloatMode: 240
; IeeeMode: 1
; LDSByteSize: 65536 bytes/workgroup (compile time only)
; SGPRBlocks: 8
; VGPRBlocks: 5
; NumSGPRsForWavesPerEU: 70
; NumVGPRsForWavesPerEU: 44
; AccumOffset: 44
; Occupancy: 1
; WaveLimiterHint : 0
; COMPUTE_PGM_RSRC2:SCRATCH_EN: 1
; COMPUTE_PGM_RSRC2:USER_SGPR: 8
; COMPUTE_PGM_RSRC2:TRAP_HANDLER: 0
; COMPUTE_PGM_RSRC2:TGID_X_EN: 1
; COMPUTE_PGM_RSRC2:TGID_Y_EN: 0
; COMPUTE_PGM_RSRC2:TGID_Z_EN: 1
; COMPUTE_PGM_RSRC2:TIDIG_COMP_CNT: 0
; COMPUTE_PGM_RSRC3_GFX90A:ACCUM_OFFSET: 10
; COMPUTE_PGM_RSRC3_GFX90A:TG_SPLIT: 0
	.section	.text._ZL30rocblas_trsm_small_left_deviceILi64ELi32ELb0E19rocblas_complex_numIfES1_PKS1_PS1_Ev13rocblas_fill_18rocblas_operation_17rocblas_diagonal_iiT3_T4_lilT5_lili,"axG",@progbits,_ZL30rocblas_trsm_small_left_deviceILi64ELi32ELb0E19rocblas_complex_numIfES1_PKS1_PS1_Ev13rocblas_fill_18rocblas_operation_17rocblas_diagonal_iiT3_T4_lilT5_lili,comdat
	.globl	_ZL30rocblas_trsm_small_left_deviceILi64ELi32ELb0E19rocblas_complex_numIfES1_PKS1_PS1_Ev13rocblas_fill_18rocblas_operation_17rocblas_diagonal_iiT3_T4_lilT5_lili ; -- Begin function _ZL30rocblas_trsm_small_left_deviceILi64ELi32ELb0E19rocblas_complex_numIfES1_PKS1_PS1_Ev13rocblas_fill_18rocblas_operation_17rocblas_diagonal_iiT3_T4_lilT5_lili
	.p2align	8
	.type	_ZL30rocblas_trsm_small_left_deviceILi64ELi32ELb0E19rocblas_complex_numIfES1_PKS1_PS1_Ev13rocblas_fill_18rocblas_operation_17rocblas_diagonal_iiT3_T4_lilT5_lili,@function
_ZL30rocblas_trsm_small_left_deviceILi64ELi32ELb0E19rocblas_complex_numIfES1_PKS1_PS1_Ev13rocblas_fill_18rocblas_operation_17rocblas_diagonal_iiT3_T4_lilT5_lili: ; @_ZL30rocblas_trsm_small_left_deviceILi64ELi32ELb0E19rocblas_complex_numIfES1_PKS1_PS1_Ev13rocblas_fill_18rocblas_operation_17rocblas_diagonal_iiT3_T4_lilT5_lili
; %bb.0:
	s_add_u32 s0, s0, s10
	s_load_dwordx4 s[16:19], s[4:5], 0x4
	s_load_dwordx2 s[24:25], s[4:5], 0x14
	s_load_dwordx4 s[12:15], s[4:5], 0x38
	s_load_dwordx2 s[26:27], s[4:5], 0x48
	s_load_dword s43, s[4:5], 0x68
	s_addc_u32 s1, s1, 0
	s_waitcnt lgkmcnt(0)
	s_min_i32 s42, s18, 64
	s_mov_b32 s44, 0
	s_add_i32 s33, s42, -1
	v_cmp_gt_i32_e32 vcc, s42, v0
	s_and_saveexec_b64 s[28:29], vcc
	s_cbranch_execz .LBB174_35
; %bb.1:
	s_load_dword s30, s[4:5], 0x30
	s_load_dwordx4 s[20:23], s[4:5], 0x20
	s_mul_i32 s6, s9, s13
	s_mul_hi_u32 s7, s9, s12
	s_mul_i32 s12, s9, s12
	s_waitcnt lgkmcnt(0)
	s_ashr_i32 s31, s30, 31
	s_cmpk_lg_i32 s16, 0x71
	s_cselect_b64 s[34:35], -1, 0
	s_add_i32 s13, s7, s6
	v_cndmask_b32_e64 v2, 0, 1, s[34:35]
	s_cmp_lt_u32 s33, 3
	v_lshlrev_b32_e32 v1, 3, v0
	v_cmp_ne_u32_e64 s[6:7], 1, v2
	s_cbranch_scc1 .LBB174_20
; %bb.2:
	s_lshl_b64 s[10:11], s[12:13], 3
	s_add_u32 s18, s20, s10
	s_addc_u32 s36, s21, s11
	s_lshl_b64 s[10:11], s[22:23], 3
	s_add_u32 s10, s18, s10
	s_addc_u32 s11, s36, s11
	v_mov_b32_e32 v3, s11
	v_add_co_u32_e32 v2, vcc, s10, v1
	s_mul_hi_i32 s10, s30, 24
	s_lshl_b64 s[36:37], s[30:31], 5
	s_lshl_b64 s[38:39], s[30:31], 4
	;; [unrolled: 1-line block ×3, first 2 shown]
	v_addc_co_u32_e32 v3, vcc, 0, v3, vcc
	s_and_b32 s44, s42, -4
	s_mul_i32 s18, s30, 24
	s_mov_b32 s45, 0
	v_mov_b32_e32 v8, s41
	v_mov_b32_e32 v9, s39
	;; [unrolled: 1-line block ×5, first 2 shown]
	s_branch .LBB174_4
.LBB174_3:                              ;   in Loop: Header=BB174_4 Depth=1
	global_load_dword v4, v[6:7], off
	s_add_i32 s45, s45, 4
	v_add_co_u32_e32 v2, vcc, s36, v2
	v_addc_co_u32_e32 v3, vcc, v3, v11, vcc
	s_cmp_eq_u32 s44, s45
	s_waitcnt vmcnt(0)
	ds_write_b64 v12, v[4:5] offset:1536
	v_add_u32_e32 v12, 0x800, v12
	s_cbranch_scc1 .LBB174_20
.LBB174_4:                              ; =>This Inner Loop Header: Depth=1
	s_and_b64 vcc, exec, s[34:35]
	s_cbranch_vccz .LBB174_6
; %bb.5:                                ;   in Loop: Header=BB174_4 Depth=1
	global_load_dword v5, v[2:3], off offset:4
	s_cbranch_execz .LBB174_7
	s_branch .LBB174_8
.LBB174_6:                              ;   in Loop: Header=BB174_4 Depth=1
                                        ; implicit-def: $vgpr5
.LBB174_7:                              ;   in Loop: Header=BB174_4 Depth=1
	global_load_dword v4, v[2:3], off offset:4
	s_waitcnt vmcnt(0)
	v_xor_b32_e32 v5, 0x80000000, v4
.LBB174_8:                              ;   in Loop: Header=BB174_4 Depth=1
	global_load_dword v4, v[2:3], off
	v_add_co_u32_e64 v6, s[10:11], s40, v2
	s_and_b64 vcc, exec, s[6:7]
	v_addc_co_u32_e64 v7, s[10:11], v3, v8, s[10:11]
	s_waitcnt vmcnt(0)
	ds_write_b64 v12, v[4:5]
	s_cbranch_vccnz .LBB174_10
; %bb.9:                                ;   in Loop: Header=BB174_4 Depth=1
	global_load_dword v5, v[6:7], off offset:4
	s_cbranch_execz .LBB174_11
	s_branch .LBB174_12
.LBB174_10:                             ;   in Loop: Header=BB174_4 Depth=1
                                        ; implicit-def: $vgpr5
.LBB174_11:                             ;   in Loop: Header=BB174_4 Depth=1
	global_load_dword v4, v[6:7], off offset:4
	s_waitcnt vmcnt(0)
	v_xor_b32_e32 v5, 0x80000000, v4
.LBB174_12:                             ;   in Loop: Header=BB174_4 Depth=1
	global_load_dword v4, v[6:7], off
	v_add_co_u32_e64 v6, s[10:11], s38, v2
	s_and_b64 vcc, exec, s[6:7]
	v_addc_co_u32_e64 v7, s[10:11], v3, v9, s[10:11]
	s_waitcnt vmcnt(0)
	ds_write_b64 v12, v[4:5] offset:512
	s_cbranch_vccnz .LBB174_14
; %bb.13:                               ;   in Loop: Header=BB174_4 Depth=1
	global_load_dword v5, v[6:7], off offset:4
	s_cbranch_execz .LBB174_15
	s_branch .LBB174_16
.LBB174_14:                             ;   in Loop: Header=BB174_4 Depth=1
                                        ; implicit-def: $vgpr5
.LBB174_15:                             ;   in Loop: Header=BB174_4 Depth=1
	global_load_dword v4, v[6:7], off offset:4
	s_waitcnt vmcnt(0)
	v_xor_b32_e32 v5, 0x80000000, v4
.LBB174_16:                             ;   in Loop: Header=BB174_4 Depth=1
	global_load_dword v4, v[6:7], off
	v_add_co_u32_e64 v6, s[10:11], s18, v2
	s_and_b64 vcc, exec, s[6:7]
	v_addc_co_u32_e64 v7, s[10:11], v3, v10, s[10:11]
	s_waitcnt vmcnt(0)
	ds_write_b64 v12, v[4:5] offset:1024
	s_cbranch_vccnz .LBB174_18
; %bb.17:                               ;   in Loop: Header=BB174_4 Depth=1
	global_load_dword v5, v[6:7], off offset:4
	s_cbranch_execnz .LBB174_3
	s_branch .LBB174_19
.LBB174_18:                             ;   in Loop: Header=BB174_4 Depth=1
                                        ; implicit-def: $vgpr5
.LBB174_19:                             ;   in Loop: Header=BB174_4 Depth=1
	global_load_dword v4, v[6:7], off offset:4
	s_waitcnt vmcnt(0)
	v_xor_b32_e32 v5, 0x80000000, v4
	s_branch .LBB174_3
.LBB174_20:
	s_and_b32 s18, s42, 3
	s_cmp_eq_u32 s18, 0
	s_cbranch_scc1 .LBB174_27
; %bb.21:
	s_lshl_b64 s[10:11], s[12:13], 3
	s_mul_i32 s12, s31, s44
	s_mul_hi_u32 s13, s30, s44
	s_add_i32 s13, s13, s12
	s_mul_i32 s12, s30, s44
	s_lshl_b64 s[12:13], s[12:13], 3
	s_add_u32 s12, s10, s12
	s_addc_u32 s13, s11, s13
	s_lshl_b64 s[10:11], s[22:23], 3
	s_add_u32 s10, s12, s10
	s_addc_u32 s11, s13, s11
	s_add_u32 s10, s20, s10
	s_addc_u32 s11, s21, s11
	v_lshl_or_b32 v6, s44, 9, v1
	v_mov_b32_e32 v2, s11
	v_add_co_u32_e32 v1, vcc, s10, v1
	v_addc_co_u32_e32 v3, vcc, 0, v2, vcc
	v_add_co_u32_e32 v2, vcc, 4, v1
	s_lshl_b64 s[10:11], s[30:31], 3
	v_addc_co_u32_e32 v3, vcc, 0, v3, vcc
	v_mov_b32_e32 v1, s11
	s_branch .LBB174_23
.LBB174_22:                             ;   in Loop: Header=BB174_23 Depth=1
	global_load_dword v4, v[2:3], off offset:-4
	s_add_i32 s18, s18, -1
	v_add_co_u32_e32 v2, vcc, s10, v2
	s_cmp_lg_u32 s18, 0
	v_addc_co_u32_e32 v3, vcc, v3, v1, vcc
	s_waitcnt vmcnt(0)
	ds_write_b64 v6, v[4:5]
	v_add_u32_e32 v6, 0x200, v6
	s_cbranch_scc0 .LBB174_27
.LBB174_23:                             ; =>This Inner Loop Header: Depth=1
	s_and_b64 vcc, exec, s[6:7]
	s_cbranch_vccnz .LBB174_25
; %bb.24:                               ;   in Loop: Header=BB174_23 Depth=1
	global_load_dword v5, v[2:3], off
	s_cbranch_execnz .LBB174_22
	s_branch .LBB174_26
.LBB174_25:                             ;   in Loop: Header=BB174_23 Depth=1
                                        ; implicit-def: $vgpr5
.LBB174_26:                             ;   in Loop: Header=BB174_23 Depth=1
	global_load_dword v4, v[2:3], off
	s_waitcnt vmcnt(0)
	v_xor_b32_e32 v5, 0x80000000, v4
	s_branch .LBB174_22
.LBB174_27:
	v_mul_u32_u24_e32 v1, 0x41, v0
	s_cmpk_lg_i32 s17, 0x84
	v_lshlrev_b32_e32 v1, 3, v1
	s_mov_b64 s[6:7], -1
	s_cbranch_scc0 .LBB174_33
; %bb.28:
	ds_read_b64 v[2:3], v1
	s_mov_b32 s6, 0
	s_waitcnt lgkmcnt(0)
	v_cmp_gt_f32_e32 vcc, 0, v3
	v_cndmask_b32_e64 v4, v3, -v3, vcc
	v_cmp_gt_f32_e32 vcc, 0, v2
	v_cndmask_b32_e64 v5, v2, -v2, vcc
	v_cmp_ngt_f32_e32 vcc, v5, v4
                                        ; implicit-def: $vgpr4_vgpr5
	s_and_saveexec_b64 s[10:11], vcc
	s_xor_b64 s[10:11], exec, s[10:11]
	s_cbranch_execz .LBB174_30
; %bb.29:
	v_div_scale_f32 v4, s[12:13], v3, v3, v2
	v_rcp_f32_e32 v5, v4
	v_div_scale_f32 v6, vcc, v2, v3, v2
	s_mov_b32 s7, -1.0
	v_fma_f32 v7, -v4, v5, 1.0
	v_fmac_f32_e32 v5, v7, v5
	v_mul_f32_e32 v7, v6, v5
	v_fma_f32 v8, -v4, v7, v6
	v_fmac_f32_e32 v7, v8, v5
	v_fma_f32 v4, -v4, v7, v6
	v_div_fmas_f32 v4, v4, v5, v7
	v_div_fixup_f32 v4, v4, v3, v2
	v_fmac_f32_e32 v3, v2, v4
	v_div_scale_f32 v2, s[12:13], v3, v3, 1.0
	v_rcp_f32_e32 v5, v2
	v_fma_f32 v6, -v2, v5, 1.0
	v_fmac_f32_e32 v5, v6, v5
	v_div_scale_f32 v6, vcc, 1.0, v3, 1.0
	v_mul_f32_e32 v7, v6, v5
	v_fma_f32 v8, -v2, v7, v6
	v_fmac_f32_e32 v7, v8, v5
	v_fma_f32 v2, -v2, v7, v6
	v_div_fmas_f32 v2, v2, v5, v7
	v_mul_f32_e32 v5, 0, v4
	v_div_fixup_f32 v2, v2, v3, 1.0
	v_pk_add_f32 v[4:5], v[4:5], s[6:7]
	v_pk_mul_f32 v[4:5], v[4:5], v[2:3] op_sel_hi:[1,0]
                                        ; implicit-def: $vgpr2_vgpr3
.LBB174_30:
	s_andn2_saveexec_b64 s[6:7], s[10:11]
	s_cbranch_execz .LBB174_32
; %bb.31:
	v_div_scale_f32 v4, s[10:11], v2, v2, v3
	v_rcp_f32_e32 v5, v4
	v_div_scale_f32 v6, vcc, v3, v2, v3
	v_fma_f32 v7, -v4, v5, 1.0
	v_fmac_f32_e32 v5, v7, v5
	v_mul_f32_e32 v7, v6, v5
	v_fma_f32 v8, -v4, v7, v6
	v_fmac_f32_e32 v7, v8, v5
	v_fma_f32 v4, -v4, v7, v6
	v_div_fmas_f32 v4, v4, v5, v7
	v_div_fixup_f32 v5, v4, v2, v3
	v_fmac_f32_e32 v2, v3, v5
	v_div_scale_f32 v3, s[10:11], v2, v2, 1.0
	v_rcp_f32_e32 v4, v3
	s_mov_b32 s10, 1.0
	s_mov_b32 s11, 0
	v_fma_f32 v6, -v3, v4, 1.0
	v_fmac_f32_e32 v4, v6, v4
	v_div_scale_f32 v6, vcc, 1.0, v2, 1.0
	v_mul_f32_e32 v7, v6, v4
	v_fma_f32 v8, -v3, v7, v6
	v_fmac_f32_e32 v7, v8, v4
	v_fma_f32 v3, -v3, v7, v6
	v_div_fmas_f32 v3, v3, v4, v7
	v_mul_f32_e32 v4, 0, v5
	v_pk_add_f32 v[6:7], v[4:5], s[10:11]
	v_pk_add_f32 v[4:5], v[4:5], s[10:11] neg_lo:[1,0] neg_hi:[1,0]
	v_div_fixup_f32 v2, v3, v2, 1.0
	v_mov_b32_e32 v7, v5
	v_pk_mul_f32 v[4:5], v[6:7], v[2:3] op_sel_hi:[1,0]
.LBB174_32:
	s_or_b64 exec, exec, s[6:7]
	s_mov_b64 s[6:7], 0
	ds_write_b64 v1, v[4:5]
.LBB174_33:
	s_and_b64 vcc, exec, s[6:7]
	s_cbranch_vccz .LBB174_35
; %bb.34:
	v_mov_b32_e32 v2, 1.0
	v_mov_b32_e32 v3, 0
	ds_write_b64 v1, v[2:3]
.LBB174_35:
	s_or_b64 exec, exec, s[28:29]
	s_lshl_b32 s10, s8, 6
	s_add_i32 s43, s43, -1
	s_sub_i32 s6, s19, s10
	s_cmp_ge_u32 s8, s43
	s_cselect_b32 s6, s6, 64
	v_cmp_gt_i32_e32 vcc, s6, v0
	s_waitcnt lgkmcnt(0)
	; wave barrier
	s_waitcnt lgkmcnt(0)
	s_and_saveexec_b64 s[6:7], vcc
	s_cbranch_execz .LBB174_102
; %bb.36:
	s_load_dwordx2 s[6:7], s[4:5], 0x58
	s_load_dword s11, s[4:5], 0x50
	v_add_u32_e32 v0, s10, v0
	s_waitcnt lgkmcnt(0)
	s_mul_i32 s5, s9, s7
	s_mul_hi_u32 s7, s9, s6
	s_mul_i32 s4, s9, s6
	s_add_i32 s5, s7, s5
	s_lshl_b64 s[6:7], s[4:5], 3
	s_add_u32 s4, s14, s6
	s_addc_u32 s5, s15, s7
	s_lshl_b64 s[8:9], s[26:27], 3
	s_add_u32 s12, s4, s8
	s_addc_u32 s13, s5, s9
	v_mad_i64_i32 v[0:1], s[4:5], s11, v0, 0
	v_lshlrev_b64 v[0:1], 3, v[0:1]
	v_mov_b32_e32 v2, s13
	v_add_co_u32_e32 v10, vcc, s12, v0
	v_addc_co_u32_e32 v11, vcc, v2, v1, vcc
	s_cmpk_eq_i32 s16, 0x6f
	s_mov_b64 s[4:5], -1
	s_cbranch_scc1 .LBB174_70
; %bb.37:
	s_add_u32 s4, s14, s8
	s_addc_u32 s5, s15, s9
	s_add_u32 s4, s4, s6
	s_addc_u32 s5, s5, s7
	v_mov_b32_e32 v2, s5
	v_add_co_u32_e32 v3, vcc, s4, v0
	v_addc_co_u32_e32 v2, vcc, v2, v1, vcc
	v_add_co_u32_e32 v12, vcc, 4, v3
	s_mov_b32 s17, 0
	s_mov_b32 s10, s24
	;; [unrolled: 1-line block ×5, first 2 shown]
	v_addc_co_u32_e32 v13, vcc, 0, v2, vcc
	v_mov_b32_e32 v14, 0
	s_mov_b32 s16, s17
	s_mov_b32 s28, s17
	s_branch .LBB174_39
.LBB174_38:                             ;   in Loop: Header=BB174_39 Depth=1
	s_cmp_ge_i32 s28, s42
	s_cselect_b64 s[4:5], -1, 0
	s_add_i32 s16, s16, 1
	s_cmp_eq_u32 s16, 3
	s_cselect_b64 s[18:19], -1, 0
	s_or_b64 s[4:5], s[4:5], s[18:19]
	s_andn2_b64 vcc, exec, s[4:5]
	s_cbranch_vccz .LBB174_69
.LBB174_39:                             ; =>This Loop Header: Depth=1
                                        ;     Child Loop BB174_42 Depth 2
                                        ;       Child Loop BB174_44 Depth 3
                                        ;       Child Loop BB174_48 Depth 3
	;; [unrolled: 1-line block ×3, first 2 shown]
                                        ;         Child Loop BB174_54 Depth 4
                                        ;         Child Loop BB174_60 Depth 4
                                        ;       Child Loop BB174_63 Depth 3
                                        ;         Child Loop BB174_65 Depth 4
	s_lshl_b64 s[4:5], s[16:17], 2
	s_getpc_b64 s[18:19]
	s_add_u32 s18, s18, __const._ZL30rocblas_trsm_small_left_deviceILi64ELi32ELb0E19rocblas_complex_numIfES1_PKS1_PS1_Ev13rocblas_fill_18rocblas_operation_17rocblas_diagonal_iiT3_T4_lilT5_lili.step_sizes@rel32@lo+4
	s_addc_u32 s19, s19, __const._ZL30rocblas_trsm_small_left_deviceILi64ELi32ELb0E19rocblas_complex_numIfES1_PKS1_PS1_Ev13rocblas_fill_18rocblas_operation_17rocblas_diagonal_iiT3_T4_lilT5_lili.step_sizes@rel32@hi+12
	s_add_u32 s4, s4, s18
	s_addc_u32 s5, s5, s19
	s_load_dword s29, s[4:5], 0x0
	s_waitcnt lgkmcnt(0)
	s_add_i32 s30, s29, -1
	s_add_i32 s4, s30, s28
	s_cmp_ge_i32 s4, s42
	s_cbranch_scc1 .LBB174_38
; %bb.40:                               ;   in Loop: Header=BB174_39 Depth=1
	s_max_i32 s31, s29, 1
	s_cmp_lg_u32 s16, 2
	s_cselect_b64 s[18:19], -1, 0
	s_and_b32 s34, s31, 0x7ffffffe
	s_cmp_lg_u32 s31, s34
	s_cselect_b64 s[20:21], -1, 0
	s_ashr_i32 s35, s28, 31
	s_ashr_i32 s36, s29, 31
	s_mul_i32 s37, s28, 0x208
	s_mul_i32 s38, s29, 0x208
	s_branch .LBB174_42
.LBB174_41:                             ;   in Loop: Header=BB174_42 Depth=2
	s_add_u32 s28, s28, s29
	s_addc_u32 s35, s35, s36
	s_add_i32 s4, s30, s28
	s_add_i32 s37, s37, s38
	s_cmp_ge_i32 s4, s42
	s_cbranch_scc1 .LBB174_38
.LBB174_42:                             ;   Parent Loop BB174_39 Depth=1
                                        ; =>  This Loop Header: Depth=2
                                        ;       Child Loop BB174_44 Depth 3
                                        ;       Child Loop BB174_48 Depth 3
	;; [unrolled: 1-line block ×3, first 2 shown]
                                        ;         Child Loop BB174_54 Depth 4
                                        ;         Child Loop BB174_60 Depth 4
                                        ;       Child Loop BB174_63 Depth 3
                                        ;         Child Loop BB174_65 Depth 4
	s_and_b64 vcc, exec, s[18:19]
	s_cbranch_vccz .LBB174_46
; %bb.43:                               ;   in Loop: Header=BB174_42 Depth=2
	v_mov_b32_e32 v2, 0
	s_mov_b32 s22, s28
	s_mov_b32 s23, s28
	;; [unrolled: 1-line block ×5, first 2 shown]
.LBB174_44:                             ;   Parent Loop BB174_39 Depth=1
                                        ;     Parent Loop BB174_42 Depth=2
                                        ; =>    This Inner Loop Header: Depth=3
	s_add_i32 s4, s27, s22
	s_add_i32 s40, s26, s23
	s_ashr_i32 s5, s4, 31
	s_ashr_i32 s41, s40, 31
	s_lshl_b64 s[4:5], s[4:5], 3
	s_lshl_b64 s[40:41], s[40:41], 3
	v_mov_b32_e32 v3, s5
	v_add_co_u32_e64 v6, s[4:5], s4, v10
	v_mov_b32_e32 v5, s41
	v_add_co_u32_e32 v4, vcc, s40, v10
	v_addc_co_u32_e64 v7, s[4:5], v11, v3, s[4:5]
	v_addc_co_u32_e32 v5, vcc, v11, v5, vcc
	global_load_dwordx2 v[8:9], v[6:7], off
	global_load_dwordx2 v[16:17], v[4:5], off
	s_add_i32 s27, s27, 2
	s_add_i32 s26, s26, 2
	s_add_i32 s39, s39, -2
	s_mov_b32 s40, s34
	s_mov_b64 s[4:5], s[20:21]
	s_cmp_lg_u32 s39, 0
	s_waitcnt vmcnt(1)
	v_mov_b32_e32 v4, v8
	s_waitcnt vmcnt(0)
	v_mov_b32_e32 v5, v16
	v_mov_b32_e32 v16, v9
	v_pk_mul_f32 v[6:7], v[16:17], s[12:13]
	v_pk_mul_f32 v[8:9], v[16:17], s[10:11]
	v_pk_fma_f32 v[6:7], v[4:5], s[10:11], v[6:7] neg_lo:[0,0,1] neg_hi:[0,0,1]
	v_pk_fma_f32 v[4:5], v[4:5], s[12:13], v[8:9]
	buffer_store_dword v4, v2, s[0:3], 0 offen offset:4
	buffer_store_dword v6, v2, s[0:3], 0 offen
	buffer_store_dword v5, v2, s[0:3], 0 offen offset:12
	buffer_store_dword v7, v2, s[0:3], 0 offen offset:8
	v_add_u32_e32 v2, 16, v2
	s_cbranch_scc1 .LBB174_44
; %bb.45:                               ;   in Loop: Header=BB174_42 Depth=2
	s_and_b64 vcc, exec, s[4:5]
	s_cbranch_vccnz .LBB174_47
	s_branch .LBB174_49
.LBB174_46:                             ;   in Loop: Header=BB174_42 Depth=2
	s_mov_b32 s40, 0
	s_cbranch_execz .LBB174_49
.LBB174_47:                             ;   in Loop: Header=BB174_42 Depth=2
	s_sub_i32 s4, s31, s40
	s_add_u32 s22, s28, s40
	s_addc_u32 s23, s35, 0
	s_lshl_b64 s[22:23], s[22:23], 3
	v_mov_b32_e32 v3, s23
	v_add_co_u32_e32 v2, vcc, s22, v12
	s_lshl_b32 s5, s40, 3
	v_addc_co_u32_e32 v3, vcc, v13, v3, vcc
	v_add_u32_e32 v4, s5, v14
.LBB174_48:                             ;   Parent Loop BB174_39 Depth=1
                                        ;     Parent Loop BB174_42 Depth=2
                                        ; =>    This Inner Loop Header: Depth=3
	global_load_dwordx2 v[6:7], v[2:3], off offset:-4
	s_add_i32 s4, s4, -1
	v_add_co_u32_e32 v2, vcc, 8, v2
	v_addc_co_u32_e32 v3, vcc, 0, v3, vcc
	s_cmp_eq_u32 s4, 0
	s_waitcnt vmcnt(0)
	v_mul_f32_e32 v5, s25, v7
	v_mul_f32_e32 v7, s24, v7
	v_fma_f32 v5, v6, s24, -v5
	v_fmac_f32_e32 v7, s25, v6
	buffer_store_dword v5, v4, s[0:3], 0 offen
	buffer_store_dword v7, v4, s[0:3], 0 offen offset:4
	v_add_u32_e32 v4, 8, v4
	s_cbranch_scc0 .LBB174_48
.LBB174_49:                             ;   in Loop: Header=BB174_42 Depth=2
	s_cmp_lt_i32 s28, 1
	s_cbranch_scc1 .LBB174_61
; %bb.50:                               ;   in Loop: Header=BB174_42 Depth=2
	s_mov_b32 s39, s28
	s_mov_b32 s40, s28
	;; [unrolled: 1-line block ×4, first 2 shown]
	s_branch .LBB174_52
.LBB174_51:                             ;   in Loop: Header=BB174_52 Depth=3
	s_add_i32 s4, s4, 1
	s_add_i32 s41, s41, 8
	s_cmp_ge_i32 s4, s28
	s_cbranch_scc1 .LBB174_61
.LBB174_52:                             ;   Parent Loop BB174_39 Depth=1
                                        ;     Parent Loop BB174_42 Depth=2
                                        ; =>    This Loop Header: Depth=3
                                        ;         Child Loop BB174_54 Depth 4
                                        ;         Child Loop BB174_60 Depth 4
	s_mov_b32 s5, s17
	s_lshl_b64 s[22:23], s[4:5], 3
	s_waitcnt vmcnt(0)
	v_mov_b32_e32 v3, s23
	v_add_co_u32_e32 v2, vcc, s22, v10
	v_addc_co_u32_e32 v3, vcc, v11, v3, vcc
	global_load_dwordx2 v[2:3], v[2:3], off
	s_and_b64 vcc, exec, s[18:19]
	s_cbranch_vccz .LBB174_56
; %bb.53:                               ;   in Loop: Header=BB174_52 Depth=3
	s_mov_b32 s5, s4
	s_waitcnt vmcnt(0)
	v_mov_b32_e32 v6, v2
	v_mov_b32_e32 v7, v2
	;; [unrolled: 1-line block ×6, first 2 shown]
	s_mov_b32 s22, 1
	s_mov_b32 s23, 0
	;; [unrolled: 1-line block ×3, first 2 shown]
.LBB174_54:                             ;   Parent Loop BB174_39 Depth=1
                                        ;     Parent Loop BB174_42 Depth=2
                                        ;       Parent Loop BB174_52 Depth=3
                                        ; =>      This Inner Loop Header: Depth=4
	buffer_load_dword v16, v5, s[0:3], 0 offen
	buffer_load_dword v18, v5, s[0:3], 0 offen offset:4
	buffer_load_dword v17, v5, s[0:3], 0 offen offset:8
	;; [unrolled: 1-line block ×3, first 2 shown]
	s_add_i32 s27, s22, s40
	s_add_i32 s43, s23, s39
	s_lshl_b32 s43, s43, 6
	s_lshl_b32 s27, s27, 6
	s_add_i32 s27, s27, s5
	s_add_i32 s43, s43, s4
	s_lshl_b32 s43, s43, 3
	s_lshl_b32 s27, s27, 3
	v_mov_b32_e32 v15, s43
	v_mov_b32_e32 v22, s27
	ds_read_b64 v[20:21], v15
	ds_read_b64 v[22:23], v22
	s_add_i32 s23, s23, 2
	s_add_i32 s22, s22, 2
	s_add_i32 s26, s26, -2
	s_waitcnt lgkmcnt(1)
	v_mov_b32_e32 v24, v20
	s_waitcnt lgkmcnt(0)
	v_mov_b32_e32 v25, v22
	v_mov_b32_e32 v22, v21
	v_pk_mul_f32 v[20:21], v[22:23], v[8:9]
	v_pk_mul_f32 v[22:23], v[22:23], v[6:7]
	v_pk_fma_f32 v[20:21], v[24:25], v[6:7], v[20:21] neg_lo:[0,0,1] neg_hi:[0,0,1]
	v_pk_fma_f32 v[22:23], v[24:25], v[8:9], v[22:23]
	s_cmp_lg_u32 s26, 0
	s_waitcnt vmcnt(1)
	v_pk_add_f32 v[16:17], v[16:17], v[20:21] neg_lo:[0,1] neg_hi:[0,1]
	s_waitcnt vmcnt(0)
	v_pk_add_f32 v[18:19], v[18:19], v[22:23] neg_lo:[0,1] neg_hi:[0,1]
	buffer_store_dword v16, v5, s[0:3], 0 offen
	buffer_store_dword v18, v5, s[0:3], 0 offen offset:4
	buffer_store_dword v17, v5, s[0:3], 0 offen offset:8
	;; [unrolled: 1-line block ×3, first 2 shown]
	v_add_u32_e32 v5, 16, v5
	s_cbranch_scc1 .LBB174_54
; %bb.55:                               ;   in Loop: Header=BB174_52 Depth=3
	s_mov_b64 s[22:23], s[20:21]
	s_mov_b32 s26, s34
	s_branch .LBB174_58
.LBB174_56:                             ;   in Loop: Header=BB174_52 Depth=3
	s_mov_b64 s[22:23], 0
                                        ; implicit-def: $vgpr4_vgpr5
	s_mov_b32 s26, s34
	s_cbranch_execz .LBB174_58
; %bb.57:                               ;   in Loop: Header=BB174_52 Depth=3
	s_waitcnt vmcnt(0)
	v_mov_b32_e32 v4, v3
	s_mov_b64 s[22:23], -1
	s_mov_b32 s26, 0
.LBB174_58:                             ;   in Loop: Header=BB174_52 Depth=3
	s_andn2_b64 vcc, exec, s[22:23]
	s_cbranch_vccnz .LBB174_51
; %bb.59:                               ;   in Loop: Header=BB174_52 Depth=3
	s_add_i32 s22, s28, s26
	s_lshl_b32 s22, s22, 9
	s_lshl_b32 s23, s26, 3
	s_waitcnt vmcnt(0)
	v_mov_b32_e32 v5, v3
	v_mov_b32_e32 v3, v2
	s_sub_i32 s5, s31, s26
	s_add_i32 s22, s41, s22
	v_add_u32_e32 v6, s23, v14
.LBB174_60:                             ;   Parent Loop BB174_39 Depth=1
                                        ;     Parent Loop BB174_42 Depth=2
                                        ;       Parent Loop BB174_52 Depth=3
                                        ; =>      This Inner Loop Header: Depth=4
	buffer_load_dword v8, v6, s[0:3], 0 offen
	buffer_load_dword v9, v6, s[0:3], 0 offen offset:4
	v_mov_b32_e32 v7, s22
	ds_read_b64 v[16:17], v7
	s_add_i32 s5, s5, -1
	s_addk_i32 s22, 0x200
	s_cmp_eq_u32 s5, 0
	s_waitcnt lgkmcnt(0)
	v_pk_mul_f32 v[18:19], v[16:17], v[4:5]
	v_pk_fma_f32 v[20:21], v[16:17], v[2:3], v[18:19] op_sel:[0,0,1] op_sel_hi:[1,1,0] neg_lo:[0,0,1] neg_hi:[0,0,1]
	v_pk_fma_f32 v[16:17], v[16:17], v[2:3], v[18:19] op_sel:[0,0,1] op_sel_hi:[1,1,0]
	v_mov_b32_e32 v21, v17
	s_waitcnt vmcnt(0)
	v_pk_add_f32 v[8:9], v[8:9], v[20:21] neg_lo:[0,1] neg_hi:[0,1]
	buffer_store_dword v8, v6, s[0:3], 0 offen
	buffer_store_dword v9, v6, s[0:3], 0 offen offset:4
	v_add_u32_e32 v6, 8, v6
	s_cbranch_scc0 .LBB174_60
	s_branch .LBB174_51
.LBB174_61:                             ;   in Loop: Header=BB174_42 Depth=2
	s_mov_b32 s26, 0
	s_mov_b32 s27, s37
	s_branch .LBB174_63
.LBB174_62:                             ;   in Loop: Header=BB174_63 Depth=3
	s_mul_i32 s5, s4, 0x208
	v_mov_b32_e32 v4, s5
	ds_read_b64 v[4:5], v4
	s_lshl_b32 s5, s26, 3
	v_add_u32_e32 v8, s5, v14
	s_ashr_i32 s5, s4, 31
	s_lshl_b64 s[4:5], s[4:5], 3
	s_waitcnt vmcnt(0) lgkmcnt(0)
	v_mul_f32_e32 v6, v5, v3
	v_mul_f32_e32 v7, v4, v3
	v_fma_f32 v6, v4, v2, -v6
	v_fmac_f32_e32 v7, v5, v2
	v_mov_b32_e32 v3, s5
	v_add_co_u32_e32 v2, vcc, s4, v10
	s_add_i32 s26, s26, 1
	s_addk_i32 s27, 0x200
	v_addc_co_u32_e32 v3, vcc, v11, v3, vcc
	s_cmp_eq_u32 s26, s31
	buffer_store_dword v6, v8, s[0:3], 0 offen
	buffer_store_dword v7, v8, s[0:3], 0 offen offset:4
	global_store_dwordx2 v[2:3], v[6:7], off
	s_cbranch_scc1 .LBB174_41
.LBB174_63:                             ;   Parent Loop BB174_39 Depth=1
                                        ;     Parent Loop BB174_42 Depth=2
                                        ; =>    This Loop Header: Depth=3
                                        ;         Child Loop BB174_65 Depth 4
	s_cmp_lg_u32 s26, 0
	s_cbranch_scc0 .LBB174_67
; %bb.64:                               ;   in Loop: Header=BB174_63 Depth=3
	s_lshl_b32 s4, s26, 3
	v_add_u32_e32 v4, s4, v14
	buffer_load_dword v2, v4, s[0:3], 0 offen
	buffer_load_dword v3, v4, s[0:3], 0 offen offset:4
	v_mov_b32_e32 v5, 0
	s_mov_b32 s4, 0
	s_mov_b32 s5, s27
.LBB174_65:                             ;   Parent Loop BB174_39 Depth=1
                                        ;     Parent Loop BB174_42 Depth=2
                                        ;       Parent Loop BB174_63 Depth=3
                                        ; =>      This Inner Loop Header: Depth=4
	buffer_load_dword v7, v5, s[0:3], 0 offen offset:4
	buffer_load_dword v6, v5, s[0:3], 0 offen
	v_mov_b32_e32 v8, s5
	ds_read_b64 v[8:9], v8
	s_add_i32 s4, s4, 1
	s_add_i32 s5, s5, 8
	v_add_u32_e32 v5, 8, v5
	s_cmp_ge_u32 s4, s26
	s_waitcnt vmcnt(1)
	v_mov_b32_e32 v16, v7
	s_waitcnt lgkmcnt(0)
	v_pk_mul_f32 v[16:17], v[8:9], v[16:17] op_sel_hi:[1,0]
	s_waitcnt vmcnt(0)
	v_pk_fma_f32 v[18:19], v[8:9], v[6:7], v[16:17] op_sel:[0,0,1] op_sel_hi:[1,1,0] neg_lo:[0,0,1] neg_hi:[0,0,1]
	v_pk_fma_f32 v[6:7], v[8:9], v[6:7], v[16:17] op_sel:[0,0,1] op_sel_hi:[1,0,0]
	v_mov_b32_e32 v19, v7
	v_pk_add_f32 v[2:3], v[2:3], v[18:19] neg_lo:[0,1] neg_hi:[0,1]
	buffer_store_dword v2, v4, s[0:3], 0 offen
	buffer_store_dword v3, v4, s[0:3], 0 offen offset:4
	s_cbranch_scc0 .LBB174_65
; %bb.66:                               ;   in Loop: Header=BB174_63 Depth=3
	s_add_i32 s4, s26, s28
	s_branch .LBB174_62
.LBB174_67:                             ;   in Loop: Header=BB174_63 Depth=3
                                        ; implicit-def: $vgpr2
                                        ; implicit-def: $sgpr4
	s_cbranch_execz .LBB174_62
; %bb.68:                               ;   in Loop: Header=BB174_63 Depth=3
	buffer_load_dword v2, off, s[0:3], 0
	buffer_load_dword v3, off, s[0:3], 0 offset:4
	s_mov_b32 s4, s28
	s_branch .LBB174_62
.LBB174_69:
	s_mov_b64 s[4:5], 0
.LBB174_70:
	s_and_b64 vcc, exec, s[4:5]
	s_cbranch_vccz .LBB174_102
; %bb.71:
	s_add_u32 s4, s14, s8
	s_addc_u32 s5, s15, s9
	s_add_u32 s4, s4, s6
	s_addc_u32 s5, s5, s7
	v_mov_b32_e32 v2, s5
	v_add_co_u32_e32 v0, vcc, s4, v0
	v_addc_co_u32_e32 v1, vcc, v2, v1, vcc
	v_add_co_u32_e32 v8, vcc, 4, v0
	s_lshl_b32 s26, s42, 9
	s_mov_b32 s7, 0
	s_mov_b32 s10, s24
	;; [unrolled: 1-line block ×5, first 2 shown]
	v_addc_co_u32_e32 v9, vcc, 0, v1, vcc
	s_addk_i32 s26, 0xfe00
	v_mov_b32_e32 v12, 0
	s_mov_b32 s8, s33
	s_mov_b32 s14, s7
	s_branch .LBB174_73
.LBB174_72:                             ;   in Loop: Header=BB174_73 Depth=1
	s_cmp_lt_i32 s8, 0
	s_cselect_b64 s[4:5], -1, 0
	s_add_i32 s14, s14, 1
	s_cmp_eq_u32 s14, 3
	s_cselect_b64 s[16:17], -1, 0
	s_or_b64 s[4:5], s[4:5], s[16:17]
	s_and_b64 vcc, exec, s[4:5]
	s_cbranch_vccnz .LBB174_102
.LBB174_73:                             ; =>This Loop Header: Depth=1
                                        ;     Child Loop BB174_76 Depth 2
                                        ;       Child Loop BB174_78 Depth 3
                                        ;       Child Loop BB174_82 Depth 3
	;; [unrolled: 1-line block ×3, first 2 shown]
                                        ;         Child Loop BB174_95 Depth 4
                                        ;         Child Loop BB174_101 Depth 4
                                        ;       Child Loop BB174_86 Depth 3
                                        ;         Child Loop BB174_88 Depth 4
	s_mov_b32 s15, s7
	s_lshl_b64 s[4:5], s[14:15], 2
	s_getpc_b64 s[16:17]
	s_add_u32 s16, s16, __const._ZL30rocblas_trsm_small_left_deviceILi64ELi32ELb0E19rocblas_complex_numIfES1_PKS1_PS1_Ev13rocblas_fill_18rocblas_operation_17rocblas_diagonal_iiT3_T4_lilT5_lili.step_sizes@rel32@lo+4
	s_addc_u32 s17, s17, __const._ZL30rocblas_trsm_small_left_deviceILi64ELi32ELb0E19rocblas_complex_numIfES1_PKS1_PS1_Ev13rocblas_fill_18rocblas_operation_17rocblas_diagonal_iiT3_T4_lilT5_lili.step_sizes@rel32@hi+12
	s_add_u32 s4, s4, s16
	s_addc_u32 s5, s5, s17
	s_load_dword s15, s[4:5], 0x0
	s_waitcnt lgkmcnt(0)
	s_add_i32 s27, s15, -1
	s_cmp_lt_i32 s8, s27
	s_cbranch_scc1 .LBB174_72
; %bb.74:                               ;   in Loop: Header=BB174_73 Depth=1
	s_max_i32 s28, s15, 1
	s_cmp_lg_u32 s14, 2
	s_cselect_b64 s[16:17], -1, 0
	s_and_b32 s29, s28, 0x7ffffffe
	s_cmp_lg_u32 s28, s29
	s_cselect_b64 s[18:19], -1, 0
	s_lshl_b32 s4, s8, 3
	s_add_i32 s30, s26, s4
	s_lshl_b32 s4, s15, 3
	s_sub_i32 s31, 0, s4
	s_mul_i32 s34, s8, 0x208
	s_mul_i32 s35, s15, 0xfffffdf8
	s_branch .LBB174_76
.LBB174_75:                             ;   in Loop: Header=BB174_76 Depth=2
	s_sub_i32 s8, s8, s15
	s_add_i32 s30, s30, s31
	s_add_i32 s34, s34, s35
	s_cmp_lt_i32 s8, s27
	s_cbranch_scc1 .LBB174_72
.LBB174_76:                             ;   Parent Loop BB174_73 Depth=1
                                        ; =>  This Loop Header: Depth=2
                                        ;       Child Loop BB174_78 Depth 3
                                        ;       Child Loop BB174_82 Depth 3
	;; [unrolled: 1-line block ×3, first 2 shown]
                                        ;         Child Loop BB174_95 Depth 4
                                        ;         Child Loop BB174_101 Depth 4
                                        ;       Child Loop BB174_86 Depth 3
                                        ;         Child Loop BB174_88 Depth 4
	s_and_b64 vcc, exec, s[16:17]
	s_cbranch_vccz .LBB174_80
; %bb.77:                               ;   in Loop: Header=BB174_76 Depth=2
	v_mov_b32_e32 v0, 0
	s_mov_b32 s9, s8
	s_mov_b32 s20, 1
	;; [unrolled: 1-line block ×4, first 2 shown]
.LBB174_78:                             ;   Parent Loop BB174_73 Depth=1
                                        ;     Parent Loop BB174_76 Depth=2
                                        ; =>    This Inner Loop Header: Depth=3
	s_sub_i32 s4, s8, s21
	s_sub_i32 s36, s9, s20
	s_ashr_i32 s5, s4, 31
	s_ashr_i32 s37, s36, 31
	s_lshl_b64 s[4:5], s[4:5], 3
	s_lshl_b64 s[36:37], s[36:37], 3
	v_mov_b32_e32 v1, s5
	v_add_co_u32_e64 v4, s[4:5], s4, v10
	v_mov_b32_e32 v3, s37
	v_add_co_u32_e32 v2, vcc, s36, v10
	v_addc_co_u32_e64 v5, s[4:5], v11, v1, s[4:5]
	v_addc_co_u32_e32 v3, vcc, v11, v3, vcc
	global_load_dwordx2 v[6:7], v[4:5], off
	global_load_dwordx2 v[14:15], v[2:3], off
	s_add_i32 s21, s21, 2
	s_add_i32 s20, s20, 2
	s_add_i32 s22, s22, -2
	s_mov_b32 s6, s29
	s_mov_b64 s[4:5], s[18:19]
	s_cmp_lg_u32 s22, 0
	s_waitcnt vmcnt(1)
	v_mov_b32_e32 v2, v6
	s_waitcnt vmcnt(0)
	v_mov_b32_e32 v3, v14
	v_mov_b32_e32 v14, v7
	v_pk_mul_f32 v[4:5], v[14:15], s[12:13]
	v_pk_mul_f32 v[6:7], v[14:15], s[10:11]
	v_pk_fma_f32 v[4:5], v[2:3], s[10:11], v[4:5] neg_lo:[0,0,1] neg_hi:[0,0,1]
	v_pk_fma_f32 v[2:3], v[2:3], s[12:13], v[6:7]
	buffer_store_dword v2, v0, s[0:3], 0 offen offset:4
	buffer_store_dword v4, v0, s[0:3], 0 offen
	buffer_store_dword v3, v0, s[0:3], 0 offen offset:12
	buffer_store_dword v5, v0, s[0:3], 0 offen offset:8
	v_add_u32_e32 v0, 16, v0
	s_cbranch_scc1 .LBB174_78
; %bb.79:                               ;   in Loop: Header=BB174_76 Depth=2
	s_ashr_i32 s9, s8, 31
	s_and_b64 vcc, exec, s[4:5]
	s_cbranch_vccnz .LBB174_81
	s_branch .LBB174_83
.LBB174_80:                             ;   in Loop: Header=BB174_76 Depth=2
	s_mov_b32 s6, 0
	s_ashr_i32 s9, s8, 31
	s_cbranch_execz .LBB174_83
.LBB174_81:                             ;   in Loop: Header=BB174_76 Depth=2
	s_lshl_b64 s[20:21], s[8:9], 3
	s_sub_i32 s4, s28, s6
	s_lshl_b64 s[22:23], s[6:7], 3
	s_sub_u32 s5, s20, s22
	s_subb_u32 s20, s21, s23
	v_mov_b32_e32 v1, s20
	v_add_co_u32_e32 v0, vcc, s5, v8
	s_lshl_b32 s5, s6, 3
	v_addc_co_u32_e32 v1, vcc, v9, v1, vcc
	v_add_u32_e32 v2, s5, v12
.LBB174_82:                             ;   Parent Loop BB174_73 Depth=1
                                        ;     Parent Loop BB174_76 Depth=2
                                        ; =>    This Inner Loop Header: Depth=3
	global_load_dwordx2 v[4:5], v[0:1], off offset:-4
	s_add_i32 s4, s4, -1
	v_add_co_u32_e32 v0, vcc, -8, v0
	v_addc_co_u32_e32 v1, vcc, -1, v1, vcc
	s_cmp_eq_u32 s4, 0
	s_waitcnt vmcnt(0)
	v_mul_f32_e32 v3, s25, v5
	v_mul_f32_e32 v5, s24, v5
	v_fma_f32 v3, v4, s24, -v3
	v_fmac_f32_e32 v5, s25, v4
	buffer_store_dword v3, v2, s[0:3], 0 offen
	buffer_store_dword v5, v2, s[0:3], 0 offen offset:4
	v_add_u32_e32 v2, 8, v2
	s_cbranch_scc0 .LBB174_82
.LBB174_83:                             ;   in Loop: Header=BB174_76 Depth=2
	s_cmp_le_i32 s33, s8
	s_mov_b32 s6, s30
	s_mov_b32 s4, s33
	s_cbranch_scc0 .LBB174_93
.LBB174_84:                             ;   in Loop: Header=BB174_76 Depth=2
	s_mov_b32 s6, 0
	s_mov_b32 s36, s34
	s_branch .LBB174_86
.LBB174_85:                             ;   in Loop: Header=BB174_86 Depth=3
	s_mulk_i32 s20, 0x208
	v_mov_b32_e32 v2, s20
	ds_read_b64 v[2:3], v2
	s_lshl_b64 s[4:5], s[4:5], 3
	s_lshl_b32 s20, s6, 3
	s_add_i32 s6, s6, 1
	s_add_i32 s36, s36, -8
	s_waitcnt vmcnt(0) lgkmcnt(0)
	v_mul_f32_e32 v4, v3, v1
	v_mul_f32_e32 v5, v2, v1
	v_fma_f32 v4, v2, v0, -v4
	v_fmac_f32_e32 v5, v3, v0
	v_mov_b32_e32 v1, s5
	v_add_co_u32_e32 v0, vcc, s4, v10
	v_add_u32_e32 v6, s20, v12
	v_addc_co_u32_e32 v1, vcc, v11, v1, vcc
	s_cmp_eq_u32 s6, s28
	buffer_store_dword v4, v6, s[0:3], 0 offen
	buffer_store_dword v5, v6, s[0:3], 0 offen offset:4
	global_store_dwordx2 v[0:1], v[4:5], off
	s_cbranch_scc1 .LBB174_75
.LBB174_86:                             ;   Parent Loop BB174_73 Depth=1
                                        ;     Parent Loop BB174_76 Depth=2
                                        ; =>    This Loop Header: Depth=3
                                        ;         Child Loop BB174_88 Depth 4
	s_cmp_lg_u32 s6, 0
	s_cbranch_scc0 .LBB174_90
; %bb.87:                               ;   in Loop: Header=BB174_86 Depth=3
	s_lshl_b32 s4, s6, 3
	v_add_u32_e32 v2, s4, v12
	buffer_load_dword v0, v2, s[0:3], 0 offen
	buffer_load_dword v1, v2, s[0:3], 0 offen offset:4
	v_mov_b32_e32 v3, 0
	s_mov_b32 s4, 0
	s_mov_b32 s5, s36
.LBB174_88:                             ;   Parent Loop BB174_73 Depth=1
                                        ;     Parent Loop BB174_76 Depth=2
                                        ;       Parent Loop BB174_86 Depth=3
                                        ; =>      This Inner Loop Header: Depth=4
	buffer_load_dword v5, v3, s[0:3], 0 offen offset:4
	buffer_load_dword v4, v3, s[0:3], 0 offen
	v_mov_b32_e32 v6, s5
	ds_read_b64 v[6:7], v6
	s_add_i32 s4, s4, 1
	s_addk_i32 s5, 0xfe00
	v_add_u32_e32 v3, 8, v3
	s_cmp_ge_u32 s4, s6
	s_waitcnt vmcnt(1)
	v_mov_b32_e32 v14, v5
	s_waitcnt lgkmcnt(0)
	v_pk_mul_f32 v[14:15], v[6:7], v[14:15] op_sel_hi:[1,0]
	s_waitcnt vmcnt(0)
	v_pk_fma_f32 v[16:17], v[6:7], v[4:5], v[14:15] op_sel:[0,0,1] op_sel_hi:[1,1,0] neg_lo:[0,0,1] neg_hi:[0,0,1]
	v_pk_fma_f32 v[4:5], v[6:7], v[4:5], v[14:15] op_sel:[0,0,1] op_sel_hi:[1,0,0]
	v_mov_b32_e32 v17, v5
	v_pk_add_f32 v[0:1], v[0:1], v[16:17] neg_lo:[0,1] neg_hi:[0,1]
	buffer_store_dword v0, v2, s[0:3], 0 offen
	buffer_store_dword v1, v2, s[0:3], 0 offen offset:4
	s_cbranch_scc0 .LBB174_88
; %bb.89:                               ;   in Loop: Header=BB174_86 Depth=3
	s_sub_i32 s20, s8, s6
	s_ashr_i32 s21, s20, 31
	s_mov_b64 s[4:5], s[20:21]
	s_branch .LBB174_85
.LBB174_90:                             ;   in Loop: Header=BB174_86 Depth=3
                                        ; implicit-def: $vgpr0
                                        ; implicit-def: $sgpr20
                                        ; implicit-def: $sgpr4_sgpr5
	s_cbranch_execz .LBB174_85
; %bb.91:                               ;   in Loop: Header=BB174_86 Depth=3
	buffer_load_dword v0, off, s[0:3], 0
	buffer_load_dword v1, off, s[0:3], 0 offset:4
	s_mov_b64 s[4:5], s[8:9]
	s_mov_b32 s20, s8
	s_branch .LBB174_85
.LBB174_92:                             ;   in Loop: Header=BB174_93 Depth=3
	s_add_i32 s4, s4, -1
	s_addk_i32 s6, 0xfe00
	s_cmp_le_i32 s4, s8
	s_cbranch_scc1 .LBB174_84
.LBB174_93:                             ;   Parent Loop BB174_73 Depth=1
                                        ;     Parent Loop BB174_76 Depth=2
                                        ; =>    This Loop Header: Depth=3
                                        ;         Child Loop BB174_95 Depth 4
                                        ;         Child Loop BB174_101 Depth 4
	s_ashr_i32 s5, s4, 31
	s_lshl_b64 s[20:21], s[4:5], 3
	s_waitcnt vmcnt(0)
	v_mov_b32_e32 v1, s21
	v_add_co_u32_e32 v0, vcc, s20, v10
	v_addc_co_u32_e32 v1, vcc, v11, v1, vcc
	global_load_dwordx2 v[0:1], v[0:1], off
	s_and_b64 vcc, exec, s[16:17]
	s_cbranch_vccz .LBB174_97
; %bb.94:                               ;   in Loop: Header=BB174_93 Depth=3
	s_lshl_b32 s5, s4, 6
	s_add_i32 s5, s5, s8
	s_mov_b32 s20, s5
	s_waitcnt vmcnt(0)
	v_mov_b32_e32 v4, v0
	v_mov_b32_e32 v5, v0
	;; [unrolled: 1-line block ×6, first 2 shown]
	s_mov_b32 s21, 1
	s_mov_b32 s22, 0
	;; [unrolled: 1-line block ×3, first 2 shown]
.LBB174_95:                             ;   Parent Loop BB174_73 Depth=1
                                        ;     Parent Loop BB174_76 Depth=2
                                        ;       Parent Loop BB174_93 Depth=3
                                        ; =>      This Inner Loop Header: Depth=4
	buffer_load_dword v14, v3, s[0:3], 0 offen
	buffer_load_dword v16, v3, s[0:3], 0 offen offset:4
	buffer_load_dword v15, v3, s[0:3], 0 offen offset:8
	;; [unrolled: 1-line block ×3, first 2 shown]
	s_sub_i32 s36, s20, s21
	s_sub_i32 s37, s5, s22
	s_lshl_b32 s37, s37, 3
	s_lshl_b32 s36, s36, 3
	v_mov_b32_e32 v13, s37
	v_mov_b32_e32 v20, s36
	ds_read_b64 v[18:19], v13
	ds_read_b64 v[20:21], v20
	s_add_i32 s22, s22, 2
	s_add_i32 s21, s21, 2
	s_add_i32 s23, s23, -2
	s_waitcnt lgkmcnt(1)
	v_mov_b32_e32 v22, v18
	s_waitcnt lgkmcnt(0)
	v_mov_b32_e32 v23, v20
	v_mov_b32_e32 v20, v19
	v_pk_mul_f32 v[18:19], v[20:21], v[6:7]
	v_pk_mul_f32 v[20:21], v[20:21], v[4:5]
	v_pk_fma_f32 v[18:19], v[22:23], v[4:5], v[18:19] neg_lo:[0,0,1] neg_hi:[0,0,1]
	v_pk_fma_f32 v[20:21], v[22:23], v[6:7], v[20:21]
	s_cmp_lg_u32 s23, 0
	s_waitcnt vmcnt(1)
	v_pk_add_f32 v[14:15], v[14:15], v[18:19] neg_lo:[0,1] neg_hi:[0,1]
	s_waitcnt vmcnt(0)
	v_pk_add_f32 v[16:17], v[16:17], v[20:21] neg_lo:[0,1] neg_hi:[0,1]
	buffer_store_dword v14, v3, s[0:3], 0 offen
	buffer_store_dword v16, v3, s[0:3], 0 offen offset:4
	buffer_store_dword v15, v3, s[0:3], 0 offen offset:8
	;; [unrolled: 1-line block ×3, first 2 shown]
	v_add_u32_e32 v3, 16, v3
	s_cbranch_scc1 .LBB174_95
; %bb.96:                               ;   in Loop: Header=BB174_93 Depth=3
	s_mov_b64 s[20:21], s[18:19]
	s_mov_b32 s22, s29
	s_branch .LBB174_99
.LBB174_97:                             ;   in Loop: Header=BB174_93 Depth=3
	s_mov_b64 s[20:21], 0
                                        ; implicit-def: $vgpr2_vgpr3
	s_mov_b32 s22, s29
	s_cbranch_execz .LBB174_99
; %bb.98:                               ;   in Loop: Header=BB174_93 Depth=3
	s_waitcnt vmcnt(0)
	v_mov_b32_e32 v2, v1
	s_mov_b64 s[20:21], -1
	s_mov_b32 s22, 0
.LBB174_99:                             ;   in Loop: Header=BB174_93 Depth=3
	s_andn2_b64 vcc, exec, s[20:21]
	s_cbranch_vccnz .LBB174_92
; %bb.100:                              ;   in Loop: Header=BB174_93 Depth=3
	s_lshl_b32 s21, s22, 3
	s_waitcnt vmcnt(0)
	v_mov_b32_e32 v3, v1
	v_mov_b32_e32 v1, v0
	s_sub_i32 s5, s6, s21
	s_sub_i32 s20, s28, s22
	v_add_u32_e32 v4, s21, v12
.LBB174_101:                            ;   Parent Loop BB174_73 Depth=1
                                        ;     Parent Loop BB174_76 Depth=2
                                        ;       Parent Loop BB174_93 Depth=3
                                        ; =>      This Inner Loop Header: Depth=4
	buffer_load_dword v6, v4, s[0:3], 0 offen
	buffer_load_dword v7, v4, s[0:3], 0 offen offset:4
	v_mov_b32_e32 v5, s5
	ds_read_b64 v[14:15], v5
	s_add_i32 s5, s5, -8
	s_add_i32 s20, s20, -1
	s_cmp_eq_u32 s20, 0
	s_waitcnt lgkmcnt(0)
	v_pk_mul_f32 v[16:17], v[14:15], v[2:3]
	v_pk_fma_f32 v[18:19], v[14:15], v[0:1], v[16:17] op_sel:[0,0,1] op_sel_hi:[1,1,0] neg_lo:[0,0,1] neg_hi:[0,0,1]
	v_pk_fma_f32 v[14:15], v[14:15], v[0:1], v[16:17] op_sel:[0,0,1] op_sel_hi:[1,1,0]
	v_mov_b32_e32 v19, v15
	s_waitcnt vmcnt(0)
	v_pk_add_f32 v[6:7], v[6:7], v[18:19] neg_lo:[0,1] neg_hi:[0,1]
	buffer_store_dword v6, v4, s[0:3], 0 offen
	buffer_store_dword v7, v4, s[0:3], 0 offen offset:4
	v_add_u32_e32 v4, 8, v4
	s_cbranch_scc0 .LBB174_101
	s_branch .LBB174_92
.LBB174_102:
	s_endpgm
	.section	.rodata,"a",@progbits
	.p2align	6, 0x0
	.amdhsa_kernel _ZL30rocblas_trsm_small_left_deviceILi64ELi32ELb0E19rocblas_complex_numIfES1_PKS1_PS1_Ev13rocblas_fill_18rocblas_operation_17rocblas_diagonal_iiT3_T4_lilT5_lili
		.amdhsa_group_segment_fixed_size 32768
		.amdhsa_private_segment_fixed_size 272
		.amdhsa_kernarg_size 360
		.amdhsa_user_sgpr_count 8
		.amdhsa_user_sgpr_private_segment_buffer 1
		.amdhsa_user_sgpr_dispatch_ptr 0
		.amdhsa_user_sgpr_queue_ptr 0
		.amdhsa_user_sgpr_kernarg_segment_ptr 1
		.amdhsa_user_sgpr_dispatch_id 0
		.amdhsa_user_sgpr_flat_scratch_init 1
		.amdhsa_user_sgpr_kernarg_preload_length 0
		.amdhsa_user_sgpr_kernarg_preload_offset 0
		.amdhsa_user_sgpr_private_segment_size 0
		.amdhsa_uses_dynamic_stack 0
		.amdhsa_system_sgpr_private_segment_wavefront_offset 1
		.amdhsa_system_sgpr_workgroup_id_x 1
		.amdhsa_system_sgpr_workgroup_id_y 0
		.amdhsa_system_sgpr_workgroup_id_z 1
		.amdhsa_system_sgpr_workgroup_info 0
		.amdhsa_system_vgpr_workitem_id 0
		.amdhsa_next_free_vgpr 26
		.amdhsa_next_free_sgpr 46
		.amdhsa_accum_offset 28
		.amdhsa_reserve_vcc 1
		.amdhsa_reserve_flat_scratch 0
		.amdhsa_float_round_mode_32 0
		.amdhsa_float_round_mode_16_64 0
		.amdhsa_float_denorm_mode_32 3
		.amdhsa_float_denorm_mode_16_64 3
		.amdhsa_dx10_clamp 1
		.amdhsa_ieee_mode 1
		.amdhsa_fp16_overflow 0
		.amdhsa_tg_split 0
		.amdhsa_exception_fp_ieee_invalid_op 0
		.amdhsa_exception_fp_denorm_src 0
		.amdhsa_exception_fp_ieee_div_zero 0
		.amdhsa_exception_fp_ieee_overflow 0
		.amdhsa_exception_fp_ieee_underflow 0
		.amdhsa_exception_fp_ieee_inexact 0
		.amdhsa_exception_int_div_zero 0
	.end_amdhsa_kernel
	.section	.text._ZL30rocblas_trsm_small_left_deviceILi64ELi32ELb0E19rocblas_complex_numIfES1_PKS1_PS1_Ev13rocblas_fill_18rocblas_operation_17rocblas_diagonal_iiT3_T4_lilT5_lili,"axG",@progbits,_ZL30rocblas_trsm_small_left_deviceILi64ELi32ELb0E19rocblas_complex_numIfES1_PKS1_PS1_Ev13rocblas_fill_18rocblas_operation_17rocblas_diagonal_iiT3_T4_lilT5_lili,comdat
.Lfunc_end174:
	.size	_ZL30rocblas_trsm_small_left_deviceILi64ELi32ELb0E19rocblas_complex_numIfES1_PKS1_PS1_Ev13rocblas_fill_18rocblas_operation_17rocblas_diagonal_iiT3_T4_lilT5_lili, .Lfunc_end174-_ZL30rocblas_trsm_small_left_deviceILi64ELi32ELb0E19rocblas_complex_numIfES1_PKS1_PS1_Ev13rocblas_fill_18rocblas_operation_17rocblas_diagonal_iiT3_T4_lilT5_lili
                                        ; -- End function
	.section	.AMDGPU.csdata,"",@progbits
; Kernel info:
; codeLenInByte = 4336
; NumSgprs: 50
; NumVgprs: 26
; NumAgprs: 0
; TotalNumVgprs: 26
; ScratchSize: 272
; MemoryBound: 0
; FloatMode: 240
; IeeeMode: 1
; LDSByteSize: 32768 bytes/workgroup (compile time only)
; SGPRBlocks: 6
; VGPRBlocks: 3
; NumSGPRsForWavesPerEU: 50
; NumVGPRsForWavesPerEU: 26
; AccumOffset: 28
; Occupancy: 1
; WaveLimiterHint : 0
; COMPUTE_PGM_RSRC2:SCRATCH_EN: 1
; COMPUTE_PGM_RSRC2:USER_SGPR: 8
; COMPUTE_PGM_RSRC2:TRAP_HANDLER: 0
; COMPUTE_PGM_RSRC2:TGID_X_EN: 1
; COMPUTE_PGM_RSRC2:TGID_Y_EN: 0
; COMPUTE_PGM_RSRC2:TGID_Z_EN: 1
; COMPUTE_PGM_RSRC2:TIDIG_COMP_CNT: 0
; COMPUTE_PGM_RSRC3_GFX90A:ACCUM_OFFSET: 6
; COMPUTE_PGM_RSRC3_GFX90A:TG_SPLIT: 0
	.section	.text._ZL38rocblas_trsm_small_left_device_sharedBILi64ELi32ELb1E19rocblas_complex_numIfES1_PKS1_PS1_Ev13rocblas_fill_18rocblas_operation_17rocblas_diagonal_iiT3_T4_lilT5_lili,"axG",@progbits,_ZL38rocblas_trsm_small_left_device_sharedBILi64ELi32ELb1E19rocblas_complex_numIfES1_PKS1_PS1_Ev13rocblas_fill_18rocblas_operation_17rocblas_diagonal_iiT3_T4_lilT5_lili,comdat
	.globl	_ZL38rocblas_trsm_small_left_device_sharedBILi64ELi32ELb1E19rocblas_complex_numIfES1_PKS1_PS1_Ev13rocblas_fill_18rocblas_operation_17rocblas_diagonal_iiT3_T4_lilT5_lili ; -- Begin function _ZL38rocblas_trsm_small_left_device_sharedBILi64ELi32ELb1E19rocblas_complex_numIfES1_PKS1_PS1_Ev13rocblas_fill_18rocblas_operation_17rocblas_diagonal_iiT3_T4_lilT5_lili
	.p2align	8
	.type	_ZL38rocblas_trsm_small_left_device_sharedBILi64ELi32ELb1E19rocblas_complex_numIfES1_PKS1_PS1_Ev13rocblas_fill_18rocblas_operation_17rocblas_diagonal_iiT3_T4_lilT5_lili,@function
_ZL38rocblas_trsm_small_left_device_sharedBILi64ELi32ELb1E19rocblas_complex_numIfES1_PKS1_PS1_Ev13rocblas_fill_18rocblas_operation_17rocblas_diagonal_iiT3_T4_lilT5_lili: ; @_ZL38rocblas_trsm_small_left_device_sharedBILi64ELi32ELb1E19rocblas_complex_numIfES1_PKS1_PS1_Ev13rocblas_fill_18rocblas_operation_17rocblas_diagonal_iiT3_T4_lilT5_lili
; %bb.0:
	s_add_u32 s0, s0, s10
	s_load_dwordx4 s[20:23], s[4:5], 0x4
	s_load_dwordx2 s[30:31], s[4:5], 0x14
	s_load_dwordx4 s[16:19], s[4:5], 0x38
	s_load_dwordx2 s[24:25], s[4:5], 0x48
	s_load_dword s42, s[4:5], 0x68
	s_addc_u32 s1, s1, 0
	s_waitcnt lgkmcnt(0)
	s_min_i32 s33, s22, 64
	s_mov_b32 s43, 0
	s_add_i32 s53, s33, -1
	v_cmp_gt_i32_e32 vcc, s33, v0
	s_and_saveexec_b64 s[26:27], vcc
	s_cbranch_execz .LBB175_35
; %bb.1:
	s_load_dword s28, s[4:5], 0x30
	s_load_dwordx4 s[12:15], s[4:5], 0x20
	s_mul_i32 s6, s9, s17
	s_mul_hi_u32 s7, s9, s16
	s_mul_i32 s16, s9, s16
	s_waitcnt lgkmcnt(0)
	s_ashr_i32 s29, s28, 31
	s_cmpk_lg_i32 s20, 0x71
	s_cselect_b64 s[34:35], -1, 0
	s_add_i32 s17, s7, s6
	v_cndmask_b32_e64 v1, 0, 1, s[34:35]
	s_cmp_lt_u32 s53, 3
	v_cmp_ne_u32_e64 s[6:7], 1, v1
	s_cbranch_scc1 .LBB175_20
; %bb.2:
	s_lshl_b64 s[10:11], s[16:17], 3
	s_add_u32 s36, s12, s10
	s_addc_u32 s37, s13, s11
	s_lshl_b64 s[10:11], s[14:15], 3
	s_add_u32 s10, s36, s10
	s_addc_u32 s11, s37, s11
	v_lshlrev_b32_e32 v1, 3, v0
	v_mov_b32_e32 v3, s11
	v_add_co_u32_e32 v2, vcc, s10, v1
	s_mul_hi_i32 s10, s28, 24
	s_lshl_b64 s[36:37], s[28:29], 5
	s_lshl_b64 s[38:39], s[28:29], 4
	s_lshl_b64 s[40:41], s[28:29], 3
	v_addc_co_u32_e32 v3, vcc, 0, v3, vcc
	s_and_b32 s43, s33, -4
	s_mul_i32 s44, s28, 24
	s_mov_b32 s45, 0
	v_mov_b32_e32 v8, s41
	v_mov_b32_e32 v9, s39
	v_mov_b32_e32 v10, s10
	v_mov_b32_e32 v11, s37
	s_branch .LBB175_4
.LBB175_3:                              ;   in Loop: Header=BB175_4 Depth=1
	global_load_dword v4, v[6:7], off
	s_add_i32 s45, s45, 4
	v_add_co_u32_e32 v2, vcc, s36, v2
	v_addc_co_u32_e32 v3, vcc, v3, v11, vcc
	s_cmp_eq_u32 s43, s45
	s_waitcnt vmcnt(0)
	ds_write_b64 v1, v[4:5] offset:1536
	v_add_u32_e32 v1, 0x800, v1
	s_cbranch_scc1 .LBB175_20
.LBB175_4:                              ; =>This Inner Loop Header: Depth=1
	s_and_b64 vcc, exec, s[34:35]
	s_cbranch_vccz .LBB175_6
; %bb.5:                                ;   in Loop: Header=BB175_4 Depth=1
	global_load_dword v5, v[2:3], off offset:4
	s_cbranch_execz .LBB175_7
	s_branch .LBB175_8
.LBB175_6:                              ;   in Loop: Header=BB175_4 Depth=1
                                        ; implicit-def: $vgpr5
.LBB175_7:                              ;   in Loop: Header=BB175_4 Depth=1
	global_load_dword v4, v[2:3], off offset:4
	s_waitcnt vmcnt(0)
	v_xor_b32_e32 v5, 0x80000000, v4
.LBB175_8:                              ;   in Loop: Header=BB175_4 Depth=1
	global_load_dword v4, v[2:3], off
	v_add_co_u32_e64 v6, s[10:11], s40, v2
	s_and_b64 vcc, exec, s[6:7]
	v_addc_co_u32_e64 v7, s[10:11], v3, v8, s[10:11]
	s_waitcnt vmcnt(0)
	ds_write_b64 v1, v[4:5]
	s_cbranch_vccnz .LBB175_10
; %bb.9:                                ;   in Loop: Header=BB175_4 Depth=1
	global_load_dword v5, v[6:7], off offset:4
	s_cbranch_execz .LBB175_11
	s_branch .LBB175_12
.LBB175_10:                             ;   in Loop: Header=BB175_4 Depth=1
                                        ; implicit-def: $vgpr5
.LBB175_11:                             ;   in Loop: Header=BB175_4 Depth=1
	global_load_dword v4, v[6:7], off offset:4
	s_waitcnt vmcnt(0)
	v_xor_b32_e32 v5, 0x80000000, v4
.LBB175_12:                             ;   in Loop: Header=BB175_4 Depth=1
	global_load_dword v4, v[6:7], off
	v_add_co_u32_e64 v6, s[10:11], s38, v2
	s_and_b64 vcc, exec, s[6:7]
	v_addc_co_u32_e64 v7, s[10:11], v3, v9, s[10:11]
	s_waitcnt vmcnt(0)
	ds_write_b64 v1, v[4:5] offset:512
	s_cbranch_vccnz .LBB175_14
; %bb.13:                               ;   in Loop: Header=BB175_4 Depth=1
	global_load_dword v5, v[6:7], off offset:4
	s_cbranch_execz .LBB175_15
	s_branch .LBB175_16
.LBB175_14:                             ;   in Loop: Header=BB175_4 Depth=1
                                        ; implicit-def: $vgpr5
.LBB175_15:                             ;   in Loop: Header=BB175_4 Depth=1
	global_load_dword v4, v[6:7], off offset:4
	s_waitcnt vmcnt(0)
	v_xor_b32_e32 v5, 0x80000000, v4
.LBB175_16:                             ;   in Loop: Header=BB175_4 Depth=1
	global_load_dword v4, v[6:7], off
	v_add_co_u32_e64 v6, s[10:11], s44, v2
	s_and_b64 vcc, exec, s[6:7]
	v_addc_co_u32_e64 v7, s[10:11], v3, v10, s[10:11]
	s_waitcnt vmcnt(0)
	ds_write_b64 v1, v[4:5] offset:1024
	s_cbranch_vccnz .LBB175_18
; %bb.17:                               ;   in Loop: Header=BB175_4 Depth=1
	global_load_dword v5, v[6:7], off offset:4
	s_cbranch_execnz .LBB175_3
	s_branch .LBB175_19
.LBB175_18:                             ;   in Loop: Header=BB175_4 Depth=1
                                        ; implicit-def: $vgpr5
.LBB175_19:                             ;   in Loop: Header=BB175_4 Depth=1
	global_load_dword v4, v[6:7], off offset:4
	s_waitcnt vmcnt(0)
	v_xor_b32_e32 v5, 0x80000000, v4
	s_branch .LBB175_3
.LBB175_20:
	s_and_b32 s34, s33, 3
	s_cmp_eq_u32 s34, 0
	s_cbranch_scc1 .LBB175_27
; %bb.21:
	s_lshl_b64 s[10:11], s[16:17], 3
	s_mul_i32 s16, s29, s43
	s_mul_hi_u32 s17, s28, s43
	s_add_i32 s17, s17, s16
	s_mul_i32 s16, s28, s43
	s_lshl_b64 s[16:17], s[16:17], 3
	s_add_u32 s16, s10, s16
	s_addc_u32 s17, s11, s17
	s_lshl_b64 s[10:11], s[14:15], 3
	s_add_u32 s10, s16, s10
	s_addc_u32 s11, s17, s11
	s_add_u32 s10, s12, s10
	v_lshlrev_b32_e32 v2, 3, v0
	s_addc_u32 s11, s13, s11
	v_lshl_or_b32 v1, s43, 9, v2
	v_mov_b32_e32 v3, s11
	v_add_co_u32_e32 v2, vcc, s10, v2
	v_addc_co_u32_e32 v3, vcc, 0, v3, vcc
	v_add_co_u32_e32 v2, vcc, 4, v2
	s_lshl_b64 s[10:11], s[28:29], 3
	v_addc_co_u32_e32 v3, vcc, 0, v3, vcc
	v_mov_b32_e32 v6, s11
	s_branch .LBB175_23
.LBB175_22:                             ;   in Loop: Header=BB175_23 Depth=1
	global_load_dword v4, v[2:3], off offset:-4
	s_add_i32 s34, s34, -1
	v_add_co_u32_e32 v2, vcc, s10, v2
	s_cmp_lg_u32 s34, 0
	v_addc_co_u32_e32 v3, vcc, v3, v6, vcc
	s_waitcnt vmcnt(0)
	ds_write_b64 v1, v[4:5]
	v_add_u32_e32 v1, 0x200, v1
	s_cbranch_scc0 .LBB175_27
.LBB175_23:                             ; =>This Inner Loop Header: Depth=1
	s_and_b64 vcc, exec, s[6:7]
	s_cbranch_vccnz .LBB175_25
; %bb.24:                               ;   in Loop: Header=BB175_23 Depth=1
	global_load_dword v5, v[2:3], off
	s_cbranch_execnz .LBB175_22
	s_branch .LBB175_26
.LBB175_25:                             ;   in Loop: Header=BB175_23 Depth=1
                                        ; implicit-def: $vgpr5
.LBB175_26:                             ;   in Loop: Header=BB175_23 Depth=1
	global_load_dword v4, v[2:3], off
	s_waitcnt vmcnt(0)
	v_xor_b32_e32 v5, 0x80000000, v4
	s_branch .LBB175_22
.LBB175_27:
	v_mul_u32_u24_e32 v1, 0x41, v0
	s_cmpk_lg_i32 s21, 0x84
	v_lshlrev_b32_e32 v1, 3, v1
	s_mov_b64 s[6:7], -1
	s_cbranch_scc0 .LBB175_33
; %bb.28:
	ds_read_b64 v[2:3], v1
	s_mov_b32 s6, 0
	s_waitcnt lgkmcnt(0)
	v_cmp_gt_f32_e32 vcc, 0, v3
	v_cndmask_b32_e64 v4, v3, -v3, vcc
	v_cmp_gt_f32_e32 vcc, 0, v2
	v_cndmask_b32_e64 v5, v2, -v2, vcc
	v_cmp_ngt_f32_e32 vcc, v5, v4
                                        ; implicit-def: $vgpr4_vgpr5
	s_and_saveexec_b64 s[10:11], vcc
	s_xor_b64 s[10:11], exec, s[10:11]
	s_cbranch_execz .LBB175_30
; %bb.29:
	v_div_scale_f32 v4, s[12:13], v3, v3, v2
	v_rcp_f32_e32 v5, v4
	v_div_scale_f32 v6, vcc, v2, v3, v2
	s_mov_b32 s7, -1.0
	v_fma_f32 v7, -v4, v5, 1.0
	v_fmac_f32_e32 v5, v7, v5
	v_mul_f32_e32 v7, v6, v5
	v_fma_f32 v8, -v4, v7, v6
	v_fmac_f32_e32 v7, v8, v5
	v_fma_f32 v4, -v4, v7, v6
	v_div_fmas_f32 v4, v4, v5, v7
	v_div_fixup_f32 v4, v4, v3, v2
	v_fmac_f32_e32 v3, v2, v4
	v_div_scale_f32 v2, s[12:13], v3, v3, 1.0
	v_rcp_f32_e32 v5, v2
	v_fma_f32 v6, -v2, v5, 1.0
	v_fmac_f32_e32 v5, v6, v5
	v_div_scale_f32 v6, vcc, 1.0, v3, 1.0
	v_mul_f32_e32 v7, v6, v5
	v_fma_f32 v8, -v2, v7, v6
	v_fmac_f32_e32 v7, v8, v5
	v_fma_f32 v2, -v2, v7, v6
	v_div_fmas_f32 v2, v2, v5, v7
	v_mul_f32_e32 v5, 0, v4
	v_div_fixup_f32 v2, v2, v3, 1.0
	v_pk_add_f32 v[4:5], v[4:5], s[6:7]
	v_pk_mul_f32 v[4:5], v[4:5], v[2:3] op_sel_hi:[1,0]
                                        ; implicit-def: $vgpr2_vgpr3
.LBB175_30:
	s_andn2_saveexec_b64 s[6:7], s[10:11]
	s_cbranch_execz .LBB175_32
; %bb.31:
	v_div_scale_f32 v4, s[10:11], v2, v2, v3
	v_rcp_f32_e32 v5, v4
	v_div_scale_f32 v6, vcc, v3, v2, v3
	v_fma_f32 v7, -v4, v5, 1.0
	v_fmac_f32_e32 v5, v7, v5
	v_mul_f32_e32 v7, v6, v5
	v_fma_f32 v8, -v4, v7, v6
	v_fmac_f32_e32 v7, v8, v5
	v_fma_f32 v4, -v4, v7, v6
	v_div_fmas_f32 v4, v4, v5, v7
	v_div_fixup_f32 v5, v4, v2, v3
	v_fmac_f32_e32 v2, v3, v5
	v_div_scale_f32 v3, s[10:11], v2, v2, 1.0
	v_rcp_f32_e32 v4, v3
	s_mov_b32 s10, 1.0
	s_mov_b32 s11, 0
	v_fma_f32 v6, -v3, v4, 1.0
	v_fmac_f32_e32 v4, v6, v4
	v_div_scale_f32 v6, vcc, 1.0, v2, 1.0
	v_mul_f32_e32 v7, v6, v4
	v_fma_f32 v8, -v3, v7, v6
	v_fmac_f32_e32 v7, v8, v4
	v_fma_f32 v3, -v3, v7, v6
	v_div_fmas_f32 v3, v3, v4, v7
	v_mul_f32_e32 v4, 0, v5
	v_pk_add_f32 v[6:7], v[4:5], s[10:11]
	v_pk_add_f32 v[4:5], v[4:5], s[10:11] neg_lo:[1,0] neg_hi:[1,0]
	v_div_fixup_f32 v2, v3, v2, 1.0
	v_mov_b32_e32 v7, v5
	v_pk_mul_f32 v[4:5], v[6:7], v[2:3] op_sel_hi:[1,0]
.LBB175_32:
	s_or_b64 exec, exec, s[6:7]
	s_mov_b64 s[6:7], 0
	ds_write_b64 v1, v[4:5]
.LBB175_33:
	s_and_b64 vcc, exec, s[6:7]
	s_cbranch_vccz .LBB175_35
; %bb.34:
	v_mov_b32_e32 v2, 1.0
	v_mov_b32_e32 v3, 0
	ds_write_b64 v1, v[2:3]
.LBB175_35:
	s_or_b64 exec, exec, s[26:27]
	s_load_dword s21, s[4:5], 0x50
	s_load_dwordx2 s[6:7], s[4:5], 0x58
	s_waitcnt lgkmcnt(0)
	s_ashr_i32 s52, s21, 31
	s_mul_i32 s5, s9, s7
	s_mul_hi_u32 s7, s9, s6
	s_mul_i32 s4, s9, s6
	s_add_i32 s5, s7, s5
	s_lshl_b64 s[16:17], s[4:5], 3
	s_add_u32 s4, s18, s16
	s_addc_u32 s5, s19, s17
	s_lshl_b64 s[24:25], s[24:25], 3
	s_add_u32 s6, s4, s24
	s_addc_u32 s7, s5, s25
	s_lshl_b32 s26, s8, 6
	s_add_i32 s42, s42, -1
	s_sub_i32 s4, s23, s26
	s_cmp_ge_u32 s8, s42
	s_cselect_b32 s8, s4, 64
	s_mul_hi_i32 s5, s21, s26
	s_mul_i32 s4, s21, s26
	s_ashr_i32 s27, s26, 31
	s_lshl_b64 s[4:5], s[4:5], 3
	s_add_u32 s23, s6, s4
	s_addc_u32 s54, s7, s5
	s_cmp_gt_i32 s22, 0
	v_cmp_gt_i32_e32 vcc, s8, v0
	s_cselect_b64 s[4:5], -1, 0
	s_mov_b32 s6, 0
	s_and_b64 s[28:29], vcc, s[4:5]
	s_and_saveexec_b64 s[34:35], s[28:29]
	s_cbranch_execz .LBB175_48
; %bb.36:
	s_cmp_lt_i32 s22, 2
	s_mov_b64 s[4:5], -1
	s_cbranch_scc1 .LBB175_45
; %bb.37:
	v_mad_i64_i32 v[2:3], s[4:5], s21, v0, 0
	s_add_i32 s5, s33, -2
	v_lshlrev_b64 v[2:3], 3, v[2:3]
	s_lshr_b32 s55, s5, 1
	v_mov_b32_e32 v4, s54
	v_add_co_u32_e32 v1, vcc, s23, v2
	s_mov_b32 s40, 1
	s_add_i32 s55, s55, 1
	s_mov_b32 s43, 0
	v_addc_co_u32_e32 v2, vcc, v4, v3, vcc
	s_mov_b32 s36, s30
	s_mov_b32 s37, s30
	;; [unrolled: 1-line block ×5, first 2 shown]
	s_cmp_lt_u32 s5, 6
	s_mov_b32 s5, s40
	s_cbranch_scc1 .LBB175_41
; %bb.38:
	s_and_b32 s56, s55, -4
	v_lshlrev_b32_e32 v3, 3, v0
	s_mov_b32 s42, s43
.LBB175_39:                             ; =>This Inner Loop Header: Depth=1
	s_lshl_b64 s[4:5], s[42:43], 3
	s_mov_b32 s41, s43
	s_add_i32 s44, s40, 2
	s_add_i32 s46, s42, 2
	s_mov_b32 s47, s43
	s_mov_b32 s45, s43
	s_add_i32 s48, s40, 4
	s_add_i32 s50, s42, 4
	s_mov_b32 s51, s43
	;; [unrolled: 4-line block ×3, first 2 shown]
	s_mov_b32 s59, s43
	v_mov_b32_e32 v5, s5
	v_add_co_u32_e32 v4, vcc, s4, v1
	s_lshl_b64 s[14:15], s[40:41], 3
	s_lshl_b64 s[6:7], s[46:47], 3
	;; [unrolled: 1-line block ×7, first 2 shown]
	v_addc_co_u32_e32 v5, vcc, v2, v5, vcc
	v_mov_b32_e32 v7, s15
	v_mov_b32_e32 v9, s7
	v_add_co_u32_e32 v6, vcc, s6, v1
	v_mov_b32_e32 v11, s9
	v_add_co_u32_e64 v8, s[4:5], s8, v1
	v_mov_b32_e32 v13, s11
	v_add_co_u32_e64 v10, s[6:7], s10, v1
	;; [unrolled: 2-line block ×5, first 2 shown]
	v_add_co_u32_e64 v18, s[14:15], s14, v1
	v_addc_co_u32_e64 v19, s[14:15], v2, v7, s[14:15]
	v_addc_co_u32_e32 v7, vcc, v2, v9, vcc
	v_addc_co_u32_e64 v9, vcc, v2, v11, s[4:5]
	v_addc_co_u32_e64 v11, vcc, v2, v13, s[6:7]
	;; [unrolled: 1-line block ×5, first 2 shown]
	global_load_dwordx2 v[20:21], v[4:5], off
	global_load_dwordx2 v[22:23], v[18:19], off
	;; [unrolled: 1-line block ×8, first 2 shown]
	v_lshl_or_b32 v36, s42, 9, v3
	v_lshl_or_b32 v37, s40, 9, v3
	s_add_i32 s42, s42, 8
	s_add_i32 s56, s56, -4
	s_add_i32 s40, s40, 8
	s_cmp_lg_u32 s56, 0
	v_lshl_or_b32 v38, s46, 9, v3
	v_lshl_or_b32 v39, s44, 9, v3
	;; [unrolled: 1-line block ×6, first 2 shown]
	s_waitcnt vmcnt(7)
	v_mov_b32_e32 v4, v20
	s_waitcnt vmcnt(6)
	v_mov_b32_e32 v5, v22
	v_mov_b32_e32 v22, v21
	s_waitcnt vmcnt(4)
	v_mov_b32_e32 v7, v26
	v_mov_b32_e32 v26, v25
	s_waitcnt vmcnt(2)
	v_mov_b32_e32 v9, v30
	v_mov_b32_e32 v30, v29
	s_waitcnt vmcnt(0)
	v_mov_b32_e32 v11, v34
	v_mov_b32_e32 v34, v33
	v_pk_mul_f32 v[12:13], s[38:39], v[22:23]
	v_pk_mul_f32 v[14:15], s[36:37], v[22:23]
	v_mov_b32_e32 v6, v24
	v_mov_b32_e32 v8, v28
	;; [unrolled: 1-line block ×3, first 2 shown]
	v_pk_mul_f32 v[16:17], s[38:39], v[26:27]
	v_pk_mul_f32 v[18:19], s[36:37], v[26:27]
	;; [unrolled: 1-line block ×6, first 2 shown]
	v_pk_fma_f32 v[12:13], s[36:37], v[4:5], v[12:13] neg_lo:[0,0,1] neg_hi:[0,0,1]
	v_pk_fma_f32 v[4:5], s[38:39], v[4:5], v[14:15]
	v_pk_fma_f32 v[14:15], s[36:37], v[6:7], v[16:17] neg_lo:[0,0,1] neg_hi:[0,0,1]
	v_pk_fma_f32 v[6:7], s[38:39], v[6:7], v[18:19]
	;; [unrolled: 2-line block ×4, first 2 shown]
	v_mov_b32_e32 v20, v12
	v_mov_b32_e32 v21, v4
	;; [unrolled: 1-line block ×12, first 2 shown]
	ds_write_b64 v36, v[20:21] offset:32768
	ds_write_b64 v37, v[4:5] offset:32768
	;; [unrolled: 1-line block ×8, first 2 shown]
	s_cbranch_scc1 .LBB175_39
; %bb.40:
	s_mov_b32 s43, s40
	s_mov_b64 s[4:5], s[42:43]
.LBB175_41:
	s_and_b32 s6, s55, 3
	s_cmp_eq_u32 s6, 0
	s_mov_b32 s7, 0
	s_cbranch_scc1 .LBB175_44
; %bb.42:
	s_sub_i32 s6, 0, s6
	v_mov_b32_e32 v3, s6
	v_lshlrev_b32_e32 v4, 3, v0
.LBB175_43:                             ; =>This Inner Loop Header: Depth=1
	s_mov_b32 s6, s4
	s_lshl_b64 s[8:9], s[6:7], 3
	s_mov_b32 s6, s5
	v_mov_b32_e32 v5, s9
	v_add_co_u32_e32 v6, vcc, s8, v1
	s_lshl_b64 s[10:11], s[6:7], 3
	v_addc_co_u32_e32 v7, vcc, v2, v5, vcc
	v_mov_b32_e32 v5, s11
	v_add_co_u32_e32 v8, vcc, s10, v1
	v_addc_co_u32_e32 v9, vcc, v2, v5, vcc
	global_load_dwordx2 v[10:11], v[6:7], off
	global_load_dwordx2 v[12:13], v[8:9], off
	v_add_co_u32_e32 v3, vcc, 1, v3
	v_lshl_or_b32 v5, s4, 9, v4
	v_lshl_or_b32 v14, s5, 9, v4
	s_add_i32 s4, s4, 2
	s_add_i32 s5, s5, 2
	s_andn2_b64 vcc, exec, vcc
	s_waitcnt vmcnt(1)
	v_mov_b32_e32 v6, v10
	s_waitcnt vmcnt(0)
	v_mov_b32_e32 v7, v12
	v_mov_b32_e32 v12, v11
	v_pk_mul_f32 v[8:9], s[38:39], v[12:13]
	v_pk_mul_f32 v[10:11], s[36:37], v[12:13]
	v_pk_fma_f32 v[8:9], s[36:37], v[6:7], v[8:9] neg_lo:[0,0,1] neg_hi:[0,0,1]
	v_pk_fma_f32 v[6:7], s[38:39], v[6:7], v[10:11]
	v_mov_b32_e32 v10, v8
	v_mov_b32_e32 v11, v6
	;; [unrolled: 1-line block ×3, first 2 shown]
	ds_write_b64 v5, v[10:11] offset:32768
	ds_write_b64 v14, v[6:7] offset:32768
	s_cbranch_vccnz .LBB175_43
.LBB175_44:
	s_and_b32 s6, s33, 0x7e
	s_cmp_lg_u32 s33, s6
	s_cselect_b64 s[4:5], -1, 0
.LBB175_45:
	s_and_b64 vcc, exec, s[4:5]
	s_cbranch_vccz .LBB175_48
; %bb.46:
	s_sub_i32 s4, s33, s6
	s_lshl_b64 s[8:9], s[26:27], 3
	s_lshl_b32 s5, s6, 3
	v_lshlrev_b32_e32 v2, 3, v0
	s_add_u32 s5, s18, s5
	v_lshl_or_b32 v1, s6, 9, v2
	s_addc_u32 s6, s19, 0
	s_add_u32 s5, s5, s24
	s_addc_u32 s7, s6, s25
	s_add_u32 s6, s5, s16
	v_mov_b32_e32 v3, s9
	v_add_co_u32_e32 v4, vcc, s8, v2
	s_addc_u32 s7, s7, s17
	v_addc_co_u32_e32 v5, vcc, 0, v3, vcc
	v_pk_mov_b32 v[2:3], s[6:7], s[6:7] op_sel:[0,1]
	v_mad_u64_u32 v[2:3], s[6:7], v4, s21, v[2:3]
	v_mul_lo_u32 v4, v4, s52
	v_mul_lo_u32 v5, v5, s21
	v_add3_u32 v3, v5, v3, v4
	v_add_co_u32_e32 v2, vcc, 4, v2
	v_add_u32_e32 v1, 0x8000, v1
	v_addc_co_u32_e32 v3, vcc, 0, v3, vcc
.LBB175_47:                             ; =>This Inner Loop Header: Depth=1
	global_load_dwordx2 v[4:5], v[2:3], off offset:-4
	s_add_i32 s4, s4, -1
	v_add_co_u32_e32 v2, vcc, 8, v2
	v_addc_co_u32_e32 v3, vcc, 0, v3, vcc
	s_cmp_lg_u32 s4, 0
	s_waitcnt vmcnt(0)
	v_mul_f32_e32 v6, s31, v5
	v_mul_f32_e32 v7, s30, v5
	v_fma_f32 v6, s30, v4, -v6
	v_fmac_f32_e32 v7, s31, v4
	ds_write_b64 v1, v[6:7]
	v_add_u32_e32 v1, 0x200, v1
	s_cbranch_scc1 .LBB175_47
.LBB175_48:
	s_or_b64 exec, exec, s[34:35]
	s_cmpk_eq_i32 s20, 0x6f
	s_mov_b64 s[4:5], -1
	s_waitcnt lgkmcnt(0)
	; wave barrier
	s_waitcnt lgkmcnt(0)
	s_cbranch_scc1 .LBB175_77
; %bb.49:
	v_mov_b32_e32 v1, 0x8000
	s_lshl_b32 s14, s33, 3
	s_mov_b32 s5, 0
	v_lshl_or_b32 v1, v0, 3, v1
	s_add_i32 s14, s14, -8
	v_lshlrev_b32_e32 v10, 3, v0
	v_mov_b32_e32 v11, 0
	s_mov_b32 s4, s5
	s_mov_b32 s15, s53
	s_branch .LBB175_51
.LBB175_50:                             ;   in Loop: Header=BB175_51 Depth=1
	s_cmp_lt_i32 s15, 0
	s_cselect_b64 s[6:7], -1, 0
	s_add_i32 s4, s4, 1
	s_cmp_eq_u32 s4, 3
	s_cselect_b64 s[8:9], -1, 0
	s_or_b64 s[6:7], s[6:7], s[8:9]
	s_andn2_b64 vcc, exec, s[6:7]
	s_cbranch_vccz .LBB175_76
.LBB175_51:                             ; =>This Loop Header: Depth=1
                                        ;     Child Loop BB175_54 Depth 2
                                        ;       Child Loop BB175_55 Depth 3
                                        ;       Child Loop BB175_59 Depth 3
                                        ;         Child Loop BB175_61 Depth 4
                                        ;         Child Loop BB175_67 Depth 4
                                        ;       Child Loop BB175_70 Depth 3
                                        ;         Child Loop BB175_72 Depth 4
	s_lshl_b64 s[6:7], s[4:5], 2
	s_getpc_b64 s[8:9]
	s_add_u32 s8, s8, __const._ZL38rocblas_trsm_small_left_device_sharedBILi64ELi32ELb1E19rocblas_complex_numIfES1_PKS1_PS1_Ev13rocblas_fill_18rocblas_operation_17rocblas_diagonal_iiT3_T4_lilT5_lili.step_sizes@rel32@lo+4
	s_addc_u32 s9, s9, __const._ZL38rocblas_trsm_small_left_device_sharedBILi64ELi32ELb1E19rocblas_complex_numIfES1_PKS1_PS1_Ev13rocblas_fill_18rocblas_operation_17rocblas_diagonal_iiT3_T4_lilT5_lili.step_sizes@rel32@hi+12
	s_add_u32 s6, s6, s8
	s_addc_u32 s7, s7, s9
	s_load_dword s20, s[6:7], 0x0
	s_waitcnt lgkmcnt(0)
	s_add_i32 s30, s20, -1
	s_cmp_lt_i32 s15, s30
	s_cbranch_scc1 .LBB175_50
; %bb.52:                               ;   in Loop: Header=BB175_51 Depth=1
	s_max_i32 s31, s20, 1
	s_cmp_lg_u32 s4, 2
	s_cselect_b64 s[6:7], -1, 0
	s_and_b32 s34, s31, 0x7ffffffe
	s_cmp_lg_u32 s31, s34
	s_cselect_b64 s[8:9], -1, 0
	s_lshl_b32 s10, s15, 9
	s_lshl_b32 s11, s20, 9
	v_add_u32_e32 v12, s10, v1
	s_sub_i32 s35, 0, s11
	s_add_i32 s36, s14, s10
	s_mul_i32 s37, s15, 0x208
	s_mul_i32 s38, s20, 0xfffffdf8
	s_branch .LBB175_54
.LBB175_53:                             ;   in Loop: Header=BB175_54 Depth=2
	s_sub_i32 s15, s15, s20
	s_add_i32 s36, s36, s35
	s_add_i32 s37, s37, s38
	s_cmp_lt_i32 s15, s30
	v_add_u32_e32 v12, s35, v12
	s_cbranch_scc1 .LBB175_50
.LBB175_54:                             ;   Parent Loop BB175_51 Depth=1
                                        ; =>  This Loop Header: Depth=2
                                        ;       Child Loop BB175_55 Depth 3
                                        ;       Child Loop BB175_59 Depth 3
                                        ;         Child Loop BB175_61 Depth 4
                                        ;         Child Loop BB175_67 Depth 4
                                        ;       Child Loop BB175_70 Depth 3
                                        ;         Child Loop BB175_72 Depth 4
	v_mov_b32_e32 v2, 0
	v_mov_b32_e32 v3, v12
	s_mov_b32 s10, s31
.LBB175_55:                             ;   Parent Loop BB175_51 Depth=1
                                        ;     Parent Loop BB175_54 Depth=2
                                        ; =>    This Inner Loop Header: Depth=3
	ds_read_b64 v[4:5], v3
	s_add_i32 s10, s10, -1
	v_add_u32_e32 v3, 0xfffffe00, v3
	s_cmp_eq_u32 s10, 0
	s_waitcnt lgkmcnt(0)
	buffer_store_dword v5, v2, s[0:3], 0 offen offset:4
	buffer_store_dword v4, v2, s[0:3], 0 offen
	v_add_u32_e32 v2, 8, v2
	s_cbranch_scc0 .LBB175_55
; %bb.56:                               ;   in Loop: Header=BB175_54 Depth=2
	s_cmp_le_i32 s53, s15
	s_cbranch_scc1 .LBB175_68
; %bb.57:                               ;   in Loop: Header=BB175_54 Depth=2
	s_mov_b32 s39, s15
	s_mov_b32 s40, s36
	;; [unrolled: 1-line block ×3, first 2 shown]
	s_branch .LBB175_59
.LBB175_58:                             ;   in Loop: Header=BB175_59 Depth=3
	s_add_i32 s41, s41, -1
	s_add_i32 s40, s40, -8
	s_cmp_le_i32 s41, s15
	s_cbranch_scc1 .LBB175_68
.LBB175_59:                             ;   Parent Loop BB175_51 Depth=1
                                        ;     Parent Loop BB175_54 Depth=2
                                        ; =>    This Loop Header: Depth=3
                                        ;         Child Loop BB175_61 Depth 4
                                        ;         Child Loop BB175_67 Depth 4
	s_waitcnt lgkmcnt(0)
	v_lshl_or_b32 v2, s41, 9, v10
	ds_read_b64 v[2:3], v2 offset:32768
	s_and_b64 vcc, exec, s[6:7]
	s_cbranch_vccz .LBB175_63
; %bb.60:                               ;   in Loop: Header=BB175_59 Depth=3
	s_mov_b32 s10, s41
	s_waitcnt lgkmcnt(0)
	v_mov_b32_e32 v6, v2
	v_mov_b32_e32 v7, v2
	;; [unrolled: 1-line block ×6, first 2 shown]
	s_mov_b32 s11, 1
	s_mov_b32 s12, 0
	;; [unrolled: 1-line block ×3, first 2 shown]
.LBB175_61:                             ;   Parent Loop BB175_51 Depth=1
                                        ;     Parent Loop BB175_54 Depth=2
                                        ;       Parent Loop BB175_59 Depth=3
                                        ; =>      This Inner Loop Header: Depth=4
	buffer_load_dword v14, v5, s[0:3], 0 offen
	buffer_load_dword v16, v5, s[0:3], 0 offen offset:4
	buffer_load_dword v15, v5, s[0:3], 0 offen offset:8
	;; [unrolled: 1-line block ×3, first 2 shown]
	s_sub_i32 s42, s39, s11
	s_sub_i32 s43, s15, s12
	s_lshl_b32 s43, s43, 6
	s_lshl_b32 s42, s42, 6
	s_add_i32 s42, s42, s10
	s_add_i32 s43, s43, s41
	s_lshl_b32 s43, s43, 3
	s_lshl_b32 s42, s42, 3
	v_mov_b32_e32 v13, s43
	v_mov_b32_e32 v20, s42
	ds_read_b64 v[18:19], v13
	ds_read_b64 v[20:21], v20
	s_add_i32 s12, s12, 2
	s_add_i32 s11, s11, 2
	s_add_i32 s13, s13, -2
	s_waitcnt lgkmcnt(1)
	v_mov_b32_e32 v22, v18
	s_waitcnt lgkmcnt(0)
	v_mov_b32_e32 v23, v20
	v_mov_b32_e32 v20, v19
	v_pk_mul_f32 v[18:19], v[20:21], v[8:9]
	v_pk_mul_f32 v[20:21], v[20:21], v[6:7]
	v_pk_fma_f32 v[18:19], v[22:23], v[6:7], v[18:19] neg_lo:[0,0,1] neg_hi:[0,0,1]
	v_pk_fma_f32 v[20:21], v[22:23], v[8:9], v[20:21]
	s_cmp_lg_u32 s13, 0
	s_waitcnt vmcnt(1)
	v_pk_add_f32 v[14:15], v[14:15], v[18:19] neg_lo:[0,1] neg_hi:[0,1]
	s_waitcnt vmcnt(0)
	v_pk_add_f32 v[16:17], v[16:17], v[20:21] neg_lo:[0,1] neg_hi:[0,1]
	buffer_store_dword v14, v5, s[0:3], 0 offen
	buffer_store_dword v16, v5, s[0:3], 0 offen offset:4
	buffer_store_dword v15, v5, s[0:3], 0 offen offset:8
	;; [unrolled: 1-line block ×3, first 2 shown]
	v_add_u32_e32 v5, 16, v5
	s_cbranch_scc1 .LBB175_61
; %bb.62:                               ;   in Loop: Header=BB175_59 Depth=3
	s_mov_b64 s[10:11], s[8:9]
	s_mov_b32 s12, s34
	s_branch .LBB175_65
.LBB175_63:                             ;   in Loop: Header=BB175_59 Depth=3
	s_mov_b64 s[10:11], 0
                                        ; implicit-def: $vgpr4_vgpr5
	s_mov_b32 s12, s34
	s_cbranch_execz .LBB175_65
; %bb.64:                               ;   in Loop: Header=BB175_59 Depth=3
	s_waitcnt lgkmcnt(0)
	v_mov_b32_e32 v4, v3
	s_mov_b64 s[10:11], -1
	s_mov_b32 s12, 0
.LBB175_65:                             ;   in Loop: Header=BB175_59 Depth=3
	s_andn2_b64 vcc, exec, s[10:11]
	s_cbranch_vccnz .LBB175_58
; %bb.66:                               ;   in Loop: Header=BB175_59 Depth=3
	s_sub_i32 s10, s31, s12
	s_lshl_b32 s11, s12, 9
	s_lshl_b32 s12, s12, 3
	s_waitcnt lgkmcnt(0)
	v_mov_b32_e32 v5, v3
	v_mov_b32_e32 v3, v2
	s_sub_i32 s11, s40, s11
	v_add_u32_e32 v6, s12, v11
.LBB175_67:                             ;   Parent Loop BB175_51 Depth=1
                                        ;     Parent Loop BB175_54 Depth=2
                                        ;       Parent Loop BB175_59 Depth=3
                                        ; =>      This Inner Loop Header: Depth=4
	buffer_load_dword v8, v6, s[0:3], 0 offen
	buffer_load_dword v9, v6, s[0:3], 0 offen offset:4
	v_mov_b32_e32 v7, s11
	ds_read_b64 v[14:15], v7
	s_add_i32 s10, s10, -1
	s_addk_i32 s11, 0xfe00
	s_cmp_eq_u32 s10, 0
	s_waitcnt lgkmcnt(0)
	v_pk_mul_f32 v[16:17], v[14:15], v[4:5]
	v_pk_fma_f32 v[18:19], v[14:15], v[2:3], v[16:17] op_sel:[0,0,1] op_sel_hi:[1,1,0] neg_lo:[0,0,1] neg_hi:[0,0,1]
	v_pk_fma_f32 v[14:15], v[14:15], v[2:3], v[16:17] op_sel:[0,0,1] op_sel_hi:[1,1,0]
	v_mov_b32_e32 v19, v15
	s_waitcnt vmcnt(0)
	v_pk_add_f32 v[8:9], v[8:9], v[18:19] neg_lo:[0,1] neg_hi:[0,1]
	buffer_store_dword v8, v6, s[0:3], 0 offen
	buffer_store_dword v9, v6, s[0:3], 0 offen offset:4
	v_add_u32_e32 v6, 8, v6
	s_cbranch_scc0 .LBB175_67
	s_branch .LBB175_58
.LBB175_68:                             ;   in Loop: Header=BB175_54 Depth=2
	s_lshl_b32 s12, s15, 6
	s_mov_b32 s13, 0
	s_mov_b32 s39, s37
	s_branch .LBB175_70
.LBB175_69:                             ;   in Loop: Header=BB175_70 Depth=3
	s_mul_i32 s10, s41, 0x208
	v_mov_b32_e32 v4, s10
	ds_read_b64 v[4:5], v4
	s_lshl_b32 s10, s13, 3
	s_add_i32 s13, s13, 1
	s_addk_i32 s39, 0xfe00
	v_add_u32_e32 v8, s10, v11
	s_waitcnt vmcnt(0) lgkmcnt(0)
	v_mul_f32_e32 v6, v5, v3
	v_mul_f32_e32 v7, v4, v3
	v_fma_f32 v6, v4, v2, -v6
	v_fmac_f32_e32 v7, v5, v2
	v_add_lshl_u32 v2, s40, v0, 3
	s_cmp_eq_u32 s13, s31
	buffer_store_dword v6, v8, s[0:3], 0 offen
	buffer_store_dword v7, v8, s[0:3], 0 offen offset:4
	ds_write_b64 v2, v[6:7] offset:32768
	s_cbranch_scc1 .LBB175_53
.LBB175_70:                             ;   Parent Loop BB175_51 Depth=1
                                        ;     Parent Loop BB175_54 Depth=2
                                        ; =>    This Loop Header: Depth=3
                                        ;         Child Loop BB175_72 Depth 4
	s_cmp_lg_u32 s13, 0
	s_cbranch_scc0 .LBB175_74
; %bb.71:                               ;   in Loop: Header=BB175_70 Depth=3
	s_lshl_b32 s10, s13, 3
	v_add_u32_e32 v4, s10, v11
	s_waitcnt lgkmcnt(0)
	buffer_load_dword v2, v4, s[0:3], 0 offen
	buffer_load_dword v3, v4, s[0:3], 0 offen offset:4
	v_mov_b32_e32 v5, 0
	s_mov_b32 s10, 0
	s_mov_b32 s11, s39
.LBB175_72:                             ;   Parent Loop BB175_51 Depth=1
                                        ;     Parent Loop BB175_54 Depth=2
                                        ;       Parent Loop BB175_70 Depth=3
                                        ; =>      This Inner Loop Header: Depth=4
	buffer_load_dword v7, v5, s[0:3], 0 offen offset:4
	buffer_load_dword v6, v5, s[0:3], 0 offen
	v_mov_b32_e32 v8, s11
	ds_read_b64 v[8:9], v8
	s_add_i32 s10, s10, 1
	s_add_i32 s11, s11, -8
	v_add_u32_e32 v5, 8, v5
	s_cmp_ge_u32 s10, s13
	s_waitcnt vmcnt(1)
	v_mov_b32_e32 v14, v7
	s_waitcnt lgkmcnt(0)
	v_pk_mul_f32 v[14:15], v[8:9], v[14:15] op_sel_hi:[1,0]
	s_waitcnt vmcnt(0)
	v_pk_fma_f32 v[16:17], v[8:9], v[6:7], v[14:15] op_sel:[0,0,1] op_sel_hi:[1,1,0] neg_lo:[0,0,1] neg_hi:[0,0,1]
	v_pk_fma_f32 v[6:7], v[8:9], v[6:7], v[14:15] op_sel:[0,0,1] op_sel_hi:[1,0,0]
	v_mov_b32_e32 v17, v7
	v_pk_add_f32 v[2:3], v[2:3], v[16:17] neg_lo:[0,1] neg_hi:[0,1]
	buffer_store_dword v2, v4, s[0:3], 0 offen
	buffer_store_dword v3, v4, s[0:3], 0 offen offset:4
	s_cbranch_scc0 .LBB175_72
; %bb.73:                               ;   in Loop: Header=BB175_70 Depth=3
	s_sub_i32 s41, s15, s13
	s_lshl_b32 s40, s41, 6
	s_branch .LBB175_69
.LBB175_74:                             ;   in Loop: Header=BB175_70 Depth=3
                                        ; implicit-def: $vgpr2
                                        ; implicit-def: $sgpr41
                                        ; implicit-def: $sgpr40
	s_cbranch_execz .LBB175_69
; %bb.75:                               ;   in Loop: Header=BB175_70 Depth=3
	s_waitcnt lgkmcnt(0)
	buffer_load_dword v2, off, s[0:3], 0
	buffer_load_dword v3, off, s[0:3], 0 offset:4
	s_mov_b32 s40, s12
	s_mov_b32 s41, s15
	s_branch .LBB175_69
.LBB175_76:
	s_mov_b64 s[4:5], 0
.LBB175_77:
	s_and_b64 vcc, exec, s[4:5]
	s_cbranch_vccz .LBB175_105
; %bb.78:
	v_mov_b32_e32 v1, 0x8000
	s_mov_b32 s5, 0
	v_lshl_or_b32 v1, v0, 3, v1
	v_mov_b32_e32 v10, 0
	v_lshlrev_b32_e32 v11, 3, v0
	s_mov_b32 s4, s5
	s_mov_b32 s14, s5
	s_branch .LBB175_80
.LBB175_79:                             ;   in Loop: Header=BB175_80 Depth=1
	s_cmp_ge_i32 s14, s33
	s_cselect_b64 s[6:7], -1, 0
	s_add_i32 s4, s4, 1
	s_cmp_eq_u32 s4, 3
	s_cselect_b64 s[8:9], -1, 0
	s_or_b64 s[6:7], s[6:7], s[8:9]
	s_and_b64 vcc, exec, s[6:7]
	s_cbranch_vccnz .LBB175_105
.LBB175_80:                             ; =>This Loop Header: Depth=1
                                        ;     Child Loop BB175_83 Depth 2
                                        ;       Child Loop BB175_84 Depth 3
                                        ;       Child Loop BB175_88 Depth 3
                                        ;         Child Loop BB175_90 Depth 4
                                        ;         Child Loop BB175_96 Depth 4
                                        ;       Child Loop BB175_99 Depth 3
                                        ;         Child Loop BB175_101 Depth 4
	s_lshl_b64 s[6:7], s[4:5], 2
	s_getpc_b64 s[8:9]
	s_add_u32 s8, s8, __const._ZL38rocblas_trsm_small_left_device_sharedBILi64ELi32ELb1E19rocblas_complex_numIfES1_PKS1_PS1_Ev13rocblas_fill_18rocblas_operation_17rocblas_diagonal_iiT3_T4_lilT5_lili.step_sizes@rel32@lo+4
	s_addc_u32 s9, s9, __const._ZL38rocblas_trsm_small_left_device_sharedBILi64ELi32ELb1E19rocblas_complex_numIfES1_PKS1_PS1_Ev13rocblas_fill_18rocblas_operation_17rocblas_diagonal_iiT3_T4_lilT5_lili.step_sizes@rel32@hi+12
	s_add_u32 s6, s6, s8
	s_addc_u32 s7, s7, s9
	s_load_dword s15, s[6:7], 0x0
	s_waitcnt lgkmcnt(0)
	s_add_i32 s20, s15, -1
	s_add_i32 s6, s20, s14
	s_cmp_ge_i32 s6, s33
	s_cbranch_scc1 .LBB175_79
; %bb.81:                               ;   in Loop: Header=BB175_80 Depth=1
	s_max_i32 s30, s15, 1
	s_cmp_lg_u32 s4, 2
	s_cselect_b64 s[6:7], -1, 0
	s_and_b32 s31, s30, 0x7ffffffe
	s_cmp_lg_u32 s30, s31
	s_cselect_b64 s[8:9], -1, 0
	v_lshl_add_u32 v12, s14, 9, v1
	s_lshl_b32 s34, s15, 9
	s_mul_i32 s35, s14, 0x208
	s_mul_i32 s36, s15, 0x208
	s_branch .LBB175_83
.LBB175_82:                             ;   in Loop: Header=BB175_83 Depth=2
	s_add_i32 s14, s14, s15
	s_add_i32 s10, s20, s14
	;; [unrolled: 1-line block ×3, first 2 shown]
	s_cmp_ge_i32 s10, s33
	v_add_u32_e32 v12, s34, v12
	s_cbranch_scc1 .LBB175_79
.LBB175_83:                             ;   Parent Loop BB175_80 Depth=1
                                        ; =>  This Loop Header: Depth=2
                                        ;       Child Loop BB175_84 Depth 3
                                        ;       Child Loop BB175_88 Depth 3
                                        ;         Child Loop BB175_90 Depth 4
                                        ;         Child Loop BB175_96 Depth 4
                                        ;       Child Loop BB175_99 Depth 3
                                        ;         Child Loop BB175_101 Depth 4
	v_mov_b32_e32 v2, 0
	v_mov_b32_e32 v3, v12
	s_mov_b32 s10, s30
.LBB175_84:                             ;   Parent Loop BB175_80 Depth=1
                                        ;     Parent Loop BB175_83 Depth=2
                                        ; =>    This Inner Loop Header: Depth=3
	ds_read_b64 v[4:5], v3
	s_add_i32 s10, s10, -1
	v_add_u32_e32 v3, 0x200, v3
	s_cmp_eq_u32 s10, 0
	s_waitcnt lgkmcnt(0)
	buffer_store_dword v5, v2, s[0:3], 0 offen offset:4
	buffer_store_dword v4, v2, s[0:3], 0 offen
	v_add_u32_e32 v2, 8, v2
	s_cbranch_scc0 .LBB175_84
; %bb.85:                               ;   in Loop: Header=BB175_83 Depth=2
	s_cmp_lt_i32 s14, 1
	s_cbranch_scc1 .LBB175_97
; %bb.86:                               ;   in Loop: Header=BB175_83 Depth=2
	s_mov_b32 s37, 0
	s_mov_b32 s38, s14
	s_branch .LBB175_88
.LBB175_87:                             ;   in Loop: Header=BB175_88 Depth=3
	s_add_i32 s37, s37, 1
	s_add_i32 s38, s38, 64
	s_cmp_ge_i32 s37, s14
	s_cbranch_scc1 .LBB175_97
.LBB175_88:                             ;   Parent Loop BB175_80 Depth=1
                                        ;     Parent Loop BB175_83 Depth=2
                                        ; =>    This Loop Header: Depth=3
                                        ;         Child Loop BB175_90 Depth 4
                                        ;         Child Loop BB175_96 Depth 4
	s_lshl_b32 s10, s37, 6
	s_waitcnt lgkmcnt(0)
	v_or_b32_e32 v2, s10, v0
	v_lshlrev_b32_e32 v2, 3, v2
	ds_read_b64 v[2:3], v2 offset:32768
	s_and_b64 vcc, exec, s[6:7]
	s_cbranch_vccz .LBB175_92
; %bb.89:                               ;   in Loop: Header=BB175_88 Depth=3
	s_add_i32 s10, s10, s14
	s_mov_b32 s11, s10
	s_waitcnt lgkmcnt(0)
	v_mov_b32_e32 v6, v2
	v_mov_b32_e32 v7, v2
	;; [unrolled: 1-line block ×6, first 2 shown]
	s_mov_b32 s12, 1
	s_mov_b32 s13, 0
	;; [unrolled: 1-line block ×3, first 2 shown]
.LBB175_90:                             ;   Parent Loop BB175_80 Depth=1
                                        ;     Parent Loop BB175_83 Depth=2
                                        ;       Parent Loop BB175_88 Depth=3
                                        ; =>      This Inner Loop Header: Depth=4
	buffer_load_dword v14, v5, s[0:3], 0 offen
	buffer_load_dword v16, v5, s[0:3], 0 offen offset:4
	buffer_load_dword v15, v5, s[0:3], 0 offen offset:8
	;; [unrolled: 1-line block ×3, first 2 shown]
	s_add_i32 s40, s11, s12
	s_add_i32 s41, s10, s13
	s_lshl_b32 s41, s41, 3
	s_lshl_b32 s40, s40, 3
	v_mov_b32_e32 v13, s41
	v_mov_b32_e32 v20, s40
	ds_read_b64 v[18:19], v13
	ds_read_b64 v[20:21], v20
	s_add_i32 s13, s13, 2
	s_add_i32 s12, s12, 2
	s_add_i32 s39, s39, -2
	s_waitcnt lgkmcnt(1)
	v_mov_b32_e32 v22, v18
	s_waitcnt lgkmcnt(0)
	v_mov_b32_e32 v23, v20
	v_mov_b32_e32 v20, v19
	v_pk_mul_f32 v[18:19], v[20:21], v[8:9]
	v_pk_mul_f32 v[20:21], v[20:21], v[6:7]
	v_pk_fma_f32 v[18:19], v[22:23], v[6:7], v[18:19] neg_lo:[0,0,1] neg_hi:[0,0,1]
	v_pk_fma_f32 v[20:21], v[22:23], v[8:9], v[20:21]
	s_cmp_lg_u32 s39, 0
	s_waitcnt vmcnt(1)
	v_pk_add_f32 v[14:15], v[14:15], v[18:19] neg_lo:[0,1] neg_hi:[0,1]
	s_waitcnt vmcnt(0)
	v_pk_add_f32 v[16:17], v[16:17], v[20:21] neg_lo:[0,1] neg_hi:[0,1]
	buffer_store_dword v14, v5, s[0:3], 0 offen
	buffer_store_dword v16, v5, s[0:3], 0 offen offset:4
	buffer_store_dword v15, v5, s[0:3], 0 offen offset:8
	;; [unrolled: 1-line block ×3, first 2 shown]
	v_add_u32_e32 v5, 16, v5
	s_cbranch_scc1 .LBB175_90
; %bb.91:                               ;   in Loop: Header=BB175_88 Depth=3
	s_mov_b64 s[10:11], s[8:9]
	s_mov_b32 s12, s31
	s_branch .LBB175_94
.LBB175_92:                             ;   in Loop: Header=BB175_88 Depth=3
	s_mov_b64 s[10:11], 0
                                        ; implicit-def: $vgpr4_vgpr5
	s_mov_b32 s12, s31
	s_cbranch_execz .LBB175_94
; %bb.93:                               ;   in Loop: Header=BB175_88 Depth=3
	s_waitcnt lgkmcnt(0)
	v_mov_b32_e32 v4, v3
	s_mov_b64 s[10:11], -1
	s_mov_b32 s12, 0
.LBB175_94:                             ;   in Loop: Header=BB175_88 Depth=3
	s_andn2_b64 vcc, exec, s[10:11]
	s_cbranch_vccnz .LBB175_87
; %bb.95:                               ;   in Loop: Header=BB175_88 Depth=3
	s_sub_i32 s10, s30, s12
	s_add_i32 s11, s12, s38
	s_lshl_b32 s12, s12, 3
	s_waitcnt lgkmcnt(0)
	v_mov_b32_e32 v5, v3
	v_mov_b32_e32 v3, v2
	s_lshl_b32 s11, s11, 3
	v_add_u32_e32 v6, s12, v10
.LBB175_96:                             ;   Parent Loop BB175_80 Depth=1
                                        ;     Parent Loop BB175_83 Depth=2
                                        ;       Parent Loop BB175_88 Depth=3
                                        ; =>      This Inner Loop Header: Depth=4
	buffer_load_dword v8, v6, s[0:3], 0 offen
	buffer_load_dword v9, v6, s[0:3], 0 offen offset:4
	v_mov_b32_e32 v7, s11
	ds_read_b64 v[14:15], v7
	s_add_i32 s10, s10, -1
	s_add_i32 s11, s11, 8
	s_cmp_eq_u32 s10, 0
	s_waitcnt lgkmcnt(0)
	v_pk_mul_f32 v[16:17], v[14:15], v[4:5]
	v_pk_fma_f32 v[18:19], v[14:15], v[2:3], v[16:17] op_sel:[0,0,1] op_sel_hi:[1,1,0] neg_lo:[0,0,1] neg_hi:[0,0,1]
	v_pk_fma_f32 v[14:15], v[14:15], v[2:3], v[16:17] op_sel:[0,0,1] op_sel_hi:[1,1,0]
	v_mov_b32_e32 v19, v15
	s_waitcnt vmcnt(0)
	v_pk_add_f32 v[8:9], v[8:9], v[18:19] neg_lo:[0,1] neg_hi:[0,1]
	buffer_store_dword v8, v6, s[0:3], 0 offen
	buffer_store_dword v9, v6, s[0:3], 0 offen offset:4
	v_add_u32_e32 v6, 8, v6
	s_cbranch_scc0 .LBB175_96
	s_branch .LBB175_87
.LBB175_97:                             ;   in Loop: Header=BB175_83 Depth=2
	s_mov_b32 s12, 0
	s_mov_b32 s13, s35
	s_branch .LBB175_99
.LBB175_98:                             ;   in Loop: Header=BB175_99 Depth=3
	s_mul_i32 s10, s37, 0x208
	v_mov_b32_e32 v4, s10
	ds_read_b64 v[4:5], v4
	s_lshl_b32 s10, s12, 3
	s_add_i32 s12, s12, 1
	s_add_i32 s13, s13, 8
	v_add_u32_e32 v8, s10, v10
	s_waitcnt vmcnt(0) lgkmcnt(0)
	v_mul_f32_e32 v6, v5, v3
	v_mul_f32_e32 v7, v4, v3
	v_fma_f32 v6, v4, v2, -v6
	v_fmac_f32_e32 v7, v5, v2
	v_lshl_or_b32 v2, s37, 9, v11
	s_cmp_eq_u32 s12, s30
	buffer_store_dword v6, v8, s[0:3], 0 offen
	buffer_store_dword v7, v8, s[0:3], 0 offen offset:4
	ds_write_b64 v2, v[6:7] offset:32768
	s_cbranch_scc1 .LBB175_82
.LBB175_99:                             ;   Parent Loop BB175_80 Depth=1
                                        ;     Parent Loop BB175_83 Depth=2
                                        ; =>    This Loop Header: Depth=3
                                        ;         Child Loop BB175_101 Depth 4
	s_cmp_lg_u32 s12, 0
	s_cbranch_scc0 .LBB175_103
; %bb.100:                              ;   in Loop: Header=BB175_99 Depth=3
	s_lshl_b32 s10, s12, 3
	v_add_u32_e32 v4, s10, v10
	s_waitcnt lgkmcnt(0)
	buffer_load_dword v2, v4, s[0:3], 0 offen
	buffer_load_dword v3, v4, s[0:3], 0 offen offset:4
	v_mov_b32_e32 v5, 0
	s_mov_b32 s10, 0
	s_mov_b32 s11, s13
.LBB175_101:                            ;   Parent Loop BB175_80 Depth=1
                                        ;     Parent Loop BB175_83 Depth=2
                                        ;       Parent Loop BB175_99 Depth=3
                                        ; =>      This Inner Loop Header: Depth=4
	buffer_load_dword v7, v5, s[0:3], 0 offen offset:4
	buffer_load_dword v6, v5, s[0:3], 0 offen
	v_mov_b32_e32 v8, s11
	ds_read_b64 v[8:9], v8
	s_add_i32 s10, s10, 1
	s_addk_i32 s11, 0x200
	v_add_u32_e32 v5, 8, v5
	s_cmp_ge_u32 s10, s12
	s_waitcnt vmcnt(1)
	v_mov_b32_e32 v14, v7
	s_waitcnt lgkmcnt(0)
	v_pk_mul_f32 v[14:15], v[8:9], v[14:15] op_sel_hi:[1,0]
	s_waitcnt vmcnt(0)
	v_pk_fma_f32 v[16:17], v[8:9], v[6:7], v[14:15] op_sel:[0,0,1] op_sel_hi:[1,1,0] neg_lo:[0,0,1] neg_hi:[0,0,1]
	v_pk_fma_f32 v[6:7], v[8:9], v[6:7], v[14:15] op_sel:[0,0,1] op_sel_hi:[1,0,0]
	v_mov_b32_e32 v17, v7
	v_pk_add_f32 v[2:3], v[2:3], v[16:17] neg_lo:[0,1] neg_hi:[0,1]
	buffer_store_dword v2, v4, s[0:3], 0 offen
	buffer_store_dword v3, v4, s[0:3], 0 offen offset:4
	s_cbranch_scc0 .LBB175_101
; %bb.102:                              ;   in Loop: Header=BB175_99 Depth=3
	s_add_i32 s37, s12, s14
	s_branch .LBB175_98
.LBB175_103:                            ;   in Loop: Header=BB175_99 Depth=3
                                        ; implicit-def: $vgpr2
                                        ; implicit-def: $sgpr37
	s_cbranch_execz .LBB175_98
; %bb.104:                              ;   in Loop: Header=BB175_99 Depth=3
	s_waitcnt lgkmcnt(0)
	buffer_load_dword v2, off, s[0:3], 0
	buffer_load_dword v3, off, s[0:3], 0 offset:4
	s_mov_b32 s37, s14
	s_branch .LBB175_98
.LBB175_105:
	s_waitcnt lgkmcnt(0)
	; wave barrier
	s_waitcnt lgkmcnt(0)
	s_and_saveexec_b64 s[4:5], s[28:29]
	s_cbranch_execz .LBB175_112
; %bb.106:
	s_cmp_lt_i32 s22, 8
	s_mov_b32 s4, 0
	s_cbranch_scc1 .LBB175_109
; %bb.107:
	v_mad_i64_i32 v[2:3], s[4:5], s21, v0, 0
	v_lshlrev_b64 v[2:3], 3, v[2:3]
	v_mov_b32_e32 v4, s54
	v_add_co_u32_e32 v1, vcc, s23, v2
	v_addc_co_u32_e32 v2, vcc, v4, v3, vcc
	v_mov_b32_e32 v3, 0x8000
	s_lshl_b32 s4, s33, 3
	v_lshl_or_b32 v3, v0, 3, v3
	s_and_b32 s5, s4, 0x3c0
	s_mov_b32 s4, 0
	s_mov_b64 s[6:7], 0
.LBB175_108:                            ; =>This Inner Loop Header: Depth=1
	ds_read2st64_b64 v[4:7], v3 offset1:1
	ds_read2st64_b64 v[8:11], v3 offset0:2 offset1:3
	ds_read2st64_b64 v[12:15], v3 offset0:4 offset1:5
	;; [unrolled: 1-line block ×3, first 2 shown]
	s_add_i32 s4, s4, 8
	v_add_co_u32_e32 v20, vcc, s6, v1
	s_add_u32 s6, s6, 64
	v_mov_b32_e32 v21, s7
	s_addc_u32 s7, s7, 0
	v_add_u32_e32 v3, 0x1000, v3
	v_addc_co_u32_e32 v21, vcc, v2, v21, vcc
	s_cmp_lg_u32 s5, s6
	s_waitcnt lgkmcnt(3)
	global_store_dwordx4 v[20:21], v[4:7], off
	s_waitcnt lgkmcnt(2)
	global_store_dwordx4 v[20:21], v[8:11], off offset:16
	s_waitcnt lgkmcnt(1)
	global_store_dwordx4 v[20:21], v[12:15], off offset:32
	;; [unrolled: 2-line block ×3, first 2 shown]
	s_cbranch_scc1 .LBB175_108
.LBB175_109:
	s_and_b32 s6, s33, 7
	s_cmp_eq_u32 s6, 0
	s_mov_b32 s5, 0
	s_cbranch_scc1 .LBB175_112
; %bb.110:
	s_lshl_b64 s[8:9], s[26:27], 3
	v_lshlrev_b32_e32 v2, 3, v0
	v_mov_b32_e32 v0, s9
	v_add_co_u32_e32 v3, vcc, s8, v2
	s_lshl_b64 s[8:9], s[4:5], 3
	s_add_u32 s5, s18, s8
	s_addc_u32 s7, s19, s9
	s_add_u32 s5, s5, s24
	s_addc_u32 s7, s7, s25
	;; [unrolled: 2-line block ×3, first 2 shown]
	v_addc_co_u32_e32 v4, vcc, 0, v0, vcc
	v_pk_mov_b32 v[0:1], s[8:9], s[8:9] op_sel:[0,1]
	v_mad_u64_u32 v[0:1], s[8:9], v3, s21, v[0:1]
	v_mul_lo_u32 v3, v3, s52
	v_mul_lo_u32 v4, v4, s21
	v_lshl_or_b32 v2, s4, 9, v2
	v_add3_u32 v1, v4, v1, v3
	v_add_u32_e32 v2, 0x8000, v2
.LBB175_111:                            ; =>This Inner Loop Header: Depth=1
	ds_read_b64 v[4:5], v2
	s_add_i32 s6, s6, -1
	v_add_u32_e32 v2, 0x200, v2
	s_cmp_lg_u32 s6, 0
	s_waitcnt lgkmcnt(0)
	global_store_dwordx2 v[0:1], v[4:5], off
	v_add_co_u32_e32 v0, vcc, 8, v0
	v_addc_co_u32_e32 v1, vcc, 0, v1, vcc
	s_cbranch_scc1 .LBB175_111
.LBB175_112:
	s_endpgm
	.section	.rodata,"a",@progbits
	.p2align	6, 0x0
	.amdhsa_kernel _ZL38rocblas_trsm_small_left_device_sharedBILi64ELi32ELb1E19rocblas_complex_numIfES1_PKS1_PS1_Ev13rocblas_fill_18rocblas_operation_17rocblas_diagonal_iiT3_T4_lilT5_lili
		.amdhsa_group_segment_fixed_size 65536
		.amdhsa_private_segment_fixed_size 272
		.amdhsa_kernarg_size 360
		.amdhsa_user_sgpr_count 8
		.amdhsa_user_sgpr_private_segment_buffer 1
		.amdhsa_user_sgpr_dispatch_ptr 0
		.amdhsa_user_sgpr_queue_ptr 0
		.amdhsa_user_sgpr_kernarg_segment_ptr 1
		.amdhsa_user_sgpr_dispatch_id 0
		.amdhsa_user_sgpr_flat_scratch_init 1
		.amdhsa_user_sgpr_kernarg_preload_length 0
		.amdhsa_user_sgpr_kernarg_preload_offset 0
		.amdhsa_user_sgpr_private_segment_size 0
		.amdhsa_uses_dynamic_stack 0
		.amdhsa_system_sgpr_private_segment_wavefront_offset 1
		.amdhsa_system_sgpr_workgroup_id_x 1
		.amdhsa_system_sgpr_workgroup_id_y 0
		.amdhsa_system_sgpr_workgroup_id_z 1
		.amdhsa_system_sgpr_workgroup_info 0
		.amdhsa_system_vgpr_workitem_id 0
		.amdhsa_next_free_vgpr 44
		.amdhsa_next_free_sgpr 66
		.amdhsa_accum_offset 44
		.amdhsa_reserve_vcc 1
		.amdhsa_reserve_flat_scratch 0
		.amdhsa_float_round_mode_32 0
		.amdhsa_float_round_mode_16_64 0
		.amdhsa_float_denorm_mode_32 3
		.amdhsa_float_denorm_mode_16_64 3
		.amdhsa_dx10_clamp 1
		.amdhsa_ieee_mode 1
		.amdhsa_fp16_overflow 0
		.amdhsa_tg_split 0
		.amdhsa_exception_fp_ieee_invalid_op 0
		.amdhsa_exception_fp_denorm_src 0
		.amdhsa_exception_fp_ieee_div_zero 0
		.amdhsa_exception_fp_ieee_overflow 0
		.amdhsa_exception_fp_ieee_underflow 0
		.amdhsa_exception_fp_ieee_inexact 0
		.amdhsa_exception_int_div_zero 0
	.end_amdhsa_kernel
	.section	.text._ZL38rocblas_trsm_small_left_device_sharedBILi64ELi32ELb1E19rocblas_complex_numIfES1_PKS1_PS1_Ev13rocblas_fill_18rocblas_operation_17rocblas_diagonal_iiT3_T4_lilT5_lili,"axG",@progbits,_ZL38rocblas_trsm_small_left_device_sharedBILi64ELi32ELb1E19rocblas_complex_numIfES1_PKS1_PS1_Ev13rocblas_fill_18rocblas_operation_17rocblas_diagonal_iiT3_T4_lilT5_lili,comdat
.Lfunc_end175:
	.size	_ZL38rocblas_trsm_small_left_device_sharedBILi64ELi32ELb1E19rocblas_complex_numIfES1_PKS1_PS1_Ev13rocblas_fill_18rocblas_operation_17rocblas_diagonal_iiT3_T4_lilT5_lili, .Lfunc_end175-_ZL38rocblas_trsm_small_left_device_sharedBILi64ELi32ELb1E19rocblas_complex_numIfES1_PKS1_PS1_Ev13rocblas_fill_18rocblas_operation_17rocblas_diagonal_iiT3_T4_lilT5_lili
                                        ; -- End function
	.section	.AMDGPU.csdata,"",@progbits
; Kernel info:
; codeLenInByte = 5280
; NumSgprs: 70
; NumVgprs: 44
; NumAgprs: 0
; TotalNumVgprs: 44
; ScratchSize: 272
; MemoryBound: 0
; FloatMode: 240
; IeeeMode: 1
; LDSByteSize: 65536 bytes/workgroup (compile time only)
; SGPRBlocks: 8
; VGPRBlocks: 5
; NumSGPRsForWavesPerEU: 70
; NumVGPRsForWavesPerEU: 44
; AccumOffset: 44
; Occupancy: 1
; WaveLimiterHint : 0
; COMPUTE_PGM_RSRC2:SCRATCH_EN: 1
; COMPUTE_PGM_RSRC2:USER_SGPR: 8
; COMPUTE_PGM_RSRC2:TRAP_HANDLER: 0
; COMPUTE_PGM_RSRC2:TGID_X_EN: 1
; COMPUTE_PGM_RSRC2:TGID_Y_EN: 0
; COMPUTE_PGM_RSRC2:TGID_Z_EN: 1
; COMPUTE_PGM_RSRC2:TIDIG_COMP_CNT: 0
; COMPUTE_PGM_RSRC3_GFX90A:ACCUM_OFFSET: 10
; COMPUTE_PGM_RSRC3_GFX90A:TG_SPLIT: 0
	.section	.text._ZL30rocblas_trsm_small_left_deviceILi64ELi32ELb1E19rocblas_complex_numIfES1_PKS1_PS1_Ev13rocblas_fill_18rocblas_operation_17rocblas_diagonal_iiT3_T4_lilT5_lili,"axG",@progbits,_ZL30rocblas_trsm_small_left_deviceILi64ELi32ELb1E19rocblas_complex_numIfES1_PKS1_PS1_Ev13rocblas_fill_18rocblas_operation_17rocblas_diagonal_iiT3_T4_lilT5_lili,comdat
	.globl	_ZL30rocblas_trsm_small_left_deviceILi64ELi32ELb1E19rocblas_complex_numIfES1_PKS1_PS1_Ev13rocblas_fill_18rocblas_operation_17rocblas_diagonal_iiT3_T4_lilT5_lili ; -- Begin function _ZL30rocblas_trsm_small_left_deviceILi64ELi32ELb1E19rocblas_complex_numIfES1_PKS1_PS1_Ev13rocblas_fill_18rocblas_operation_17rocblas_diagonal_iiT3_T4_lilT5_lili
	.p2align	8
	.type	_ZL30rocblas_trsm_small_left_deviceILi64ELi32ELb1E19rocblas_complex_numIfES1_PKS1_PS1_Ev13rocblas_fill_18rocblas_operation_17rocblas_diagonal_iiT3_T4_lilT5_lili,@function
_ZL30rocblas_trsm_small_left_deviceILi64ELi32ELb1E19rocblas_complex_numIfES1_PKS1_PS1_Ev13rocblas_fill_18rocblas_operation_17rocblas_diagonal_iiT3_T4_lilT5_lili: ; @_ZL30rocblas_trsm_small_left_deviceILi64ELi32ELb1E19rocblas_complex_numIfES1_PKS1_PS1_Ev13rocblas_fill_18rocblas_operation_17rocblas_diagonal_iiT3_T4_lilT5_lili
; %bb.0:
	s_add_u32 s0, s0, s10
	s_load_dwordx4 s[16:19], s[4:5], 0x4
	s_load_dwordx2 s[24:25], s[4:5], 0x14
	s_load_dwordx4 s[12:15], s[4:5], 0x38
	s_load_dwordx2 s[26:27], s[4:5], 0x48
	s_load_dword s43, s[4:5], 0x68
	s_addc_u32 s1, s1, 0
	s_waitcnt lgkmcnt(0)
	s_min_i32 s33, s18, 64
	s_mov_b32 s44, 0
	s_add_i32 s42, s33, -1
	v_cmp_gt_i32_e32 vcc, s33, v0
	s_and_saveexec_b64 s[28:29], vcc
	s_cbranch_execz .LBB176_35
; %bb.1:
	s_load_dword s30, s[4:5], 0x30
	s_load_dwordx4 s[20:23], s[4:5], 0x20
	s_mul_i32 s6, s9, s13
	s_mul_hi_u32 s7, s9, s12
	s_mul_i32 s12, s9, s12
	s_waitcnt lgkmcnt(0)
	s_ashr_i32 s31, s30, 31
	s_cmpk_lg_i32 s16, 0x71
	s_cselect_b64 s[34:35], -1, 0
	s_add_i32 s13, s7, s6
	v_cndmask_b32_e64 v2, 0, 1, s[34:35]
	s_cmp_lt_u32 s42, 3
	v_lshlrev_b32_e32 v1, 3, v0
	v_cmp_ne_u32_e64 s[6:7], 1, v2
	s_cbranch_scc1 .LBB176_20
; %bb.2:
	s_lshl_b64 s[10:11], s[12:13], 3
	s_add_u32 s18, s20, s10
	s_addc_u32 s36, s21, s11
	s_lshl_b64 s[10:11], s[22:23], 3
	s_add_u32 s10, s18, s10
	s_addc_u32 s11, s36, s11
	v_mov_b32_e32 v3, s11
	v_add_co_u32_e32 v2, vcc, s10, v1
	s_mul_hi_i32 s10, s30, 24
	s_lshl_b64 s[36:37], s[30:31], 5
	s_lshl_b64 s[38:39], s[30:31], 4
	;; [unrolled: 1-line block ×3, first 2 shown]
	v_addc_co_u32_e32 v3, vcc, 0, v3, vcc
	s_and_b32 s44, s33, -4
	s_mul_i32 s18, s30, 24
	s_mov_b32 s45, 0
	v_mov_b32_e32 v8, s41
	v_mov_b32_e32 v9, s39
	;; [unrolled: 1-line block ×5, first 2 shown]
	s_branch .LBB176_4
.LBB176_3:                              ;   in Loop: Header=BB176_4 Depth=1
	global_load_dword v4, v[6:7], off
	s_add_i32 s45, s45, 4
	v_add_co_u32_e32 v2, vcc, s36, v2
	v_addc_co_u32_e32 v3, vcc, v3, v11, vcc
	s_cmp_eq_u32 s44, s45
	s_waitcnt vmcnt(0)
	ds_write_b64 v12, v[4:5] offset:1536
	v_add_u32_e32 v12, 0x800, v12
	s_cbranch_scc1 .LBB176_20
.LBB176_4:                              ; =>This Inner Loop Header: Depth=1
	s_and_b64 vcc, exec, s[34:35]
	s_cbranch_vccz .LBB176_6
; %bb.5:                                ;   in Loop: Header=BB176_4 Depth=1
	global_load_dword v5, v[2:3], off offset:4
	s_cbranch_execz .LBB176_7
	s_branch .LBB176_8
.LBB176_6:                              ;   in Loop: Header=BB176_4 Depth=1
                                        ; implicit-def: $vgpr5
.LBB176_7:                              ;   in Loop: Header=BB176_4 Depth=1
	global_load_dword v4, v[2:3], off offset:4
	s_waitcnt vmcnt(0)
	v_xor_b32_e32 v5, 0x80000000, v4
.LBB176_8:                              ;   in Loop: Header=BB176_4 Depth=1
	global_load_dword v4, v[2:3], off
	v_add_co_u32_e64 v6, s[10:11], s40, v2
	s_and_b64 vcc, exec, s[6:7]
	v_addc_co_u32_e64 v7, s[10:11], v3, v8, s[10:11]
	s_waitcnt vmcnt(0)
	ds_write_b64 v12, v[4:5]
	s_cbranch_vccnz .LBB176_10
; %bb.9:                                ;   in Loop: Header=BB176_4 Depth=1
	global_load_dword v5, v[6:7], off offset:4
	s_cbranch_execz .LBB176_11
	s_branch .LBB176_12
.LBB176_10:                             ;   in Loop: Header=BB176_4 Depth=1
                                        ; implicit-def: $vgpr5
.LBB176_11:                             ;   in Loop: Header=BB176_4 Depth=1
	global_load_dword v4, v[6:7], off offset:4
	s_waitcnt vmcnt(0)
	v_xor_b32_e32 v5, 0x80000000, v4
.LBB176_12:                             ;   in Loop: Header=BB176_4 Depth=1
	global_load_dword v4, v[6:7], off
	v_add_co_u32_e64 v6, s[10:11], s38, v2
	s_and_b64 vcc, exec, s[6:7]
	v_addc_co_u32_e64 v7, s[10:11], v3, v9, s[10:11]
	s_waitcnt vmcnt(0)
	ds_write_b64 v12, v[4:5] offset:512
	s_cbranch_vccnz .LBB176_14
; %bb.13:                               ;   in Loop: Header=BB176_4 Depth=1
	global_load_dword v5, v[6:7], off offset:4
	s_cbranch_execz .LBB176_15
	s_branch .LBB176_16
.LBB176_14:                             ;   in Loop: Header=BB176_4 Depth=1
                                        ; implicit-def: $vgpr5
.LBB176_15:                             ;   in Loop: Header=BB176_4 Depth=1
	global_load_dword v4, v[6:7], off offset:4
	s_waitcnt vmcnt(0)
	v_xor_b32_e32 v5, 0x80000000, v4
.LBB176_16:                             ;   in Loop: Header=BB176_4 Depth=1
	global_load_dword v4, v[6:7], off
	v_add_co_u32_e64 v6, s[10:11], s18, v2
	s_and_b64 vcc, exec, s[6:7]
	v_addc_co_u32_e64 v7, s[10:11], v3, v10, s[10:11]
	s_waitcnt vmcnt(0)
	ds_write_b64 v12, v[4:5] offset:1024
	s_cbranch_vccnz .LBB176_18
; %bb.17:                               ;   in Loop: Header=BB176_4 Depth=1
	global_load_dword v5, v[6:7], off offset:4
	s_cbranch_execnz .LBB176_3
	s_branch .LBB176_19
.LBB176_18:                             ;   in Loop: Header=BB176_4 Depth=1
                                        ; implicit-def: $vgpr5
.LBB176_19:                             ;   in Loop: Header=BB176_4 Depth=1
	global_load_dword v4, v[6:7], off offset:4
	s_waitcnt vmcnt(0)
	v_xor_b32_e32 v5, 0x80000000, v4
	s_branch .LBB176_3
.LBB176_20:
	s_and_b32 s18, s33, 3
	s_cmp_eq_u32 s18, 0
	s_cbranch_scc1 .LBB176_27
; %bb.21:
	s_lshl_b64 s[10:11], s[12:13], 3
	s_mul_i32 s12, s31, s44
	s_mul_hi_u32 s13, s30, s44
	s_add_i32 s13, s13, s12
	s_mul_i32 s12, s30, s44
	s_lshl_b64 s[12:13], s[12:13], 3
	s_add_u32 s12, s10, s12
	s_addc_u32 s13, s11, s13
	s_lshl_b64 s[10:11], s[22:23], 3
	s_add_u32 s10, s12, s10
	s_addc_u32 s11, s13, s11
	s_add_u32 s10, s20, s10
	s_addc_u32 s11, s21, s11
	v_lshl_or_b32 v6, s44, 9, v1
	v_mov_b32_e32 v2, s11
	v_add_co_u32_e32 v1, vcc, s10, v1
	v_addc_co_u32_e32 v3, vcc, 0, v2, vcc
	v_add_co_u32_e32 v2, vcc, 4, v1
	s_lshl_b64 s[10:11], s[30:31], 3
	v_addc_co_u32_e32 v3, vcc, 0, v3, vcc
	v_mov_b32_e32 v1, s11
	s_branch .LBB176_23
.LBB176_22:                             ;   in Loop: Header=BB176_23 Depth=1
	global_load_dword v4, v[2:3], off offset:-4
	s_add_i32 s18, s18, -1
	v_add_co_u32_e32 v2, vcc, s10, v2
	s_cmp_lg_u32 s18, 0
	v_addc_co_u32_e32 v3, vcc, v3, v1, vcc
	s_waitcnt vmcnt(0)
	ds_write_b64 v6, v[4:5]
	v_add_u32_e32 v6, 0x200, v6
	s_cbranch_scc0 .LBB176_27
.LBB176_23:                             ; =>This Inner Loop Header: Depth=1
	s_and_b64 vcc, exec, s[6:7]
	s_cbranch_vccnz .LBB176_25
; %bb.24:                               ;   in Loop: Header=BB176_23 Depth=1
	global_load_dword v5, v[2:3], off
	s_cbranch_execnz .LBB176_22
	s_branch .LBB176_26
.LBB176_25:                             ;   in Loop: Header=BB176_23 Depth=1
                                        ; implicit-def: $vgpr5
.LBB176_26:                             ;   in Loop: Header=BB176_23 Depth=1
	global_load_dword v4, v[2:3], off
	s_waitcnt vmcnt(0)
	v_xor_b32_e32 v5, 0x80000000, v4
	s_branch .LBB176_22
.LBB176_27:
	v_mul_u32_u24_e32 v1, 0x41, v0
	s_cmpk_lg_i32 s17, 0x84
	v_lshlrev_b32_e32 v1, 3, v1
	s_mov_b64 s[6:7], -1
	s_cbranch_scc0 .LBB176_33
; %bb.28:
	ds_read_b64 v[2:3], v1
	s_mov_b32 s6, 0
	s_waitcnt lgkmcnt(0)
	v_cmp_gt_f32_e32 vcc, 0, v3
	v_cndmask_b32_e64 v4, v3, -v3, vcc
	v_cmp_gt_f32_e32 vcc, 0, v2
	v_cndmask_b32_e64 v5, v2, -v2, vcc
	v_cmp_ngt_f32_e32 vcc, v5, v4
                                        ; implicit-def: $vgpr4_vgpr5
	s_and_saveexec_b64 s[10:11], vcc
	s_xor_b64 s[10:11], exec, s[10:11]
	s_cbranch_execz .LBB176_30
; %bb.29:
	v_div_scale_f32 v4, s[12:13], v3, v3, v2
	v_rcp_f32_e32 v5, v4
	v_div_scale_f32 v6, vcc, v2, v3, v2
	s_mov_b32 s7, -1.0
	v_fma_f32 v7, -v4, v5, 1.0
	v_fmac_f32_e32 v5, v7, v5
	v_mul_f32_e32 v7, v6, v5
	v_fma_f32 v8, -v4, v7, v6
	v_fmac_f32_e32 v7, v8, v5
	v_fma_f32 v4, -v4, v7, v6
	v_div_fmas_f32 v4, v4, v5, v7
	v_div_fixup_f32 v4, v4, v3, v2
	v_fmac_f32_e32 v3, v2, v4
	v_div_scale_f32 v2, s[12:13], v3, v3, 1.0
	v_rcp_f32_e32 v5, v2
	v_fma_f32 v6, -v2, v5, 1.0
	v_fmac_f32_e32 v5, v6, v5
	v_div_scale_f32 v6, vcc, 1.0, v3, 1.0
	v_mul_f32_e32 v7, v6, v5
	v_fma_f32 v8, -v2, v7, v6
	v_fmac_f32_e32 v7, v8, v5
	v_fma_f32 v2, -v2, v7, v6
	v_div_fmas_f32 v2, v2, v5, v7
	v_mul_f32_e32 v5, 0, v4
	v_div_fixup_f32 v2, v2, v3, 1.0
	v_pk_add_f32 v[4:5], v[4:5], s[6:7]
	v_pk_mul_f32 v[4:5], v[4:5], v[2:3] op_sel_hi:[1,0]
                                        ; implicit-def: $vgpr2_vgpr3
.LBB176_30:
	s_andn2_saveexec_b64 s[6:7], s[10:11]
	s_cbranch_execz .LBB176_32
; %bb.31:
	v_div_scale_f32 v4, s[10:11], v2, v2, v3
	v_rcp_f32_e32 v5, v4
	v_div_scale_f32 v6, vcc, v3, v2, v3
	v_fma_f32 v7, -v4, v5, 1.0
	v_fmac_f32_e32 v5, v7, v5
	v_mul_f32_e32 v7, v6, v5
	v_fma_f32 v8, -v4, v7, v6
	v_fmac_f32_e32 v7, v8, v5
	v_fma_f32 v4, -v4, v7, v6
	v_div_fmas_f32 v4, v4, v5, v7
	v_div_fixup_f32 v5, v4, v2, v3
	v_fmac_f32_e32 v2, v3, v5
	v_div_scale_f32 v3, s[10:11], v2, v2, 1.0
	v_rcp_f32_e32 v4, v3
	s_mov_b32 s10, 1.0
	s_mov_b32 s11, 0
	v_fma_f32 v6, -v3, v4, 1.0
	v_fmac_f32_e32 v4, v6, v4
	v_div_scale_f32 v6, vcc, 1.0, v2, 1.0
	v_mul_f32_e32 v7, v6, v4
	v_fma_f32 v8, -v3, v7, v6
	v_fmac_f32_e32 v7, v8, v4
	v_fma_f32 v3, -v3, v7, v6
	v_div_fmas_f32 v3, v3, v4, v7
	v_mul_f32_e32 v4, 0, v5
	v_pk_add_f32 v[6:7], v[4:5], s[10:11]
	v_pk_add_f32 v[4:5], v[4:5], s[10:11] neg_lo:[1,0] neg_hi:[1,0]
	v_div_fixup_f32 v2, v3, v2, 1.0
	v_mov_b32_e32 v7, v5
	v_pk_mul_f32 v[4:5], v[6:7], v[2:3] op_sel_hi:[1,0]
.LBB176_32:
	s_or_b64 exec, exec, s[6:7]
	s_mov_b64 s[6:7], 0
	ds_write_b64 v1, v[4:5]
.LBB176_33:
	s_and_b64 vcc, exec, s[6:7]
	s_cbranch_vccz .LBB176_35
; %bb.34:
	v_mov_b32_e32 v2, 1.0
	v_mov_b32_e32 v3, 0
	ds_write_b64 v1, v[2:3]
.LBB176_35:
	s_or_b64 exec, exec, s[28:29]
	s_lshl_b32 s10, s8, 6
	s_add_i32 s43, s43, -1
	s_sub_i32 s6, s19, s10
	s_cmp_ge_u32 s8, s43
	s_cselect_b32 s6, s6, 64
	v_cmp_gt_i32_e32 vcc, s6, v0
	s_waitcnt lgkmcnt(0)
	; wave barrier
	s_waitcnt lgkmcnt(0)
	s_and_saveexec_b64 s[6:7], vcc
	s_cbranch_execz .LBB176_103
; %bb.36:
	s_load_dwordx2 s[6:7], s[4:5], 0x58
	s_load_dword s11, s[4:5], 0x50
	v_add_u32_e32 v0, s10, v0
	s_waitcnt lgkmcnt(0)
	s_mul_i32 s5, s9, s7
	s_mul_hi_u32 s7, s9, s6
	s_mul_i32 s4, s9, s6
	s_add_i32 s5, s7, s5
	s_lshl_b64 s[6:7], s[4:5], 3
	s_add_u32 s4, s14, s6
	s_addc_u32 s5, s15, s7
	s_lshl_b64 s[8:9], s[26:27], 3
	s_add_u32 s12, s4, s8
	s_addc_u32 s13, s5, s9
	v_mad_i64_i32 v[0:1], s[4:5], s11, v0, 0
	v_lshlrev_b64 v[0:1], 3, v[0:1]
	v_mov_b32_e32 v2, s13
	v_add_co_u32_e32 v10, vcc, s12, v0
	v_addc_co_u32_e32 v11, vcc, v2, v1, vcc
	s_cmpk_eq_i32 s16, 0x6f
	s_mov_b64 s[4:5], -1
	s_cbranch_scc1 .LBB176_70
; %bb.37:
	s_add_u32 s4, s14, s8
	s_addc_u32 s5, s15, s9
	s_add_u32 s4, s4, s6
	s_addc_u32 s5, s5, s7
	v_mov_b32_e32 v2, s5
	v_add_co_u32_e32 v3, vcc, s4, v0
	v_addc_co_u32_e32 v2, vcc, v2, v1, vcc
	v_add_co_u32_e32 v12, vcc, 4, v3
	s_lshl_b32 s34, s33, 3
	s_mov_b32 s17, 0
	s_mov_b32 s10, s24
	;; [unrolled: 1-line block ×5, first 2 shown]
	v_addc_co_u32_e32 v13, vcc, 0, v2, vcc
	s_add_i32 s34, s34, -8
	v_mov_b32_e32 v14, 0
	s_mov_b32 s18, s17
	s_mov_b32 s20, s42
	s_branch .LBB176_39
.LBB176_38:                             ;   in Loop: Header=BB176_39 Depth=1
	s_cmp_lt_i32 s20, 0
	s_cselect_b64 s[4:5], -1, 0
	s_add_i32 s18, s18, 1
	s_cmp_eq_u32 s18, 3
	s_cselect_b64 s[22:23], -1, 0
	s_or_b64 s[4:5], s[4:5], s[22:23]
	s_andn2_b64 vcc, exec, s[4:5]
	s_cbranch_vccz .LBB176_69
.LBB176_39:                             ; =>This Loop Header: Depth=1
                                        ;     Child Loop BB176_42 Depth 2
                                        ;       Child Loop BB176_44 Depth 3
                                        ;       Child Loop BB176_48 Depth 3
	;; [unrolled: 1-line block ×3, first 2 shown]
                                        ;         Child Loop BB176_54 Depth 4
                                        ;         Child Loop BB176_60 Depth 4
                                        ;       Child Loop BB176_63 Depth 3
                                        ;         Child Loop BB176_65 Depth 4
	s_mov_b32 s19, s17
	s_lshl_b64 s[4:5], s[18:19], 2
	s_getpc_b64 s[22:23]
	s_add_u32 s22, s22, __const._ZL30rocblas_trsm_small_left_deviceILi64ELi32ELb1E19rocblas_complex_numIfES1_PKS1_PS1_Ev13rocblas_fill_18rocblas_operation_17rocblas_diagonal_iiT3_T4_lilT5_lili.step_sizes@rel32@lo+4
	s_addc_u32 s23, s23, __const._ZL30rocblas_trsm_small_left_deviceILi64ELi32ELb1E19rocblas_complex_numIfES1_PKS1_PS1_Ev13rocblas_fill_18rocblas_operation_17rocblas_diagonal_iiT3_T4_lilT5_lili.step_sizes@rel32@hi+12
	s_add_u32 s4, s4, s22
	s_addc_u32 s5, s5, s23
	s_load_dword s19, s[4:5], 0x0
	s_waitcnt lgkmcnt(0)
	s_add_i32 s35, s19, -1
	s_cmp_lt_i32 s20, s35
	s_cbranch_scc1 .LBB176_38
; %bb.40:                               ;   in Loop: Header=BB176_39 Depth=1
	s_max_i32 s36, s19, 1
	s_cmp_lg_u32 s18, 2
	s_cselect_b64 s[22:23], -1, 0
	s_and_b32 s37, s36, 0x7ffffffe
	s_cmp_lg_u32 s36, s37
	s_cselect_b64 s[26:27], -1, 0
	s_lshl_b32 s4, s20, 9
	s_add_i32 s38, s34, s4
	s_lshl_b32 s4, s19, 9
	s_sub_i32 s39, 0, s4
	s_mul_i32 s40, s20, 0x208
	s_mul_i32 s41, s19, 0xfffffdf8
	s_branch .LBB176_42
.LBB176_41:                             ;   in Loop: Header=BB176_42 Depth=2
	s_sub_i32 s20, s20, s19
	s_add_i32 s38, s38, s39
	s_add_i32 s40, s40, s41
	s_cmp_lt_i32 s20, s35
	s_cbranch_scc1 .LBB176_38
.LBB176_42:                             ;   Parent Loop BB176_39 Depth=1
                                        ; =>  This Loop Header: Depth=2
                                        ;       Child Loop BB176_44 Depth 3
                                        ;       Child Loop BB176_48 Depth 3
                                        ;       Child Loop BB176_52 Depth 3
                                        ;         Child Loop BB176_54 Depth 4
                                        ;         Child Loop BB176_60 Depth 4
                                        ;       Child Loop BB176_63 Depth 3
                                        ;         Child Loop BB176_65 Depth 4
	s_and_b64 vcc, exec, s[22:23]
	s_cbranch_vccz .LBB176_46
; %bb.43:                               ;   in Loop: Header=BB176_42 Depth=2
	v_mov_b32_e32 v2, 0
	s_mov_b32 s21, s20
	s_mov_b32 s28, 1
	;; [unrolled: 1-line block ×4, first 2 shown]
.LBB176_44:                             ;   Parent Loop BB176_39 Depth=1
                                        ;     Parent Loop BB176_42 Depth=2
                                        ; =>    This Inner Loop Header: Depth=3
	s_sub_i32 s4, s20, s29
	s_sub_i32 s44, s21, s28
	s_ashr_i32 s5, s4, 31
	s_ashr_i32 s45, s44, 31
	s_lshl_b64 s[4:5], s[4:5], 3
	s_lshl_b64 s[44:45], s[44:45], 3
	v_mov_b32_e32 v3, s5
	v_add_co_u32_e64 v6, s[4:5], s4, v10
	v_mov_b32_e32 v5, s45
	v_add_co_u32_e32 v4, vcc, s44, v10
	v_addc_co_u32_e64 v7, s[4:5], v11, v3, s[4:5]
	v_addc_co_u32_e32 v5, vcc, v11, v5, vcc
	global_load_dwordx2 v[8:9], v[6:7], off
	global_load_dwordx2 v[16:17], v[4:5], off
	s_add_i32 s29, s29, 2
	s_add_i32 s28, s28, 2
	s_add_i32 s30, s30, -2
	s_mov_b32 s16, s37
	s_mov_b64 s[4:5], s[26:27]
	s_cmp_lg_u32 s30, 0
	s_waitcnt vmcnt(1)
	v_mov_b32_e32 v4, v8
	s_waitcnt vmcnt(0)
	v_mov_b32_e32 v5, v16
	v_mov_b32_e32 v16, v9
	v_pk_mul_f32 v[6:7], v[16:17], s[12:13]
	v_pk_mul_f32 v[8:9], v[16:17], s[10:11]
	v_pk_fma_f32 v[6:7], v[4:5], s[10:11], v[6:7] neg_lo:[0,0,1] neg_hi:[0,0,1]
	v_pk_fma_f32 v[4:5], v[4:5], s[12:13], v[8:9]
	buffer_store_dword v4, v2, s[0:3], 0 offen offset:4
	buffer_store_dword v6, v2, s[0:3], 0 offen
	buffer_store_dword v5, v2, s[0:3], 0 offen offset:12
	buffer_store_dword v7, v2, s[0:3], 0 offen offset:8
	v_add_u32_e32 v2, 16, v2
	s_cbranch_scc1 .LBB176_44
; %bb.45:                               ;   in Loop: Header=BB176_42 Depth=2
	s_ashr_i32 s21, s20, 31
	s_and_b64 vcc, exec, s[4:5]
	s_cbranch_vccnz .LBB176_47
	s_branch .LBB176_49
.LBB176_46:                             ;   in Loop: Header=BB176_42 Depth=2
	s_mov_b32 s16, 0
	s_ashr_i32 s21, s20, 31
	s_cbranch_execz .LBB176_49
.LBB176_47:                             ;   in Loop: Header=BB176_42 Depth=2
	s_lshl_b64 s[28:29], s[20:21], 3
	s_sub_i32 s4, s36, s16
	s_lshl_b64 s[30:31], s[16:17], 3
	s_sub_u32 s5, s28, s30
	s_subb_u32 s28, s29, s31
	v_mov_b32_e32 v3, s28
	v_add_co_u32_e32 v2, vcc, s5, v12
	s_lshl_b32 s5, s16, 3
	v_addc_co_u32_e32 v3, vcc, v13, v3, vcc
	v_add_u32_e32 v4, s5, v14
.LBB176_48:                             ;   Parent Loop BB176_39 Depth=1
                                        ;     Parent Loop BB176_42 Depth=2
                                        ; =>    This Inner Loop Header: Depth=3
	global_load_dwordx2 v[6:7], v[2:3], off offset:-4
	s_add_i32 s4, s4, -1
	v_add_co_u32_e32 v2, vcc, -8, v2
	v_addc_co_u32_e32 v3, vcc, -1, v3, vcc
	s_cmp_eq_u32 s4, 0
	s_waitcnt vmcnt(0)
	v_mul_f32_e32 v5, s25, v7
	v_mul_f32_e32 v7, s24, v7
	v_fma_f32 v5, v6, s24, -v5
	v_fmac_f32_e32 v7, s25, v6
	buffer_store_dword v5, v4, s[0:3], 0 offen
	buffer_store_dword v7, v4, s[0:3], 0 offen offset:4
	v_add_u32_e32 v4, 8, v4
	s_cbranch_scc0 .LBB176_48
.LBB176_49:                             ;   in Loop: Header=BB176_42 Depth=2
	s_cmp_le_i32 s42, s20
	s_cbranch_scc1 .LBB176_61
; %bb.50:                               ;   in Loop: Header=BB176_42 Depth=2
	s_mov_b32 s16, s20
	s_mov_b32 s43, s20
	s_mov_b32 s44, s38
	s_mov_b32 s4, s42
	s_branch .LBB176_52
.LBB176_51:                             ;   in Loop: Header=BB176_52 Depth=3
	s_add_i32 s4, s4, -1
	s_add_i32 s44, s44, -8
	s_cmp_le_i32 s4, s20
	s_cbranch_scc1 .LBB176_61
.LBB176_52:                             ;   Parent Loop BB176_39 Depth=1
                                        ;     Parent Loop BB176_42 Depth=2
                                        ; =>    This Loop Header: Depth=3
                                        ;         Child Loop BB176_54 Depth 4
                                        ;         Child Loop BB176_60 Depth 4
	s_ashr_i32 s5, s4, 31
	s_lshl_b64 s[28:29], s[4:5], 3
	s_waitcnt vmcnt(0)
	v_mov_b32_e32 v3, s29
	v_add_co_u32_e32 v2, vcc, s28, v10
	v_addc_co_u32_e32 v3, vcc, v11, v3, vcc
	global_load_dwordx2 v[2:3], v[2:3], off
	s_and_b64 vcc, exec, s[22:23]
	s_cbranch_vccz .LBB176_56
; %bb.53:                               ;   in Loop: Header=BB176_52 Depth=3
	s_mov_b32 s5, s4
	s_waitcnt vmcnt(0)
	v_mov_b32_e32 v6, v2
	v_mov_b32_e32 v7, v2
	;; [unrolled: 1-line block ×6, first 2 shown]
	s_mov_b32 s28, 1
	s_mov_b32 s29, 0
	;; [unrolled: 1-line block ×3, first 2 shown]
.LBB176_54:                             ;   Parent Loop BB176_39 Depth=1
                                        ;     Parent Loop BB176_42 Depth=2
                                        ;       Parent Loop BB176_52 Depth=3
                                        ; =>      This Inner Loop Header: Depth=4
	buffer_load_dword v16, v5, s[0:3], 0 offen
	buffer_load_dword v18, v5, s[0:3], 0 offen offset:4
	buffer_load_dword v17, v5, s[0:3], 0 offen offset:8
	buffer_load_dword v19, v5, s[0:3], 0 offen offset:12
	s_sub_i32 s31, s43, s28
	s_sub_i32 s45, s16, s29
	s_lshl_b32 s45, s45, 6
	s_lshl_b32 s31, s31, 6
	s_add_i32 s31, s31, s5
	s_add_i32 s45, s45, s4
	s_lshl_b32 s45, s45, 3
	s_lshl_b32 s31, s31, 3
	v_mov_b32_e32 v15, s45
	v_mov_b32_e32 v22, s31
	ds_read_b64 v[20:21], v15
	ds_read_b64 v[22:23], v22
	s_add_i32 s29, s29, 2
	s_add_i32 s28, s28, 2
	s_add_i32 s30, s30, -2
	s_waitcnt lgkmcnt(1)
	v_mov_b32_e32 v24, v20
	s_waitcnt lgkmcnt(0)
	v_mov_b32_e32 v25, v22
	v_mov_b32_e32 v22, v21
	v_pk_mul_f32 v[20:21], v[22:23], v[8:9]
	v_pk_mul_f32 v[22:23], v[22:23], v[6:7]
	v_pk_fma_f32 v[20:21], v[24:25], v[6:7], v[20:21] neg_lo:[0,0,1] neg_hi:[0,0,1]
	v_pk_fma_f32 v[22:23], v[24:25], v[8:9], v[22:23]
	s_cmp_lg_u32 s30, 0
	s_waitcnt vmcnt(1)
	v_pk_add_f32 v[16:17], v[16:17], v[20:21] neg_lo:[0,1] neg_hi:[0,1]
	s_waitcnt vmcnt(0)
	v_pk_add_f32 v[18:19], v[18:19], v[22:23] neg_lo:[0,1] neg_hi:[0,1]
	buffer_store_dword v16, v5, s[0:3], 0 offen
	buffer_store_dword v18, v5, s[0:3], 0 offen offset:4
	buffer_store_dword v17, v5, s[0:3], 0 offen offset:8
	;; [unrolled: 1-line block ×3, first 2 shown]
	v_add_u32_e32 v5, 16, v5
	s_cbranch_scc1 .LBB176_54
; %bb.55:                               ;   in Loop: Header=BB176_52 Depth=3
	s_mov_b64 s[28:29], s[26:27]
	s_mov_b32 s30, s37
	s_branch .LBB176_58
.LBB176_56:                             ;   in Loop: Header=BB176_52 Depth=3
	s_mov_b64 s[28:29], 0
                                        ; implicit-def: $vgpr4_vgpr5
	s_mov_b32 s30, s37
	s_cbranch_execz .LBB176_58
; %bb.57:                               ;   in Loop: Header=BB176_52 Depth=3
	s_waitcnt vmcnt(0)
	v_mov_b32_e32 v4, v3
	s_mov_b64 s[28:29], -1
	s_mov_b32 s30, 0
.LBB176_58:                             ;   in Loop: Header=BB176_52 Depth=3
	s_andn2_b64 vcc, exec, s[28:29]
	s_cbranch_vccnz .LBB176_51
; %bb.59:                               ;   in Loop: Header=BB176_52 Depth=3
	s_lshl_b32 s28, s30, 9
	s_lshl_b32 s29, s30, 3
	s_waitcnt vmcnt(0)
	v_mov_b32_e32 v5, v3
	v_mov_b32_e32 v3, v2
	s_sub_i32 s5, s36, s30
	s_sub_i32 s28, s44, s28
	v_add_u32_e32 v6, s29, v14
.LBB176_60:                             ;   Parent Loop BB176_39 Depth=1
                                        ;     Parent Loop BB176_42 Depth=2
                                        ;       Parent Loop BB176_52 Depth=3
                                        ; =>      This Inner Loop Header: Depth=4
	buffer_load_dword v8, v6, s[0:3], 0 offen
	buffer_load_dword v9, v6, s[0:3], 0 offen offset:4
	v_mov_b32_e32 v7, s28
	ds_read_b64 v[16:17], v7
	s_add_i32 s5, s5, -1
	s_addk_i32 s28, 0xfe00
	s_cmp_eq_u32 s5, 0
	s_waitcnt lgkmcnt(0)
	v_pk_mul_f32 v[18:19], v[16:17], v[4:5]
	v_pk_fma_f32 v[20:21], v[16:17], v[2:3], v[18:19] op_sel:[0,0,1] op_sel_hi:[1,1,0] neg_lo:[0,0,1] neg_hi:[0,0,1]
	v_pk_fma_f32 v[16:17], v[16:17], v[2:3], v[18:19] op_sel:[0,0,1] op_sel_hi:[1,1,0]
	v_mov_b32_e32 v21, v17
	s_waitcnt vmcnt(0)
	v_pk_add_f32 v[8:9], v[8:9], v[20:21] neg_lo:[0,1] neg_hi:[0,1]
	buffer_store_dword v8, v6, s[0:3], 0 offen
	buffer_store_dword v9, v6, s[0:3], 0 offen offset:4
	v_add_u32_e32 v6, 8, v6
	s_cbranch_scc0 .LBB176_60
	s_branch .LBB176_51
.LBB176_61:                             ;   in Loop: Header=BB176_42 Depth=2
	s_mov_b32 s16, 0
	s_mov_b32 s43, s40
	s_branch .LBB176_63
.LBB176_62:                             ;   in Loop: Header=BB176_63 Depth=3
	s_mulk_i32 s28, 0x208
	v_mov_b32_e32 v4, s28
	ds_read_b64 v[4:5], v4
	s_lshl_b64 s[4:5], s[4:5], 3
	s_lshl_b32 s28, s16, 3
	s_add_i32 s16, s16, 1
	s_addk_i32 s43, 0xfe00
	s_waitcnt vmcnt(0) lgkmcnt(0)
	v_mul_f32_e32 v6, v5, v3
	v_mul_f32_e32 v7, v4, v3
	v_fma_f32 v6, v4, v2, -v6
	v_fmac_f32_e32 v7, v5, v2
	v_mov_b32_e32 v3, s5
	v_add_co_u32_e32 v2, vcc, s4, v10
	v_add_u32_e32 v8, s28, v14
	v_addc_co_u32_e32 v3, vcc, v11, v3, vcc
	s_cmp_eq_u32 s16, s36
	buffer_store_dword v6, v8, s[0:3], 0 offen
	buffer_store_dword v7, v8, s[0:3], 0 offen offset:4
	global_store_dwordx2 v[2:3], v[6:7], off
	s_cbranch_scc1 .LBB176_41
.LBB176_63:                             ;   Parent Loop BB176_39 Depth=1
                                        ;     Parent Loop BB176_42 Depth=2
                                        ; =>    This Loop Header: Depth=3
                                        ;         Child Loop BB176_65 Depth 4
	s_cmp_lg_u32 s16, 0
	s_cbranch_scc0 .LBB176_67
; %bb.64:                               ;   in Loop: Header=BB176_63 Depth=3
	s_lshl_b32 s4, s16, 3
	v_add_u32_e32 v4, s4, v14
	buffer_load_dword v2, v4, s[0:3], 0 offen
	buffer_load_dword v3, v4, s[0:3], 0 offen offset:4
	v_mov_b32_e32 v5, 0
	s_mov_b32 s4, 0
	s_mov_b32 s5, s43
.LBB176_65:                             ;   Parent Loop BB176_39 Depth=1
                                        ;     Parent Loop BB176_42 Depth=2
                                        ;       Parent Loop BB176_63 Depth=3
                                        ; =>      This Inner Loop Header: Depth=4
	buffer_load_dword v7, v5, s[0:3], 0 offen offset:4
	buffer_load_dword v6, v5, s[0:3], 0 offen
	v_mov_b32_e32 v8, s5
	ds_read_b64 v[8:9], v8
	s_add_i32 s4, s4, 1
	s_add_i32 s5, s5, -8
	v_add_u32_e32 v5, 8, v5
	s_cmp_ge_u32 s4, s16
	s_waitcnt vmcnt(1)
	v_mov_b32_e32 v16, v7
	s_waitcnt lgkmcnt(0)
	v_pk_mul_f32 v[16:17], v[8:9], v[16:17] op_sel_hi:[1,0]
	s_waitcnt vmcnt(0)
	v_pk_fma_f32 v[18:19], v[8:9], v[6:7], v[16:17] op_sel:[0,0,1] op_sel_hi:[1,1,0] neg_lo:[0,0,1] neg_hi:[0,0,1]
	v_pk_fma_f32 v[6:7], v[8:9], v[6:7], v[16:17] op_sel:[0,0,1] op_sel_hi:[1,0,0]
	v_mov_b32_e32 v19, v7
	v_pk_add_f32 v[2:3], v[2:3], v[18:19] neg_lo:[0,1] neg_hi:[0,1]
	buffer_store_dword v2, v4, s[0:3], 0 offen
	buffer_store_dword v3, v4, s[0:3], 0 offen offset:4
	s_cbranch_scc0 .LBB176_65
; %bb.66:                               ;   in Loop: Header=BB176_63 Depth=3
	s_sub_i32 s28, s20, s16
	s_ashr_i32 s29, s28, 31
	s_mov_b64 s[4:5], s[28:29]
	s_branch .LBB176_62
.LBB176_67:                             ;   in Loop: Header=BB176_63 Depth=3
                                        ; implicit-def: $vgpr2
                                        ; implicit-def: $sgpr28
                                        ; implicit-def: $sgpr4_sgpr5
	s_cbranch_execz .LBB176_62
; %bb.68:                               ;   in Loop: Header=BB176_63 Depth=3
	buffer_load_dword v2, off, s[0:3], 0
	buffer_load_dword v3, off, s[0:3], 0 offset:4
	s_mov_b64 s[4:5], s[20:21]
	s_mov_b32 s28, s20
	s_branch .LBB176_62
.LBB176_69:
	s_mov_b64 s[4:5], 0
.LBB176_70:
	s_and_b64 vcc, exec, s[4:5]
	s_cbranch_vccz .LBB176_103
; %bb.71:
	s_add_u32 s4, s14, s8
	s_addc_u32 s5, s15, s9
	s_add_u32 s4, s4, s6
	s_addc_u32 s5, s5, s7
	v_mov_b32_e32 v2, s5
	v_add_co_u32_e32 v0, vcc, s4, v0
	v_addc_co_u32_e32 v1, vcc, v2, v1, vcc
	v_add_co_u32_e32 v8, vcc, 4, v0
	s_mov_b32 s7, 0
	s_mov_b32 s10, s24
	;; [unrolled: 1-line block ×5, first 2 shown]
	v_addc_co_u32_e32 v9, vcc, 0, v1, vcc
	v_mov_b32_e32 v12, 0
	s_mov_b32 s20, s7
	s_mov_b32 s8, s7
	s_branch .LBB176_73
.LBB176_72:                             ;   in Loop: Header=BB176_73 Depth=1
	s_cmp_ge_i32 s20, s33
	s_cselect_b64 s[4:5], -1, 0
	s_add_i32 s8, s8, 1
	s_cmp_eq_u32 s8, 3
	s_cselect_b64 s[14:15], -1, 0
	s_or_b64 s[4:5], s[4:5], s[14:15]
	s_and_b64 vcc, exec, s[4:5]
	s_cbranch_vccnz .LBB176_103
.LBB176_73:                             ; =>This Loop Header: Depth=1
                                        ;     Child Loop BB176_76 Depth 2
                                        ;       Child Loop BB176_78 Depth 3
                                        ;       Child Loop BB176_82 Depth 3
	;; [unrolled: 1-line block ×3, first 2 shown]
                                        ;         Child Loop BB176_88 Depth 4
                                        ;         Child Loop BB176_94 Depth 4
                                        ;       Child Loop BB176_97 Depth 3
                                        ;         Child Loop BB176_99 Depth 4
	s_mov_b32 s9, s7
	s_lshl_b64 s[4:5], s[8:9], 2
	s_getpc_b64 s[14:15]
	s_add_u32 s14, s14, __const._ZL30rocblas_trsm_small_left_deviceILi64ELi32ELb1E19rocblas_complex_numIfES1_PKS1_PS1_Ev13rocblas_fill_18rocblas_operation_17rocblas_diagonal_iiT3_T4_lilT5_lili.step_sizes@rel32@lo+4
	s_addc_u32 s15, s15, __const._ZL30rocblas_trsm_small_left_deviceILi64ELi32ELb1E19rocblas_complex_numIfES1_PKS1_PS1_Ev13rocblas_fill_18rocblas_operation_17rocblas_diagonal_iiT3_T4_lilT5_lili.step_sizes@rel32@hi+12
	s_add_u32 s4, s4, s14
	s_addc_u32 s5, s5, s15
	s_load_dword s9, s[4:5], 0x0
	s_waitcnt lgkmcnt(0)
	s_add_i32 s21, s9, -1
	s_add_i32 s4, s21, s20
	s_cmp_ge_i32 s4, s33
	s_cbranch_scc1 .LBB176_72
; %bb.74:                               ;   in Loop: Header=BB176_73 Depth=1
	s_max_i32 s22, s9, 1
	s_cmp_lg_u32 s8, 2
	s_cselect_b64 s[14:15], -1, 0
	s_and_b32 s23, s22, 0x7ffffffe
	s_cmp_lg_u32 s22, s23
	s_cselect_b64 s[16:17], -1, 0
	s_ashr_i32 s26, s20, 31
	s_ashr_i32 s27, s9, 31
	s_mul_i32 s28, s20, 0x208
	s_mul_i32 s29, s9, 0x208
	s_branch .LBB176_76
.LBB176_75:                             ;   in Loop: Header=BB176_76 Depth=2
	s_add_u32 s20, s20, s9
	s_addc_u32 s26, s26, s27
	s_add_i32 s4, s21, s20
	s_add_i32 s28, s28, s29
	s_cmp_ge_i32 s4, s33
	s_cbranch_scc1 .LBB176_72
.LBB176_76:                             ;   Parent Loop BB176_73 Depth=1
                                        ; =>  This Loop Header: Depth=2
                                        ;       Child Loop BB176_78 Depth 3
                                        ;       Child Loop BB176_82 Depth 3
                                        ;       Child Loop BB176_86 Depth 3
                                        ;         Child Loop BB176_88 Depth 4
                                        ;         Child Loop BB176_94 Depth 4
                                        ;       Child Loop BB176_97 Depth 3
                                        ;         Child Loop BB176_99 Depth 4
	s_and_b64 vcc, exec, s[14:15]
	s_cbranch_vccz .LBB176_80
; %bb.77:                               ;   in Loop: Header=BB176_76 Depth=2
	v_mov_b32_e32 v0, 0
	s_mov_b32 s6, s20
	s_mov_b32 s18, s20
	;; [unrolled: 1-line block ×5, first 2 shown]
.LBB176_78:                             ;   Parent Loop BB176_73 Depth=1
                                        ;     Parent Loop BB176_76 Depth=2
                                        ; =>    This Inner Loop Header: Depth=3
	s_add_i32 s4, s30, s6
	s_add_i32 s34, s19, s18
	s_ashr_i32 s5, s4, 31
	s_ashr_i32 s35, s34, 31
	s_lshl_b64 s[4:5], s[4:5], 3
	s_lshl_b64 s[34:35], s[34:35], 3
	v_mov_b32_e32 v1, s5
	v_add_co_u32_e64 v4, s[4:5], s4, v10
	v_mov_b32_e32 v3, s35
	v_add_co_u32_e32 v2, vcc, s34, v10
	v_addc_co_u32_e64 v5, s[4:5], v11, v1, s[4:5]
	v_addc_co_u32_e32 v3, vcc, v11, v3, vcc
	global_load_dwordx2 v[6:7], v[4:5], off
	global_load_dwordx2 v[14:15], v[2:3], off
	s_add_i32 s30, s30, 2
	s_add_i32 s19, s19, 2
	s_add_i32 s31, s31, -2
	s_mov_b32 s34, s23
	s_mov_b64 s[4:5], s[16:17]
	s_cmp_lg_u32 s31, 0
	s_waitcnt vmcnt(1)
	v_mov_b32_e32 v2, v6
	s_waitcnt vmcnt(0)
	v_mov_b32_e32 v3, v14
	v_mov_b32_e32 v14, v7
	v_pk_mul_f32 v[4:5], v[14:15], s[12:13]
	v_pk_mul_f32 v[6:7], v[14:15], s[10:11]
	v_pk_fma_f32 v[4:5], v[2:3], s[10:11], v[4:5] neg_lo:[0,0,1] neg_hi:[0,0,1]
	v_pk_fma_f32 v[2:3], v[2:3], s[12:13], v[6:7]
	buffer_store_dword v2, v0, s[0:3], 0 offen offset:4
	buffer_store_dword v4, v0, s[0:3], 0 offen
	buffer_store_dword v3, v0, s[0:3], 0 offen offset:12
	buffer_store_dword v5, v0, s[0:3], 0 offen offset:8
	v_add_u32_e32 v0, 16, v0
	s_cbranch_scc1 .LBB176_78
; %bb.79:                               ;   in Loop: Header=BB176_76 Depth=2
	s_and_b64 vcc, exec, s[4:5]
	s_cbranch_vccnz .LBB176_81
	s_branch .LBB176_83
.LBB176_80:                             ;   in Loop: Header=BB176_76 Depth=2
	s_mov_b32 s34, 0
	s_cbranch_execz .LBB176_83
.LBB176_81:                             ;   in Loop: Header=BB176_76 Depth=2
	s_sub_i32 s4, s22, s34
	s_add_u32 s18, s20, s34
	s_addc_u32 s19, s26, 0
	s_lshl_b64 s[18:19], s[18:19], 3
	v_mov_b32_e32 v1, s19
	v_add_co_u32_e32 v0, vcc, s18, v8
	s_lshl_b32 s5, s34, 3
	v_addc_co_u32_e32 v1, vcc, v9, v1, vcc
	v_add_u32_e32 v2, s5, v12
.LBB176_82:                             ;   Parent Loop BB176_73 Depth=1
                                        ;     Parent Loop BB176_76 Depth=2
                                        ; =>    This Inner Loop Header: Depth=3
	global_load_dwordx2 v[4:5], v[0:1], off offset:-4
	s_add_i32 s4, s4, -1
	v_add_co_u32_e32 v0, vcc, 8, v0
	v_addc_co_u32_e32 v1, vcc, 0, v1, vcc
	s_cmp_eq_u32 s4, 0
	s_waitcnt vmcnt(0)
	v_mul_f32_e32 v3, s25, v5
	v_mul_f32_e32 v5, s24, v5
	v_fma_f32 v3, v4, s24, -v3
	v_fmac_f32_e32 v5, s25, v4
	buffer_store_dword v3, v2, s[0:3], 0 offen
	buffer_store_dword v5, v2, s[0:3], 0 offen offset:4
	v_add_u32_e32 v2, 8, v2
	s_cbranch_scc0 .LBB176_82
.LBB176_83:                             ;   in Loop: Header=BB176_76 Depth=2
	s_cmp_lt_i32 s20, 1
	s_cbranch_scc1 .LBB176_95
; %bb.84:                               ;   in Loop: Header=BB176_76 Depth=2
	s_mov_b32 s6, 0
	s_mov_b32 s30, s20
	s_branch .LBB176_86
.LBB176_85:                             ;   in Loop: Header=BB176_86 Depth=3
	s_add_i32 s6, s6, 1
	s_add_i32 s30, s30, 64
	s_cmp_ge_i32 s6, s20
	s_cbranch_scc1 .LBB176_95
.LBB176_86:                             ;   Parent Loop BB176_73 Depth=1
                                        ;     Parent Loop BB176_76 Depth=2
                                        ; =>    This Loop Header: Depth=3
                                        ;         Child Loop BB176_88 Depth 4
                                        ;         Child Loop BB176_94 Depth 4
	s_lshl_b64 s[4:5], s[6:7], 3
	s_waitcnt vmcnt(0)
	v_mov_b32_e32 v1, s5
	v_add_co_u32_e32 v0, vcc, s4, v10
	v_addc_co_u32_e32 v1, vcc, v11, v1, vcc
	global_load_dwordx2 v[0:1], v[0:1], off
	s_and_b64 vcc, exec, s[14:15]
	s_cbranch_vccz .LBB176_90
; %bb.87:                               ;   in Loop: Header=BB176_86 Depth=3
	s_lshl_b32 s4, s6, 6
	s_add_i32 s4, s4, s20
	s_mov_b32 s5, s4
	s_waitcnt vmcnt(0)
	v_mov_b32_e32 v4, v0
	v_mov_b32_e32 v5, v0
	;; [unrolled: 1-line block ×6, first 2 shown]
	s_mov_b32 s18, 1
	s_mov_b32 s19, 0
	;; [unrolled: 1-line block ×3, first 2 shown]
.LBB176_88:                             ;   Parent Loop BB176_73 Depth=1
                                        ;     Parent Loop BB176_76 Depth=2
                                        ;       Parent Loop BB176_86 Depth=3
                                        ; =>      This Inner Loop Header: Depth=4
	buffer_load_dword v14, v3, s[0:3], 0 offen
	buffer_load_dword v16, v3, s[0:3], 0 offen offset:4
	buffer_load_dword v15, v3, s[0:3], 0 offen offset:8
	;; [unrolled: 1-line block ×3, first 2 shown]
	s_add_i32 s34, s5, s18
	s_add_i32 s35, s4, s19
	s_lshl_b32 s35, s35, 3
	s_lshl_b32 s34, s34, 3
	v_mov_b32_e32 v13, s35
	v_mov_b32_e32 v20, s34
	ds_read_b64 v[18:19], v13
	ds_read_b64 v[20:21], v20
	s_add_i32 s19, s19, 2
	s_add_i32 s18, s18, 2
	s_add_i32 s31, s31, -2
	s_waitcnt lgkmcnt(1)
	v_mov_b32_e32 v22, v18
	s_waitcnt lgkmcnt(0)
	v_mov_b32_e32 v23, v20
	v_mov_b32_e32 v20, v19
	v_pk_mul_f32 v[18:19], v[20:21], v[6:7]
	v_pk_mul_f32 v[20:21], v[20:21], v[4:5]
	v_pk_fma_f32 v[18:19], v[22:23], v[4:5], v[18:19] neg_lo:[0,0,1] neg_hi:[0,0,1]
	v_pk_fma_f32 v[20:21], v[22:23], v[6:7], v[20:21]
	s_cmp_lg_u32 s31, 0
	s_waitcnt vmcnt(1)
	v_pk_add_f32 v[14:15], v[14:15], v[18:19] neg_lo:[0,1] neg_hi:[0,1]
	s_waitcnt vmcnt(0)
	v_pk_add_f32 v[16:17], v[16:17], v[20:21] neg_lo:[0,1] neg_hi:[0,1]
	buffer_store_dword v14, v3, s[0:3], 0 offen
	buffer_store_dword v16, v3, s[0:3], 0 offen offset:4
	buffer_store_dword v15, v3, s[0:3], 0 offen offset:8
	;; [unrolled: 1-line block ×3, first 2 shown]
	v_add_u32_e32 v3, 16, v3
	s_cbranch_scc1 .LBB176_88
; %bb.89:                               ;   in Loop: Header=BB176_86 Depth=3
	s_mov_b64 s[4:5], s[16:17]
	s_mov_b32 s18, s23
	s_branch .LBB176_92
.LBB176_90:                             ;   in Loop: Header=BB176_86 Depth=3
	s_mov_b64 s[4:5], 0
                                        ; implicit-def: $vgpr2_vgpr3
	s_mov_b32 s18, s23
	s_cbranch_execz .LBB176_92
; %bb.91:                               ;   in Loop: Header=BB176_86 Depth=3
	s_waitcnt vmcnt(0)
	v_mov_b32_e32 v2, v1
	s_mov_b64 s[4:5], -1
	s_mov_b32 s18, 0
.LBB176_92:                             ;   in Loop: Header=BB176_86 Depth=3
	s_andn2_b64 vcc, exec, s[4:5]
	s_cbranch_vccnz .LBB176_85
; %bb.93:                               ;   in Loop: Header=BB176_86 Depth=3
	s_sub_i32 s4, s22, s18
	s_add_i32 s5, s18, s30
	s_lshl_b32 s18, s18, 3
	s_waitcnt vmcnt(0)
	v_mov_b32_e32 v3, v1
	v_mov_b32_e32 v1, v0
	s_lshl_b32 s5, s5, 3
	v_add_u32_e32 v4, s18, v12
.LBB176_94:                             ;   Parent Loop BB176_73 Depth=1
                                        ;     Parent Loop BB176_76 Depth=2
                                        ;       Parent Loop BB176_86 Depth=3
                                        ; =>      This Inner Loop Header: Depth=4
	buffer_load_dword v6, v4, s[0:3], 0 offen
	buffer_load_dword v7, v4, s[0:3], 0 offen offset:4
	v_mov_b32_e32 v5, s5
	ds_read_b64 v[14:15], v5
	s_add_i32 s4, s4, -1
	s_add_i32 s5, s5, 8
	s_cmp_eq_u32 s4, 0
	s_waitcnt lgkmcnt(0)
	v_pk_mul_f32 v[16:17], v[14:15], v[2:3]
	v_pk_fma_f32 v[18:19], v[14:15], v[0:1], v[16:17] op_sel:[0,0,1] op_sel_hi:[1,1,0] neg_lo:[0,0,1] neg_hi:[0,0,1]
	v_pk_fma_f32 v[14:15], v[14:15], v[0:1], v[16:17] op_sel:[0,0,1] op_sel_hi:[1,1,0]
	v_mov_b32_e32 v19, v15
	s_waitcnt vmcnt(0)
	v_pk_add_f32 v[6:7], v[6:7], v[18:19] neg_lo:[0,1] neg_hi:[0,1]
	buffer_store_dword v6, v4, s[0:3], 0 offen
	buffer_store_dword v7, v4, s[0:3], 0 offen offset:4
	v_add_u32_e32 v4, 8, v4
	s_cbranch_scc0 .LBB176_94
	s_branch .LBB176_85
.LBB176_95:                             ;   in Loop: Header=BB176_76 Depth=2
	s_mov_b32 s6, 0
	s_mov_b32 s30, s28
	s_branch .LBB176_97
.LBB176_96:                             ;   in Loop: Header=BB176_97 Depth=3
	s_mul_i32 s5, s4, 0x208
	v_mov_b32_e32 v2, s5
	ds_read_b64 v[2:3], v2
	s_lshl_b32 s5, s6, 3
	v_add_u32_e32 v6, s5, v12
	s_ashr_i32 s5, s4, 31
	s_lshl_b64 s[4:5], s[4:5], 3
	s_waitcnt vmcnt(0) lgkmcnt(0)
	v_mul_f32_e32 v4, v3, v1
	v_mul_f32_e32 v5, v2, v1
	v_fma_f32 v4, v2, v0, -v4
	v_fmac_f32_e32 v5, v3, v0
	v_mov_b32_e32 v1, s5
	v_add_co_u32_e32 v0, vcc, s4, v10
	s_add_i32 s6, s6, 1
	s_add_i32 s30, s30, 8
	v_addc_co_u32_e32 v1, vcc, v11, v1, vcc
	s_cmp_eq_u32 s6, s22
	buffer_store_dword v4, v6, s[0:3], 0 offen
	buffer_store_dword v5, v6, s[0:3], 0 offen offset:4
	global_store_dwordx2 v[0:1], v[4:5], off
	s_cbranch_scc1 .LBB176_75
.LBB176_97:                             ;   Parent Loop BB176_73 Depth=1
                                        ;     Parent Loop BB176_76 Depth=2
                                        ; =>    This Loop Header: Depth=3
                                        ;         Child Loop BB176_99 Depth 4
	s_cmp_lg_u32 s6, 0
	s_cbranch_scc0 .LBB176_101
; %bb.98:                               ;   in Loop: Header=BB176_97 Depth=3
	s_lshl_b32 s4, s6, 3
	v_add_u32_e32 v2, s4, v12
	buffer_load_dword v0, v2, s[0:3], 0 offen
	buffer_load_dword v1, v2, s[0:3], 0 offen offset:4
	v_mov_b32_e32 v3, 0
	s_mov_b32 s4, 0
	s_mov_b32 s5, s30
.LBB176_99:                             ;   Parent Loop BB176_73 Depth=1
                                        ;     Parent Loop BB176_76 Depth=2
                                        ;       Parent Loop BB176_97 Depth=3
                                        ; =>      This Inner Loop Header: Depth=4
	buffer_load_dword v5, v3, s[0:3], 0 offen offset:4
	buffer_load_dword v4, v3, s[0:3], 0 offen
	v_mov_b32_e32 v6, s5
	ds_read_b64 v[6:7], v6
	s_add_i32 s4, s4, 1
	s_addk_i32 s5, 0x200
	v_add_u32_e32 v3, 8, v3
	s_cmp_ge_u32 s4, s6
	s_waitcnt vmcnt(1)
	v_mov_b32_e32 v14, v5
	s_waitcnt lgkmcnt(0)
	v_pk_mul_f32 v[14:15], v[6:7], v[14:15] op_sel_hi:[1,0]
	s_waitcnt vmcnt(0)
	v_pk_fma_f32 v[16:17], v[6:7], v[4:5], v[14:15] op_sel:[0,0,1] op_sel_hi:[1,1,0] neg_lo:[0,0,1] neg_hi:[0,0,1]
	v_pk_fma_f32 v[4:5], v[6:7], v[4:5], v[14:15] op_sel:[0,0,1] op_sel_hi:[1,0,0]
	v_mov_b32_e32 v17, v5
	v_pk_add_f32 v[0:1], v[0:1], v[16:17] neg_lo:[0,1] neg_hi:[0,1]
	buffer_store_dword v0, v2, s[0:3], 0 offen
	buffer_store_dword v1, v2, s[0:3], 0 offen offset:4
	s_cbranch_scc0 .LBB176_99
; %bb.100:                              ;   in Loop: Header=BB176_97 Depth=3
	s_add_i32 s4, s6, s20
	s_branch .LBB176_96
.LBB176_101:                            ;   in Loop: Header=BB176_97 Depth=3
                                        ; implicit-def: $vgpr0
                                        ; implicit-def: $sgpr4
	s_cbranch_execz .LBB176_96
; %bb.102:                              ;   in Loop: Header=BB176_97 Depth=3
	buffer_load_dword v0, off, s[0:3], 0
	buffer_load_dword v1, off, s[0:3], 0 offset:4
	s_mov_b32 s4, s20
	s_branch .LBB176_96
.LBB176_103:
	s_endpgm
	.section	.rodata,"a",@progbits
	.p2align	6, 0x0
	.amdhsa_kernel _ZL30rocblas_trsm_small_left_deviceILi64ELi32ELb1E19rocblas_complex_numIfES1_PKS1_PS1_Ev13rocblas_fill_18rocblas_operation_17rocblas_diagonal_iiT3_T4_lilT5_lili
		.amdhsa_group_segment_fixed_size 32768
		.amdhsa_private_segment_fixed_size 272
		.amdhsa_kernarg_size 360
		.amdhsa_user_sgpr_count 8
		.amdhsa_user_sgpr_private_segment_buffer 1
		.amdhsa_user_sgpr_dispatch_ptr 0
		.amdhsa_user_sgpr_queue_ptr 0
		.amdhsa_user_sgpr_kernarg_segment_ptr 1
		.amdhsa_user_sgpr_dispatch_id 0
		.amdhsa_user_sgpr_flat_scratch_init 1
		.amdhsa_user_sgpr_kernarg_preload_length 0
		.amdhsa_user_sgpr_kernarg_preload_offset 0
		.amdhsa_user_sgpr_private_segment_size 0
		.amdhsa_uses_dynamic_stack 0
		.amdhsa_system_sgpr_private_segment_wavefront_offset 1
		.amdhsa_system_sgpr_workgroup_id_x 1
		.amdhsa_system_sgpr_workgroup_id_y 0
		.amdhsa_system_sgpr_workgroup_id_z 1
		.amdhsa_system_sgpr_workgroup_info 0
		.amdhsa_system_vgpr_workitem_id 0
		.amdhsa_next_free_vgpr 26
		.amdhsa_next_free_sgpr 46
		.amdhsa_accum_offset 28
		.amdhsa_reserve_vcc 1
		.amdhsa_reserve_flat_scratch 0
		.amdhsa_float_round_mode_32 0
		.amdhsa_float_round_mode_16_64 0
		.amdhsa_float_denorm_mode_32 3
		.amdhsa_float_denorm_mode_16_64 3
		.amdhsa_dx10_clamp 1
		.amdhsa_ieee_mode 1
		.amdhsa_fp16_overflow 0
		.amdhsa_tg_split 0
		.amdhsa_exception_fp_ieee_invalid_op 0
		.amdhsa_exception_fp_denorm_src 0
		.amdhsa_exception_fp_ieee_div_zero 0
		.amdhsa_exception_fp_ieee_overflow 0
		.amdhsa_exception_fp_ieee_underflow 0
		.amdhsa_exception_fp_ieee_inexact 0
		.amdhsa_exception_int_div_zero 0
	.end_amdhsa_kernel
	.section	.text._ZL30rocblas_trsm_small_left_deviceILi64ELi32ELb1E19rocblas_complex_numIfES1_PKS1_PS1_Ev13rocblas_fill_18rocblas_operation_17rocblas_diagonal_iiT3_T4_lilT5_lili,"axG",@progbits,_ZL30rocblas_trsm_small_left_deviceILi64ELi32ELb1E19rocblas_complex_numIfES1_PKS1_PS1_Ev13rocblas_fill_18rocblas_operation_17rocblas_diagonal_iiT3_T4_lilT5_lili,comdat
.Lfunc_end176:
	.size	_ZL30rocblas_trsm_small_left_deviceILi64ELi32ELb1E19rocblas_complex_numIfES1_PKS1_PS1_Ev13rocblas_fill_18rocblas_operation_17rocblas_diagonal_iiT3_T4_lilT5_lili, .Lfunc_end176-_ZL30rocblas_trsm_small_left_deviceILi64ELi32ELb1E19rocblas_complex_numIfES1_PKS1_PS1_Ev13rocblas_fill_18rocblas_operation_17rocblas_diagonal_iiT3_T4_lilT5_lili
                                        ; -- End function
	.section	.AMDGPU.csdata,"",@progbits
; Kernel info:
; codeLenInByte = 4340
; NumSgprs: 50
; NumVgprs: 26
; NumAgprs: 0
; TotalNumVgprs: 26
; ScratchSize: 272
; MemoryBound: 0
; FloatMode: 240
; IeeeMode: 1
; LDSByteSize: 32768 bytes/workgroup (compile time only)
; SGPRBlocks: 6
; VGPRBlocks: 3
; NumSGPRsForWavesPerEU: 50
; NumVGPRsForWavesPerEU: 26
; AccumOffset: 28
; Occupancy: 1
; WaveLimiterHint : 0
; COMPUTE_PGM_RSRC2:SCRATCH_EN: 1
; COMPUTE_PGM_RSRC2:USER_SGPR: 8
; COMPUTE_PGM_RSRC2:TRAP_HANDLER: 0
; COMPUTE_PGM_RSRC2:TGID_X_EN: 1
; COMPUTE_PGM_RSRC2:TGID_Y_EN: 0
; COMPUTE_PGM_RSRC2:TGID_Z_EN: 1
; COMPUTE_PGM_RSRC2:TIDIG_COMP_CNT: 0
; COMPUTE_PGM_RSRC3_GFX90A:ACCUM_OFFSET: 6
; COMPUTE_PGM_RSRC3_GFX90A:TG_SPLIT: 0
	.section	.text._ZL31rocblas_trsm_small_right_deviceI19rocblas_complex_numIfES1_PKS1_PS1_Li64EEv13rocblas_fill_18rocblas_operation_17rocblas_diagonal_iiT0_T1_lilT2_lili,"axG",@progbits,_ZL31rocblas_trsm_small_right_deviceI19rocblas_complex_numIfES1_PKS1_PS1_Li64EEv13rocblas_fill_18rocblas_operation_17rocblas_diagonal_iiT0_T1_lilT2_lili,comdat
	.globl	_ZL31rocblas_trsm_small_right_deviceI19rocblas_complex_numIfES1_PKS1_PS1_Li64EEv13rocblas_fill_18rocblas_operation_17rocblas_diagonal_iiT0_T1_lilT2_lili ; -- Begin function _ZL31rocblas_trsm_small_right_deviceI19rocblas_complex_numIfES1_PKS1_PS1_Li64EEv13rocblas_fill_18rocblas_operation_17rocblas_diagonal_iiT0_T1_lilT2_lili
	.p2align	8
	.type	_ZL31rocblas_trsm_small_right_deviceI19rocblas_complex_numIfES1_PKS1_PS1_Li64EEv13rocblas_fill_18rocblas_operation_17rocblas_diagonal_iiT0_T1_lilT2_lili,@function
_ZL31rocblas_trsm_small_right_deviceI19rocblas_complex_numIfES1_PKS1_PS1_Li64EEv13rocblas_fill_18rocblas_operation_17rocblas_diagonal_iiT0_T1_lilT2_lili: ; @_ZL31rocblas_trsm_small_right_deviceI19rocblas_complex_numIfES1_PKS1_PS1_Li64EEv13rocblas_fill_18rocblas_operation_17rocblas_diagonal_iiT0_T1_lilT2_lili
; %bb.0:
	s_load_dwordx8 s[12:19], s[4:5], 0x0
	s_load_dwordx4 s[20:23], s[4:5], 0x38
	s_load_dwordx2 s[26:27], s[4:5], 0x48
	s_waitcnt lgkmcnt(0)
	s_load_dword s19, s[4:5], 0x68
	s_mov_b32 s40, 0
	s_min_i32 s33, s16, 64
	s_add_i32 s50, s33, -1
	v_cmp_gt_i32_e32 vcc, s33, v0
	s_and_saveexec_b64 s[24:25], vcc
	s_cbranch_execz .LBB177_29
; %bb.1:
	s_load_dword s28, s[4:5], 0x30
	s_load_dwordx4 s[8:11], s[4:5], 0x20
	s_mul_i32 s0, s7, s21
	s_mul_hi_u32 s1, s7, s20
	s_mul_i32 s20, s7, s20
	s_waitcnt lgkmcnt(0)
	s_ashr_i32 s29, s28, 31
	s_cmpk_lg_i32 s13, 0x71
	s_cselect_b64 s[30:31], -1, 0
	s_add_i32 s21, s1, s0
	v_cndmask_b32_e64 v1, 0, 1, s[30:31]
	s_cmp_lt_u32 s50, 3
	v_cmp_ne_u32_e64 s[0:1], 1, v1
	s_cbranch_scc1 .LBB177_20
; %bb.2:
	s_lshl_b64 s[2:3], s[20:21], 3
	s_add_u32 s34, s8, s2
	s_addc_u32 s35, s9, s3
	s_lshl_b64 s[2:3], s[10:11], 3
	s_add_u32 s2, s34, s2
	s_addc_u32 s3, s35, s3
	v_lshlrev_b32_e32 v1, 3, v0
	v_mov_b32_e32 v3, s3
	v_add_co_u32_e32 v2, vcc, s2, v1
	s_mul_hi_i32 s2, s28, 24
	s_lshl_b64 s[34:35], s[28:29], 5
	s_lshl_b64 s[36:37], s[28:29], 4
	;; [unrolled: 1-line block ×3, first 2 shown]
	v_addc_co_u32_e32 v3, vcc, 0, v3, vcc
	s_and_b32 s40, s33, -4
	s_mul_i32 s41, s28, 24
	s_mov_b32 s42, 0
	v_mov_b32_e32 v8, s39
	v_mov_b32_e32 v9, s37
	;; [unrolled: 1-line block ×4, first 2 shown]
	s_branch .LBB177_4
.LBB177_3:                              ;   in Loop: Header=BB177_4 Depth=1
	global_load_dword v4, v[6:7], off
	s_add_i32 s42, s42, 4
	v_add_co_u32_e32 v2, vcc, s34, v2
	v_addc_co_u32_e32 v3, vcc, v3, v11, vcc
	s_cmp_eq_u32 s40, s42
	s_waitcnt vmcnt(0)
	ds_write_b64 v1, v[4:5] offset:1536
	v_add_u32_e32 v1, 0x800, v1
	s_cbranch_scc1 .LBB177_20
.LBB177_4:                              ; =>This Inner Loop Header: Depth=1
	s_and_b64 vcc, exec, s[30:31]
	s_cbranch_vccz .LBB177_6
; %bb.5:                                ;   in Loop: Header=BB177_4 Depth=1
	global_load_dword v5, v[2:3], off offset:4
	s_cbranch_execz .LBB177_7
	s_branch .LBB177_8
.LBB177_6:                              ;   in Loop: Header=BB177_4 Depth=1
                                        ; implicit-def: $vgpr5
.LBB177_7:                              ;   in Loop: Header=BB177_4 Depth=1
	global_load_dword v4, v[2:3], off offset:4
	s_waitcnt vmcnt(0)
	v_xor_b32_e32 v5, 0x80000000, v4
.LBB177_8:                              ;   in Loop: Header=BB177_4 Depth=1
	global_load_dword v4, v[2:3], off
	v_add_co_u32_e64 v6, s[2:3], s38, v2
	s_and_b64 vcc, exec, s[0:1]
	v_addc_co_u32_e64 v7, s[2:3], v3, v8, s[2:3]
	s_waitcnt vmcnt(0)
	ds_write_b64 v1, v[4:5]
	s_cbranch_vccnz .LBB177_10
; %bb.9:                                ;   in Loop: Header=BB177_4 Depth=1
	global_load_dword v5, v[6:7], off offset:4
	s_cbranch_execz .LBB177_11
	s_branch .LBB177_12
.LBB177_10:                             ;   in Loop: Header=BB177_4 Depth=1
                                        ; implicit-def: $vgpr5
.LBB177_11:                             ;   in Loop: Header=BB177_4 Depth=1
	global_load_dword v4, v[6:7], off offset:4
	s_waitcnt vmcnt(0)
	v_xor_b32_e32 v5, 0x80000000, v4
.LBB177_12:                             ;   in Loop: Header=BB177_4 Depth=1
	global_load_dword v4, v[6:7], off
	v_add_co_u32_e64 v6, s[2:3], s36, v2
	s_and_b64 vcc, exec, s[0:1]
	v_addc_co_u32_e64 v7, s[2:3], v3, v9, s[2:3]
	s_waitcnt vmcnt(0)
	ds_write_b64 v1, v[4:5] offset:512
	s_cbranch_vccnz .LBB177_14
; %bb.13:                               ;   in Loop: Header=BB177_4 Depth=1
	global_load_dword v5, v[6:7], off offset:4
	s_cbranch_execz .LBB177_15
	s_branch .LBB177_16
.LBB177_14:                             ;   in Loop: Header=BB177_4 Depth=1
                                        ; implicit-def: $vgpr5
.LBB177_15:                             ;   in Loop: Header=BB177_4 Depth=1
	global_load_dword v4, v[6:7], off offset:4
	s_waitcnt vmcnt(0)
	v_xor_b32_e32 v5, 0x80000000, v4
.LBB177_16:                             ;   in Loop: Header=BB177_4 Depth=1
	global_load_dword v4, v[6:7], off
	v_add_co_u32_e64 v6, s[2:3], s41, v2
	s_and_b64 vcc, exec, s[0:1]
	v_addc_co_u32_e64 v7, s[2:3], v3, v10, s[2:3]
	s_waitcnt vmcnt(0)
	ds_write_b64 v1, v[4:5] offset:1024
	s_cbranch_vccnz .LBB177_18
; %bb.17:                               ;   in Loop: Header=BB177_4 Depth=1
	global_load_dword v5, v[6:7], off offset:4
	s_cbranch_execnz .LBB177_3
	s_branch .LBB177_19
.LBB177_18:                             ;   in Loop: Header=BB177_4 Depth=1
                                        ; implicit-def: $vgpr5
.LBB177_19:                             ;   in Loop: Header=BB177_4 Depth=1
	global_load_dword v4, v[6:7], off offset:4
	s_waitcnt vmcnt(0)
	v_xor_b32_e32 v5, 0x80000000, v4
	s_branch .LBB177_3
.LBB177_20:
	s_and_b32 s30, s33, 3
	s_cmp_eq_u32 s30, 0
	s_cbranch_scc1 .LBB177_27
; %bb.21:
	s_lshl_b64 s[2:3], s[20:21], 3
	s_mul_i32 s20, s29, s40
	s_mul_hi_u32 s21, s28, s40
	s_add_i32 s21, s21, s20
	s_mul_i32 s20, s28, s40
	s_lshl_b64 s[20:21], s[20:21], 3
	s_add_u32 s20, s2, s20
	s_addc_u32 s21, s3, s21
	s_lshl_b64 s[2:3], s[10:11], 3
	s_add_u32 s2, s20, s2
	s_addc_u32 s3, s21, s3
	s_add_u32 s2, s8, s2
	v_lshlrev_b32_e32 v2, 3, v0
	s_addc_u32 s3, s9, s3
	v_lshl_or_b32 v1, s40, 9, v2
	v_mov_b32_e32 v3, s3
	v_add_co_u32_e32 v2, vcc, s2, v2
	v_addc_co_u32_e32 v3, vcc, 0, v3, vcc
	v_add_co_u32_e32 v2, vcc, 4, v2
	s_lshl_b64 s[2:3], s[28:29], 3
	v_addc_co_u32_e32 v3, vcc, 0, v3, vcc
	v_mov_b32_e32 v6, s3
	s_branch .LBB177_23
.LBB177_22:                             ;   in Loop: Header=BB177_23 Depth=1
	global_load_dword v4, v[2:3], off offset:-4
	s_add_i32 s30, s30, -1
	v_add_co_u32_e32 v2, vcc, s2, v2
	s_cmp_lg_u32 s30, 0
	v_addc_co_u32_e32 v3, vcc, v3, v6, vcc
	s_waitcnt vmcnt(0)
	ds_write_b64 v1, v[4:5]
	v_add_u32_e32 v1, 0x200, v1
	s_cbranch_scc0 .LBB177_27
.LBB177_23:                             ; =>This Inner Loop Header: Depth=1
	s_and_b64 vcc, exec, s[0:1]
	s_cbranch_vccnz .LBB177_25
; %bb.24:                               ;   in Loop: Header=BB177_23 Depth=1
	global_load_dword v5, v[2:3], off
	s_cbranch_execnz .LBB177_22
	s_branch .LBB177_26
.LBB177_25:                             ;   in Loop: Header=BB177_23 Depth=1
                                        ; implicit-def: $vgpr5
.LBB177_26:                             ;   in Loop: Header=BB177_23 Depth=1
	global_load_dword v4, v[2:3], off
	s_waitcnt vmcnt(0)
	v_xor_b32_e32 v5, 0x80000000, v4
	s_branch .LBB177_22
.LBB177_27:
	s_cmpk_eq_i32 s14, 0x84
	s_cbranch_scc0 .LBB177_29
; %bb.28:
	v_mul_u32_u24_e32 v1, 0x41, v0
	v_lshlrev_b32_e32 v1, 3, v1
	v_mov_b32_e32 v2, 1.0
	v_mov_b32_e32 v3, 0
	ds_write_b64 v1, v[2:3]
.LBB177_29:
	s_or_b64 exec, exec, s[24:25]
	s_load_dwordx2 s[0:1], s[4:5], 0x58
	s_load_dword s14, s[4:5], 0x50
	s_waitcnt lgkmcnt(0)
	s_mul_i32 s1, s7, s1
	s_mul_hi_u32 s2, s7, s0
	s_mul_i32 s0, s7, s0
	s_add_i32 s1, s2, s1
	s_lshl_b64 s[24:25], s[0:1], 3
	s_add_u32 s0, s22, s24
	s_addc_u32 s1, s23, s25
	s_lshl_b64 s[20:21], s[26:27], 3
	s_add_u32 s0, s0, s20
	s_addc_u32 s1, s1, s21
	s_lshl_b32 s2, s6, 6
	s_add_i32 s19, s19, -1
	s_sub_i32 s2, s15, s2
	s_cmp_ge_u32 s6, s19
	s_cselect_b32 s2, s2, 64
	s_ashr_i32 s7, s6, 31
	s_lshl_b64 s[26:27], s[6:7], 9
	s_add_u32 s48, s0, s26
	s_addc_u32 s49, s1, s27
	s_cmp_gt_i32 s16, 0
	v_cmp_gt_i32_e32 vcc, s2, v0
	s_cselect_b64 s[2:3], -1, 0
	s_mov_b32 s0, 0
	s_and_b64 s[28:29], vcc, s[2:3]
	s_and_saveexec_b64 s[30:31], s[28:29]
	s_cbranch_execz .LBB177_41
; %bb.30:
	s_cmp_lt_u32 s16, 2
	s_cselect_b64 s[4:5], -1, 0
	s_cmp_lg_u32 s14, 1
	s_cselect_b64 s[6:7], -1, 0
	s_or_b64 s[4:5], s[4:5], s[6:7]
	s_mov_b32 s1, 1
	s_mov_b64 s[2:3], -1
	s_and_b64 vcc, exec, s[4:5]
	s_cbranch_vccnz .LBB177_38
; %bb.31:
	s_add_i32 s0, s16, -2
	v_lshlrev_b32_e32 v1, 3, v0
	s_lshr_b32 s15, s0, 1
	v_mov_b32_e32 v3, s49
	v_add_co_u32_e32 v2, vcc, s48, v1
	s_add_i32 s15, s15, 1
	s_mov_b32 s37, 0
	v_addc_co_u32_e32 v3, vcc, 0, v3, vcc
	s_mov_b32 s34, s17
	s_mov_b32 s35, s17
	;; [unrolled: 1-line block ×3, first 2 shown]
	s_cmp_lt_u32 s0, 6
	s_mov_b32 s0, s37
	s_cbranch_scc1 .LBB177_35
; %bb.32:
	s_and_b32 s51, s15, -4
	s_mov_b32 s38, 1
	s_mov_b32 s36, s37
.LBB177_33:                             ; =>This Inner Loop Header: Depth=1
	s_lshl_b64 s[0:1], s[36:37], 3
	s_mov_b32 s39, s37
	s_add_i32 s40, s38, 2
	s_add_i32 s42, s36, 2
	s_mov_b32 s43, s37
	s_mov_b32 s41, s37
	s_add_i32 s44, s38, 4
	s_add_i32 s46, s36, 4
	s_mov_b32 s47, s37
	;; [unrolled: 4-line block ×3, first 2 shown]
	s_mov_b32 s53, s37
	v_mov_b32_e32 v5, s1
	v_add_co_u32_e32 v4, vcc, s0, v2
	s_lshl_b64 s[10:11], s[38:39], 3
	s_lshl_b64 s[2:3], s[42:43], 3
	;; [unrolled: 1-line block ×7, first 2 shown]
	v_addc_co_u32_e32 v5, vcc, v3, v5, vcc
	v_mov_b32_e32 v7, s11
	v_mov_b32_e32 v9, s3
	v_add_co_u32_e32 v6, vcc, s2, v2
	v_mov_b32_e32 v11, s5
	v_add_co_u32_e64 v8, s[0:1], s4, v2
	v_mov_b32_e32 v13, s7
	v_add_co_u32_e64 v10, s[2:3], s6, v2
	;; [unrolled: 2-line block ×5, first 2 shown]
	v_add_co_u32_e64 v18, s[10:11], s10, v2
	v_addc_co_u32_e64 v19, s[10:11], v3, v7, s[10:11]
	v_addc_co_u32_e32 v7, vcc, v3, v9, vcc
	v_addc_co_u32_e64 v9, vcc, v3, v11, s[0:1]
	v_addc_co_u32_e64 v11, vcc, v3, v13, s[2:3]
	;; [unrolled: 1-line block ×5, first 2 shown]
	global_load_dwordx2 v[20:21], v[4:5], off
	global_load_dwordx2 v[22:23], v[18:19], off
	;; [unrolled: 1-line block ×8, first 2 shown]
	v_lshl_or_b32 v36, s36, 9, v1
	v_lshl_or_b32 v37, s38, 9, v1
	s_add_i32 s36, s36, 8
	s_add_i32 s51, s51, -4
	s_add_i32 s38, s38, 8
	s_cmp_lg_u32 s51, 0
	v_lshl_or_b32 v38, s42, 9, v1
	v_lshl_or_b32 v39, s40, 9, v1
	;; [unrolled: 1-line block ×6, first 2 shown]
	s_waitcnt vmcnt(7)
	v_mov_b32_e32 v4, v20
	s_waitcnt vmcnt(6)
	v_mov_b32_e32 v5, v22
	v_mov_b32_e32 v22, v21
	s_waitcnt vmcnt(4)
	v_mov_b32_e32 v7, v26
	;; [unrolled: 3-line block ×4, first 2 shown]
	v_mov_b32_e32 v34, v33
	v_pk_mul_f32 v[12:13], s[18:19], v[22:23]
	v_pk_mul_f32 v[14:15], s[34:35], v[22:23]
	v_mov_b32_e32 v6, v24
	v_mov_b32_e32 v8, v28
	;; [unrolled: 1-line block ×3, first 2 shown]
	v_pk_mul_f32 v[16:17], s[18:19], v[26:27]
	v_pk_mul_f32 v[18:19], s[34:35], v[26:27]
	;; [unrolled: 1-line block ×6, first 2 shown]
	v_pk_fma_f32 v[12:13], s[34:35], v[4:5], v[12:13] neg_lo:[0,0,1] neg_hi:[0,0,1]
	v_pk_fma_f32 v[4:5], s[18:19], v[4:5], v[14:15]
	v_pk_fma_f32 v[14:15], s[34:35], v[6:7], v[16:17] neg_lo:[0,0,1] neg_hi:[0,0,1]
	v_pk_fma_f32 v[6:7], s[18:19], v[6:7], v[18:19]
	;; [unrolled: 2-line block ×4, first 2 shown]
	v_mov_b32_e32 v20, v12
	v_mov_b32_e32 v21, v4
	;; [unrolled: 1-line block ×12, first 2 shown]
	ds_write_b64 v36, v[20:21] offset:32768
	ds_write_b64 v37, v[4:5] offset:32768
	ds_write_b64 v38, v[12:13] offset:32768
	ds_write_b64 v39, v[6:7] offset:32768
	ds_write_b64 v40, v[14:15] offset:32768
	ds_write_b64 v41, v[8:9] offset:32768
	ds_write_b64 v42, v[16:17] offset:32768
	ds_write_b64 v43, v[10:11] offset:32768
	s_cbranch_scc1 .LBB177_33
; %bb.34:
	s_mov_b32 s37, s38
	s_mov_b64 s[0:1], s[36:37]
.LBB177_35:
	s_and_b32 s4, s15, 3
	s_cmp_eq_u32 s4, 0
	s_mov_b32 s3, 0
	s_cbranch_scc1 .LBB177_37
.LBB177_36:                             ; =>This Inner Loop Header: Depth=1
	s_mov_b32 s2, s0
	s_lshl_b64 s[6:7], s[2:3], 3
	s_mov_b32 s2, s1
	v_mov_b32_e32 v5, s7
	v_add_co_u32_e32 v4, vcc, s6, v2
	s_lshl_b64 s[8:9], s[2:3], 3
	v_addc_co_u32_e32 v5, vcc, v3, v5, vcc
	v_mov_b32_e32 v7, s9
	v_add_co_u32_e32 v6, vcc, s8, v2
	v_addc_co_u32_e32 v7, vcc, v3, v7, vcc
	global_load_dwordx2 v[8:9], v[4:5], off
	global_load_dwordx2 v[10:11], v[6:7], off
	v_lshl_or_b32 v12, s0, 9, v1
	v_lshl_or_b32 v13, s1, 9, v1
	s_add_i32 s0, s0, 2
	s_add_i32 s4, s4, -1
	s_add_i32 s1, s1, 2
	s_cmp_lg_u32 s4, 0
	s_waitcnt vmcnt(1)
	v_mov_b32_e32 v4, v8
	s_waitcnt vmcnt(0)
	v_mov_b32_e32 v5, v10
	v_mov_b32_e32 v10, v9
	v_pk_mul_f32 v[6:7], s[18:19], v[10:11]
	v_pk_mul_f32 v[8:9], s[34:35], v[10:11]
	v_pk_fma_f32 v[6:7], s[34:35], v[4:5], v[6:7] neg_lo:[0,0,1] neg_hi:[0,0,1]
	v_pk_fma_f32 v[4:5], s[18:19], v[4:5], v[8:9]
	v_mov_b32_e32 v8, v6
	v_mov_b32_e32 v9, v4
	;; [unrolled: 1-line block ×3, first 2 shown]
	ds_write_b64 v12, v[8:9] offset:32768
	ds_write_b64 v13, v[4:5] offset:32768
	s_cbranch_scc1 .LBB177_36
.LBB177_37:
	s_and_b32 s0, s16, 0x7ffffffe
	s_cmp_lg_u32 s0, s16
	s_cselect_b64 s[2:3], -1, 0
.LBB177_38:
	s_and_b64 vcc, exec, s[2:3]
	s_cbranch_vccz .LBB177_41
; %bb.39:
	v_lshlrev_b32_e32 v2, 3, v0
	v_lshl_or_b32 v1, s0, 9, v2
	s_sub_i32 s2, s16, s0
	s_mul_hi_i32 s1, s14, s0
	s_mul_i32 s0, s14, s0
	s_ashr_i32 s15, s14, 31
	s_lshl_b64 s[0:1], s[0:1], 3
	s_add_u32 s0, s24, s0
	s_addc_u32 s1, s25, s1
	s_add_u32 s0, s0, s26
	s_addc_u32 s1, s1, s27
	s_add_u32 s0, s0, s20
	s_addc_u32 s1, s1, s21
	s_add_u32 s0, s22, s0
	s_addc_u32 s1, s23, s1
	v_mov_b32_e32 v3, s1
	v_add_co_u32_e32 v2, vcc, s0, v2
	v_addc_co_u32_e32 v3, vcc, 0, v3, vcc
	v_add_co_u32_e32 v2, vcc, 4, v2
	s_lshl_b64 s[0:1], s[14:15], 3
	v_add_u32_e32 v1, 0x8000, v1
	v_addc_co_u32_e32 v3, vcc, 0, v3, vcc
	v_mov_b32_e32 v4, s1
.LBB177_40:                             ; =>This Inner Loop Header: Depth=1
	global_load_dwordx2 v[6:7], v[2:3], off offset:-4
	s_add_i32 s2, s2, -1
	v_add_co_u32_e32 v2, vcc, s0, v2
	v_addc_co_u32_e32 v3, vcc, v3, v4, vcc
	s_cmp_lg_u32 s2, 0
	s_waitcnt vmcnt(0)
	v_mul_f32_e32 v5, s18, v7
	v_mul_f32_e32 v9, s17, v7
	v_fma_f32 v8, s17, v6, -v5
	v_fmac_f32_e32 v9, s18, v6
	ds_write_b64 v1, v[8:9]
	v_add_u32_e32 v1, 0x200, v1
	s_cbranch_scc1 .LBB177_40
.LBB177_41:
	s_or_b64 exec, exec, s[30:31]
	s_cmpk_eq_i32 s13, 0x6f
	s_cselect_b64 s[0:1], -1, 0
	s_cmpk_eq_i32 s12, 0x79
	s_cselect_b64 s[4:5], -1, 0
	s_cmpk_lg_i32 s12, 0x79
	s_cselect_b64 s[2:3], -1, 0
	s_and_b64 s[4:5], s[4:5], s[0:1]
	s_andn2_b64 vcc, exec, s[4:5]
	s_mov_b64 s[4:5], -1
	s_waitcnt lgkmcnt(0)
	; wave barrier
	s_waitcnt lgkmcnt(0)
	s_cbranch_vccz .LBB177_149
; %bb.42:
	s_cmpk_lg_i32 s12, 0x7a
	s_cselect_b64 s[6:7], -1, 0
	s_xor_b64 s[0:1], s[0:1], -1
	s_or_b64 s[6:7], s[6:7], s[0:1]
	s_cmp_gt_i32 s16, 3
	s_cselect_b64 s[0:1], -1, 0
	s_and_b64 vcc, exec, s[6:7]
	s_cbranch_vccz .LBB177_116
; %bb.43:
	s_andn2_b64 vcc, exec, s[2:3]
	s_mov_b64 s[2:3], -1
	s_cbranch_vccnz .LBB177_83
; %bb.44:
	s_andn2_b64 vcc, exec, s[0:1]
	s_mov_b32 s6, 0
	s_cbranch_vccnz .LBB177_67
; %bb.45:
	v_mov_b32_e32 v1, 0x8000
	v_lshl_or_b32 v1, v0, 3, v1
	s_mov_b32 s4, 0
	s_mov_b32 s5, 0
.LBB177_46:                             ; =>This Loop Header: Depth=1
                                        ;     Child Loop BB177_48 Depth 2
	s_lshl_b32 s6, s5, 6
	v_or_b32_e32 v2, s6, v0
	s_or_b32 s7, s6, 64
	v_lshlrev_b32_e32 v4, 3, v2
	v_or_b32_e32 v2, s7, v0
	s_bitset1_b32 s6, 7
	s_lshl_b32 s2, s5, 9
	v_lshlrev_b32_e32 v5, 3, v2
	v_or_b32_e32 v2, s6, v0
	v_lshlrev_b32_e32 v12, 3, v2
	v_lshl_or_b32 v13, v0, 3, s2
	ds_read_b64 v[2:3], v4 offset:32768
	ds_read_b64 v[10:11], v5 offset:32768
	;; [unrolled: 1-line block ×4, first 2 shown]
	s_cmp_eq_u32 s5, 0
	s_cbranch_scc1 .LBB177_49
; %bb.47:                               ;   in Loop: Header=BB177_46 Depth=1
	s_mov_b32 s2, 0
	v_mov_b32_e32 v14, v1
	s_mov_b32 s3, s4
.LBB177_48:                             ;   Parent Loop BB177_46 Depth=1
                                        ; =>  This Inner Loop Header: Depth=2
	ds_read2st64_b64 v[16:19], v14 offset1:1
	v_mov_b32_e32 v15, s3
	ds_read_b128 v[20:23], v15
	ds_read_b128 v[24:27], v15 offset:16
	ds_read_b128 v[28:31], v15 offset:512
	;; [unrolled: 1-line block ×3, first 2 shown]
	s_add_i32 s2, s2, 2
	s_addk_i32 s3, 0x400
	s_waitcnt lgkmcnt(3)
	v_mul_f32_e32 v15, v21, v17
	v_mul_f32_e32 v36, v20, v17
	v_mul_f32_e32 v37, v23, v17
	v_mul_f32_e32 v23, v23, v16
	s_waitcnt lgkmcnt(2)
	v_mul_f32_e32 v38, v25, v17
	v_mul_f32_e32 v25, v25, v16
	v_mul_f32_e32 v39, v27, v17
	v_mul_f32_e32 v27, v27, v16
	;; [unrolled: 5-line block ×4, first 2 shown]
	v_fma_f32 v15, v20, v16, -v15
	v_fmac_f32_e32 v36, v21, v16
	v_fma_f32 v20, v22, v16, -v37
	v_fmac_f32_e32 v23, v22, v17
	;; [unrolled: 2-line block ×8, first 2 shown]
	v_sub_f32_e32 v2, v2, v15
	v_sub_f32_e32 v3, v3, v36
	;; [unrolled: 1-line block ×8, first 2 shown]
	v_add_u32_e32 v14, 0x400, v14
	s_cmp_ge_u32 s2, s5
	v_sub_f32_e32 v2, v2, v17
	v_sub_f32_e32 v3, v3, v41
	;; [unrolled: 1-line block ×8, first 2 shown]
	s_cbranch_scc0 .LBB177_48
.LBB177_49:                             ;   in Loop: Header=BB177_46 Depth=1
	s_mul_i32 s8, s5, 0x208
	v_add_u32_e32 v17, 0x8000, v4
	v_mov_b32_e32 v4, s8
	v_add_u32_e32 v16, 0x8000, v5
	ds_read_b64 v[4:5], v4
	v_add_u32_e32 v15, 0x8000, v12
	v_add_u32_e32 v14, 0x8600, v13
	s_waitcnt lgkmcnt(0)
	v_cmp_gt_f32_e32 vcc, 0, v5
	v_cndmask_b32_e64 v12, v5, -v5, vcc
	v_cmp_gt_f32_e32 vcc, 0, v4
	v_cndmask_b32_e64 v13, v4, -v4, vcc
	v_cmp_ngt_f32_e32 vcc, v13, v12
	s_cbranch_vccz .LBB177_51
; %bb.50:                               ;   in Loop: Header=BB177_46 Depth=1
	v_div_scale_f32 v12, s[2:3], v5, v5, v4
	v_rcp_f32_e32 v13, v12
	v_div_scale_f32 v18, vcc, v4, v5, v4
	v_fma_f32 v19, -v12, v13, 1.0
	v_fmac_f32_e32 v13, v19, v13
	v_mul_f32_e32 v19, v18, v13
	v_fma_f32 v20, -v12, v19, v18
	v_fmac_f32_e32 v19, v20, v13
	v_fma_f32 v12, -v12, v19, v18
	v_div_fmas_f32 v12, v12, v13, v19
	v_div_fixup_f32 v13, v12, v5, v4
	v_fma_f32 v12, v4, v13, v5
	v_div_scale_f32 v18, s[2:3], v12, v12, 1.0
	v_rcp_f32_e32 v19, v18
	v_fma_f32 v20, -v18, v19, 1.0
	v_fmac_f32_e32 v19, v20, v19
	v_div_scale_f32 v20, vcc, 1.0, v12, 1.0
	v_mul_f32_e32 v21, v20, v19
	v_fma_f32 v22, -v18, v21, v20
	v_fmac_f32_e32 v21, v22, v19
	v_fma_f32 v18, -v18, v21, v20
	v_div_fmas_f32 v18, v18, v19, v21
	v_div_fixup_f32 v18, v18, v12, 1.0
	v_fma_f32 v12, v2, v13, v3
	v_fma_f32 v13, v3, v13, -v2
	v_mul_f32_e32 v12, v12, v18
	v_mul_f32_e32 v13, v13, v18
	s_cbranch_execz .LBB177_52
	s_branch .LBB177_53
.LBB177_51:                             ;   in Loop: Header=BB177_46 Depth=1
                                        ; implicit-def: $vgpr13
.LBB177_52:                             ;   in Loop: Header=BB177_46 Depth=1
	v_div_scale_f32 v12, s[2:3], v4, v4, v5
	v_rcp_f32_e32 v13, v12
	v_div_scale_f32 v18, vcc, v5, v4, v5
	v_fma_f32 v19, -v12, v13, 1.0
	v_fmac_f32_e32 v13, v19, v13
	v_mul_f32_e32 v19, v18, v13
	v_fma_f32 v20, -v12, v19, v18
	v_fmac_f32_e32 v19, v20, v13
	v_fma_f32 v12, -v12, v19, v18
	v_div_fmas_f32 v12, v12, v13, v19
	v_div_fixup_f32 v13, v12, v4, v5
	v_fmac_f32_e32 v4, v5, v13
	v_div_scale_f32 v5, s[2:3], v4, v4, 1.0
	v_rcp_f32_e32 v12, v5
	v_fma_f32 v18, -v5, v12, 1.0
	v_fmac_f32_e32 v12, v18, v12
	v_div_scale_f32 v18, vcc, 1.0, v4, 1.0
	v_mul_f32_e32 v19, v18, v12
	v_fma_f32 v20, -v5, v19, v18
	v_fmac_f32_e32 v19, v20, v12
	v_fma_f32 v5, -v5, v19, v18
	v_div_fmas_f32 v5, v5, v12, v19
	v_div_fixup_f32 v4, v5, v4, 1.0
	v_fma_f32 v5, v3, v13, v2
	v_fma_f32 v2, -v2, v13, v3
	v_mul_f32_e32 v12, v5, v4
	v_mul_f32_e32 v13, v2, v4
.LBB177_53:                             ;   in Loop: Header=BB177_46 Depth=1
	v_mov_b32_e32 v2, s8
	ds_read2_b64 v[2:5], v2 offset0:1 offset1:65
	ds_write_b64 v17, v[12:13]
	s_waitcnt lgkmcnt(1)
	v_mul_f32_e32 v17, v13, v3
	v_mul_f32_e32 v3, v12, v3
	v_fma_f32 v17, v12, v2, -v17
	v_cmp_gt_f32_e32 vcc, 0, v5
	v_fmac_f32_e32 v3, v13, v2
	v_sub_f32_e32 v2, v10, v17
	v_cndmask_b32_e64 v10, v5, -v5, vcc
	v_cmp_gt_f32_e32 vcc, 0, v4
	v_sub_f32_e32 v3, v11, v3
	v_cndmask_b32_e64 v11, v4, -v4, vcc
	v_cmp_ngt_f32_e32 vcc, v11, v10
	s_cbranch_vccz .LBB177_55
; %bb.54:                               ;   in Loop: Header=BB177_46 Depth=1
	v_div_scale_f32 v10, s[2:3], v5, v5, v4
	v_rcp_f32_e32 v11, v10
	v_div_scale_f32 v17, vcc, v4, v5, v4
	v_fma_f32 v18, -v10, v11, 1.0
	v_fmac_f32_e32 v11, v18, v11
	v_mul_f32_e32 v18, v17, v11
	v_fma_f32 v19, -v10, v18, v17
	v_fmac_f32_e32 v18, v19, v11
	v_fma_f32 v10, -v10, v18, v17
	v_div_fmas_f32 v10, v10, v11, v18
	v_div_fixup_f32 v11, v10, v5, v4
	v_fma_f32 v10, v4, v11, v5
	v_div_scale_f32 v17, s[2:3], v10, v10, 1.0
	v_rcp_f32_e32 v18, v17
	v_fma_f32 v19, -v17, v18, 1.0
	v_fmac_f32_e32 v18, v19, v18
	v_div_scale_f32 v19, vcc, 1.0, v10, 1.0
	v_mul_f32_e32 v20, v19, v18
	v_fma_f32 v21, -v17, v20, v19
	v_fmac_f32_e32 v20, v21, v18
	v_fma_f32 v17, -v17, v20, v19
	v_div_fmas_f32 v17, v17, v18, v20
	v_div_fixup_f32 v17, v17, v10, 1.0
	v_fma_f32 v10, v11, v2, v3
	v_fma_f32 v11, v11, v3, -v2
	v_mul_f32_e32 v10, v10, v17
	v_mul_f32_e32 v11, v11, v17
	s_cbranch_execz .LBB177_56
	s_branch .LBB177_57
.LBB177_55:                             ;   in Loop: Header=BB177_46 Depth=1
                                        ; implicit-def: $vgpr11
.LBB177_56:                             ;   in Loop: Header=BB177_46 Depth=1
	v_div_scale_f32 v10, s[2:3], v4, v4, v5
	v_rcp_f32_e32 v11, v10
	v_div_scale_f32 v17, vcc, v5, v4, v5
	v_fma_f32 v18, -v10, v11, 1.0
	v_fmac_f32_e32 v11, v18, v11
	v_mul_f32_e32 v18, v17, v11
	v_fma_f32 v19, -v10, v18, v17
	v_fmac_f32_e32 v18, v19, v11
	v_fma_f32 v10, -v10, v18, v17
	v_div_fmas_f32 v10, v10, v11, v18
	v_div_fixup_f32 v11, v10, v4, v5
	v_fmac_f32_e32 v4, v5, v11
	v_div_scale_f32 v5, s[2:3], v4, v4, 1.0
	v_rcp_f32_e32 v10, v5
	v_fma_f32 v17, -v5, v10, 1.0
	v_fmac_f32_e32 v10, v17, v10
	v_div_scale_f32 v17, vcc, 1.0, v4, 1.0
	v_mul_f32_e32 v18, v17, v10
	v_fma_f32 v19, -v5, v18, v17
	v_fmac_f32_e32 v18, v19, v10
	v_fma_f32 v5, -v5, v18, v17
	v_div_fmas_f32 v5, v5, v10, v18
	v_div_fixup_f32 v4, v5, v4, 1.0
	v_fma_f32 v5, v11, v3, v2
	v_fma_f32 v2, -v11, v2, v3
	v_mul_f32_e32 v10, v5, v4
	v_mul_f32_e32 v11, v2, v4
.LBB177_57:                             ;   in Loop: Header=BB177_46 Depth=1
	v_mov_b32_e32 v2, s8
	ds_read2_b64 v[2:5], v2 offset0:2 offset1:130
	s_add_i32 s7, s7, s5
	s_lshl_b32 s7, s7, 3
	ds_write_b64 v16, v[10:11]
	v_mov_b32_e32 v16, s7
	s_waitcnt lgkmcnt(1)
	v_mul_f32_e32 v17, v13, v3
	v_fma_f32 v18, v12, v2, -v17
	ds_read_b64 v[16:17], v16 offset:16
	v_mul_f32_e32 v3, v12, v3
	v_fmac_f32_e32 v3, v13, v2
	v_sub_f32_e32 v2, v8, v18
	v_sub_f32_e32 v3, v9, v3
	s_waitcnt lgkmcnt(0)
	v_mul_f32_e32 v8, v11, v17
	v_fma_f32 v8, v10, v16, -v8
	v_mul_f32_e32 v9, v10, v17
	v_cmp_gt_f32_e32 vcc, 0, v5
	v_fmac_f32_e32 v9, v11, v16
	v_sub_f32_e32 v2, v2, v8
	v_cndmask_b32_e64 v8, v5, -v5, vcc
	v_cmp_gt_f32_e32 vcc, 0, v4
	v_sub_f32_e32 v3, v3, v9
	v_cndmask_b32_e64 v9, v4, -v4, vcc
	v_cmp_ngt_f32_e32 vcc, v9, v8
	s_cbranch_vccz .LBB177_59
; %bb.58:                               ;   in Loop: Header=BB177_46 Depth=1
	v_div_scale_f32 v8, s[2:3], v5, v5, v4
	v_rcp_f32_e32 v9, v8
	v_div_scale_f32 v16, vcc, v4, v5, v4
	v_fma_f32 v17, -v8, v9, 1.0
	v_fmac_f32_e32 v9, v17, v9
	v_mul_f32_e32 v17, v16, v9
	v_fma_f32 v18, -v8, v17, v16
	v_fmac_f32_e32 v17, v18, v9
	v_fma_f32 v8, -v8, v17, v16
	v_div_fmas_f32 v8, v8, v9, v17
	v_div_fixup_f32 v9, v8, v5, v4
	v_fma_f32 v8, v4, v9, v5
	v_div_scale_f32 v16, s[2:3], v8, v8, 1.0
	v_rcp_f32_e32 v17, v16
	v_fma_f32 v18, -v16, v17, 1.0
	v_fmac_f32_e32 v17, v18, v17
	v_div_scale_f32 v18, vcc, 1.0, v8, 1.0
	v_mul_f32_e32 v19, v18, v17
	v_fma_f32 v20, -v16, v19, v18
	v_fmac_f32_e32 v19, v20, v17
	v_fma_f32 v16, -v16, v19, v18
	v_div_fmas_f32 v16, v16, v17, v19
	v_div_fixup_f32 v16, v16, v8, 1.0
	v_fma_f32 v8, v9, v2, v3
	v_fma_f32 v9, v9, v3, -v2
	v_mul_f32_e32 v8, v8, v16
	v_mul_f32_e32 v9, v9, v16
	s_cbranch_execz .LBB177_60
	s_branch .LBB177_61
.LBB177_59:                             ;   in Loop: Header=BB177_46 Depth=1
                                        ; implicit-def: $vgpr9
.LBB177_60:                             ;   in Loop: Header=BB177_46 Depth=1
	v_div_scale_f32 v8, s[2:3], v4, v4, v5
	v_rcp_f32_e32 v9, v8
	v_div_scale_f32 v16, vcc, v5, v4, v5
	v_fma_f32 v17, -v8, v9, 1.0
	v_fmac_f32_e32 v9, v17, v9
	v_mul_f32_e32 v17, v16, v9
	v_fma_f32 v18, -v8, v17, v16
	v_fmac_f32_e32 v17, v18, v9
	v_fma_f32 v8, -v8, v17, v16
	v_div_fmas_f32 v8, v8, v9, v17
	v_div_fixup_f32 v9, v8, v4, v5
	v_fmac_f32_e32 v4, v5, v9
	v_div_scale_f32 v5, s[2:3], v4, v4, 1.0
	v_rcp_f32_e32 v8, v5
	v_fma_f32 v16, -v5, v8, 1.0
	v_fmac_f32_e32 v8, v16, v8
	v_div_scale_f32 v16, vcc, 1.0, v4, 1.0
	v_mul_f32_e32 v17, v16, v8
	v_fma_f32 v18, -v5, v17, v16
	v_fmac_f32_e32 v17, v18, v8
	v_fma_f32 v5, -v5, v17, v16
	v_div_fmas_f32 v5, v5, v8, v17
	v_div_fixup_f32 v4, v5, v4, 1.0
	v_fma_f32 v5, v9, v3, v2
	v_fma_f32 v2, -v9, v2, v3
	v_mul_f32_e32 v8, v5, v4
	v_mul_f32_e32 v9, v2, v4
.LBB177_61:                             ;   in Loop: Header=BB177_46 Depth=1
	v_mov_b32_e32 v2, s8
	ds_read2_b64 v[2:5], v2 offset0:3 offset1:195
	ds_write_b64 v15, v[8:9]
	s_add_i32 s6, s6, s5
	s_lshl_b32 s2, s6, 3
	s_waitcnt lgkmcnt(1)
	v_mul_f32_e32 v15, v13, v3
	v_mul_f32_e32 v3, v12, v3
	v_fma_f32 v12, v12, v2, -v15
	v_fmac_f32_e32 v3, v13, v2
	v_mov_b32_e32 v2, s7
	v_sub_f32_e32 v12, v6, v12
	v_sub_f32_e32 v13, v7, v3
	ds_read_b64 v[2:3], v2 offset:24
	v_mov_b32_e32 v6, s2
	ds_read_b64 v[6:7], v6 offset:24
	v_cmp_gt_f32_e32 vcc, 0, v5
	s_waitcnt lgkmcnt(1)
	v_mul_f32_e32 v15, v11, v3
	v_fma_f32 v15, v10, v2, -v15
	v_mul_f32_e32 v3, v10, v3
	s_waitcnt lgkmcnt(0)
	v_mul_f32_e32 v10, v9, v7
	v_fmac_f32_e32 v3, v11, v2
	v_sub_f32_e32 v2, v12, v15
	v_fma_f32 v10, v8, v6, -v10
	v_mul_f32_e32 v7, v8, v7
	v_sub_f32_e32 v3, v13, v3
	v_fmac_f32_e32 v7, v9, v6
	v_sub_f32_e32 v6, v2, v10
	v_cndmask_b32_e64 v2, v5, -v5, vcc
	v_cmp_gt_f32_e32 vcc, 0, v4
	v_sub_f32_e32 v7, v3, v7
	v_cndmask_b32_e64 v3, v4, -v4, vcc
	v_cmp_ngt_f32_e32 vcc, v3, v2
	s_cbranch_vccz .LBB177_63
; %bb.62:                               ;   in Loop: Header=BB177_46 Depth=1
	v_div_scale_f32 v2, s[2:3], v5, v5, v4
	v_rcp_f32_e32 v3, v2
	v_div_scale_f32 v8, vcc, v4, v5, v4
	v_fma_f32 v9, -v2, v3, 1.0
	v_fmac_f32_e32 v3, v9, v3
	v_mul_f32_e32 v9, v8, v3
	v_fma_f32 v10, -v2, v9, v8
	v_fmac_f32_e32 v9, v10, v3
	v_fma_f32 v2, -v2, v9, v8
	v_div_fmas_f32 v2, v2, v3, v9
	v_div_fixup_f32 v3, v2, v5, v4
	v_fma_f32 v2, v4, v3, v5
	v_div_scale_f32 v8, s[2:3], v2, v2, 1.0
	v_rcp_f32_e32 v9, v8
	v_fma_f32 v10, -v8, v9, 1.0
	v_fmac_f32_e32 v9, v10, v9
	v_div_scale_f32 v10, vcc, 1.0, v2, 1.0
	v_mul_f32_e32 v11, v10, v9
	v_fma_f32 v12, -v8, v11, v10
	v_fmac_f32_e32 v11, v12, v9
	v_fma_f32 v8, -v8, v11, v10
	v_div_fmas_f32 v8, v8, v9, v11
	v_div_fixup_f32 v8, v8, v2, 1.0
	v_fma_f32 v2, v3, v6, v7
	v_fma_f32 v3, v3, v7, -v6
	v_mul_f32_e32 v2, v2, v8
	v_mul_f32_e32 v3, v3, v8
	s_cbranch_execz .LBB177_64
	s_branch .LBB177_65
.LBB177_63:                             ;   in Loop: Header=BB177_46 Depth=1
                                        ; implicit-def: $vgpr3
.LBB177_64:                             ;   in Loop: Header=BB177_46 Depth=1
	v_div_scale_f32 v2, s[2:3], v4, v4, v5
	v_rcp_f32_e32 v3, v2
	v_div_scale_f32 v8, vcc, v5, v4, v5
	v_fma_f32 v9, -v2, v3, 1.0
	v_fmac_f32_e32 v3, v9, v3
	v_mul_f32_e32 v9, v8, v3
	v_fma_f32 v10, -v2, v9, v8
	v_fmac_f32_e32 v9, v10, v3
	v_fma_f32 v2, -v2, v9, v8
	v_div_fmas_f32 v2, v2, v3, v9
	v_div_fixup_f32 v3, v2, v4, v5
	v_fmac_f32_e32 v4, v5, v3
	v_div_scale_f32 v2, s[2:3], v4, v4, 1.0
	v_rcp_f32_e32 v5, v2
	v_fma_f32 v8, -v2, v5, 1.0
	v_fmac_f32_e32 v5, v8, v5
	v_div_scale_f32 v8, vcc, 1.0, v4, 1.0
	v_mul_f32_e32 v9, v8, v5
	v_fma_f32 v10, -v2, v9, v8
	v_fmac_f32_e32 v9, v10, v5
	v_fma_f32 v2, -v2, v9, v8
	v_div_fmas_f32 v2, v2, v5, v9
	v_div_fixup_f32 v4, v2, v4, 1.0
	v_fma_f32 v2, v3, v7, v6
	v_fma_f32 v3, -v3, v6, v7
	v_mul_f32_e32 v2, v2, v4
	v_mul_f32_e32 v3, v3, v4
.LBB177_65:                             ;   in Loop: Header=BB177_46 Depth=1
	s_add_i32 s6, s5, 4
	s_add_i32 s2, s5, 7
	s_add_i32 s4, s4, 32
	s_cmp_ge_i32 s2, s33
	ds_write_b64 v14, v[2:3]
	s_cbranch_scc1 .LBB177_67
; %bb.66:                               ;   in Loop: Header=BB177_46 Depth=1
	s_mov_b32 s5, s6
	s_branch .LBB177_46
.LBB177_67:
	s_cmp_ge_i32 s6, s33
	s_cbranch_scc1 .LBB177_82
; %bb.68:
	v_mov_b32_e32 v1, 0x8000
	s_add_i32 s4, s6, -1
	v_lshl_or_b32 v1, v0, 3, v1
	s_lshl_b32 s5, s6, 3
	s_mov_b32 s7, 0
	v_lshlrev_b32_e32 v8, 3, v0
	s_mov_b32 s8, s6
	s_branch .LBB177_70
.LBB177_69:                             ;   in Loop: Header=BB177_70 Depth=1
	s_add_i32 s6, s6, 1
	s_add_i32 s7, s7, 1
	;; [unrolled: 1-line block ×3, first 2 shown]
	v_add_u16_e64 v2, s8, 1
	s_cmp_ge_i32 s6, s33
	v_readfirstlane_b32 s8, v2
	ds_write_b64 v9, v[6:7]
	s_cbranch_scc1 .LBB177_82
.LBB177_70:                             ; =>This Loop Header: Depth=1
                                        ;     Child Loop BB177_73 Depth 2
                                        ;     Child Loop BB177_77 Depth 2
	v_lshl_or_b32 v4, s6, 9, v8
	ds_read_b64 v[2:3], v4 offset:32768
	s_cmp_eq_u32 s6, 0
	s_cbranch_scc1 .LBB177_78
; %bb.71:                               ;   in Loop: Header=BB177_70 Depth=1
	s_add_i32 s2, s4, s7
	s_cmp_lt_u32 s2, 7
	s_cbranch_scc1 .LBB177_75
; %bb.72:                               ;   in Loop: Header=BB177_70 Depth=1
	s_and_b32 s2, s6, -8
	s_mov_b32 s3, 0
	s_mov_b32 s9, s5
	v_mov_b32_e32 v5, v1
.LBB177_73:                             ;   Parent Loop BB177_70 Depth=1
                                        ; =>  This Inner Loop Header: Depth=2
	v_mov_b32_e32 v6, s9
	ds_read2st64_b64 v[10:13], v5 offset1:1
	ds_read2st64_b64 v[14:17], v5 offset0:2 offset1:3
	ds_read2st64_b64 v[18:21], v5 offset0:4 offset1:5
	;; [unrolled: 1-line block ×3, first 2 shown]
	ds_read2st64_b64 v[26:29], v6 offset1:1
	ds_read2st64_b64 v[30:33], v6 offset0:2 offset1:3
	ds_read2st64_b64 v[34:37], v6 offset0:4 offset1:5
	;; [unrolled: 1-line block ×3, first 2 shown]
	s_add_i32 s3, s3, 8
	s_waitcnt lgkmcnt(3)
	v_pk_mul_f32 v[6:7], v[26:27], v[10:11] op_sel:[0,1]
	v_pk_mul_f32 v[42:43], v[28:29], v[12:13] op_sel:[0,1]
	v_pk_fma_f32 v[56:57], v[26:27], v[10:11], v[6:7] op_sel:[0,0,1] op_sel_hi:[1,0,0]
	v_pk_fma_f32 v[6:7], v[26:27], v[10:11], v[6:7] op_sel:[0,0,1] op_sel_hi:[1,0,0] neg_lo:[0,0,1] neg_hi:[0,0,1]
	s_waitcnt lgkmcnt(2)
	v_pk_mul_f32 v[44:45], v[30:31], v[14:15] op_sel:[0,1]
	v_pk_fma_f32 v[10:11], v[28:29], v[12:13], v[42:43] op_sel:[0,0,1] op_sel_hi:[1,0,0]
	v_pk_fma_f32 v[12:13], v[28:29], v[12:13], v[42:43] op_sel:[0,0,1] op_sel_hi:[1,0,0] neg_lo:[0,0,1] neg_hi:[0,0,1]
	v_mov_b32_e32 v7, v57
	v_pk_mul_f32 v[46:47], v[32:33], v[16:17] op_sel:[0,1]
	v_pk_fma_f32 v[26:27], v[30:31], v[14:15], v[44:45] op_sel:[0,0,1] op_sel_hi:[1,0,0]
	v_pk_fma_f32 v[14:15], v[30:31], v[14:15], v[44:45] op_sel:[0,0,1] op_sel_hi:[1,0,0] neg_lo:[0,0,1] neg_hi:[0,0,1]
	v_mov_b32_e32 v13, v11
	v_pk_add_f32 v[2:3], v[2:3], v[6:7] neg_lo:[0,1] neg_hi:[0,1]
	s_waitcnt lgkmcnt(1)
	v_pk_mul_f32 v[48:49], v[34:35], v[18:19] op_sel:[0,1]
	v_pk_fma_f32 v[28:29], v[32:33], v[16:17], v[46:47] op_sel:[0,0,1] op_sel_hi:[1,0,0]
	v_pk_fma_f32 v[16:17], v[32:33], v[16:17], v[46:47] op_sel:[0,0,1] op_sel_hi:[1,0,0] neg_lo:[0,0,1] neg_hi:[0,0,1]
	v_mov_b32_e32 v15, v27
	v_pk_add_f32 v[2:3], v[2:3], v[12:13] neg_lo:[0,1] neg_hi:[0,1]
	v_pk_mul_f32 v[50:51], v[36:37], v[20:21] op_sel:[0,1]
	v_pk_fma_f32 v[30:31], v[34:35], v[18:19], v[48:49] op_sel:[0,0,1] op_sel_hi:[1,0,0]
	v_pk_fma_f32 v[18:19], v[34:35], v[18:19], v[48:49] op_sel:[0,0,1] op_sel_hi:[1,0,0] neg_lo:[0,0,1] neg_hi:[0,0,1]
	v_mov_b32_e32 v17, v29
	v_pk_add_f32 v[2:3], v[2:3], v[14:15] neg_lo:[0,1] neg_hi:[0,1]
	s_waitcnt lgkmcnt(0)
	v_pk_mul_f32 v[52:53], v[38:39], v[22:23] op_sel:[0,1]
	v_pk_fma_f32 v[32:33], v[36:37], v[20:21], v[50:51] op_sel:[0,0,1] op_sel_hi:[1,0,0]
	v_pk_fma_f32 v[20:21], v[36:37], v[20:21], v[50:51] op_sel:[0,0,1] op_sel_hi:[1,0,0] neg_lo:[0,0,1] neg_hi:[0,0,1]
	v_mov_b32_e32 v19, v31
	v_pk_add_f32 v[2:3], v[2:3], v[16:17] neg_lo:[0,1] neg_hi:[0,1]
	v_pk_mul_f32 v[54:55], v[40:41], v[24:25] op_sel:[0,1]
	v_pk_fma_f32 v[34:35], v[38:39], v[22:23], v[52:53] op_sel:[0,0,1] op_sel_hi:[1,0,0]
	v_pk_fma_f32 v[22:23], v[38:39], v[22:23], v[52:53] op_sel:[0,0,1] op_sel_hi:[1,0,0] neg_lo:[0,0,1] neg_hi:[0,0,1]
	v_mov_b32_e32 v21, v33
	v_pk_add_f32 v[2:3], v[2:3], v[18:19] neg_lo:[0,1] neg_hi:[0,1]
	v_pk_fma_f32 v[36:37], v[40:41], v[24:25], v[54:55] op_sel:[0,0,1] op_sel_hi:[1,0,0]
	v_pk_fma_f32 v[24:25], v[40:41], v[24:25], v[54:55] op_sel:[0,0,1] op_sel_hi:[1,0,0] neg_lo:[0,0,1] neg_hi:[0,0,1]
	v_mov_b32_e32 v23, v35
	v_pk_add_f32 v[2:3], v[2:3], v[20:21] neg_lo:[0,1] neg_hi:[0,1]
	s_addk_i32 s9, 0x1000
	v_mov_b32_e32 v25, v37
	v_pk_add_f32 v[2:3], v[2:3], v[22:23] neg_lo:[0,1] neg_hi:[0,1]
	v_add_u32_e32 v5, 0x1000, v5
	s_cmp_eq_u32 s2, s3
	v_pk_add_f32 v[2:3], v[2:3], v[24:25] neg_lo:[0,1] neg_hi:[0,1]
	s_cbranch_scc0 .LBB177_73
; %bb.74:                               ;   in Loop: Header=BB177_70 Depth=1
	s_and_b32 s3, s6, 7
	s_cmp_eq_u32 s3, 0
	s_cbranch_scc0 .LBB177_76
	s_branch .LBB177_78
.LBB177_75:                             ;   in Loop: Header=BB177_70 Depth=1
	s_mov_b32 s2, 0
	s_and_b32 s3, s6, 7
	s_cmp_eq_u32 s3, 0
	s_cbranch_scc1 .LBB177_78
.LBB177_76:                             ;   in Loop: Header=BB177_70 Depth=1
	s_and_b32 s3, s8, 7
	s_lshl_b32 s2, s2, 9
.LBB177_77:                             ;   Parent Loop BB177_70 Depth=1
                                        ; =>  This Inner Loop Header: Depth=2
	v_add_u32_e32 v5, s2, v1
	s_add_i32 s9, s5, s2
	ds_read_b64 v[6:7], v5
	v_mov_b32_e32 v5, s9
	ds_read_b64 v[10:11], v5
	s_addk_i32 s2, 0x200
	s_add_i32 s3, s3, -1
	s_cmp_lg_u32 s3, 0
	s_waitcnt lgkmcnt(0)
	v_pk_mul_f32 v[12:13], v[10:11], v[6:7] op_sel:[0,1]
	v_pk_fma_f32 v[14:15], v[10:11], v[6:7], v[12:13] op_sel:[0,0,1] op_sel_hi:[1,0,0]
	v_pk_fma_f32 v[6:7], v[10:11], v[6:7], v[12:13] op_sel:[0,0,1] op_sel_hi:[1,0,0] neg_lo:[0,0,1] neg_hi:[0,0,1]
	v_mov_b32_e32 v7, v15
	v_pk_add_f32 v[2:3], v[2:3], v[6:7] neg_lo:[0,1] neg_hi:[0,1]
	s_cbranch_scc1 .LBB177_77
.LBB177_78:                             ;   in Loop: Header=BB177_70 Depth=1
	s_mul_i32 s2, s6, 0x208
	v_add_u32_e32 v9, 0x8000, v4
	v_mov_b32_e32 v4, s2
	ds_read_b64 v[4:5], v4
	s_waitcnt lgkmcnt(0)
	v_cmp_gt_f32_e32 vcc, 0, v5
	v_cndmask_b32_e64 v6, v5, -v5, vcc
	v_cmp_gt_f32_e32 vcc, 0, v4
	v_cndmask_b32_e64 v7, v4, -v4, vcc
	v_cmp_ngt_f32_e32 vcc, v7, v6
	s_cbranch_vccz .LBB177_80
; %bb.79:                               ;   in Loop: Header=BB177_70 Depth=1
	v_div_scale_f32 v6, s[2:3], v5, v5, v4
	v_rcp_f32_e32 v7, v6
	v_div_scale_f32 v10, vcc, v4, v5, v4
	v_fma_f32 v11, -v6, v7, 1.0
	v_fmac_f32_e32 v7, v11, v7
	v_mul_f32_e32 v11, v10, v7
	v_fma_f32 v12, -v6, v11, v10
	v_fmac_f32_e32 v11, v12, v7
	v_fma_f32 v6, -v6, v11, v10
	v_div_fmas_f32 v6, v6, v7, v11
	v_div_fixup_f32 v6, v6, v5, v4
	v_fma_f32 v7, v4, v6, v5
	v_div_scale_f32 v10, s[2:3], v7, v7, 1.0
	v_rcp_f32_e32 v11, v10
	v_fma_f32 v12, -v10, v11, 1.0
	v_fmac_f32_e32 v11, v12, v11
	v_div_scale_f32 v12, vcc, 1.0, v7, 1.0
	v_mul_f32_e32 v13, v12, v11
	v_fma_f32 v14, -v10, v13, v12
	v_fmac_f32_e32 v13, v14, v11
	v_fma_f32 v10, -v10, v13, v12
	v_div_fmas_f32 v10, v10, v11, v13
	v_div_fixup_f32 v10, v10, v7, 1.0
	v_pk_fma_f32 v[12:13], v[2:3], v[6:7], v[2:3] op_sel:[0,0,1] op_sel_hi:[1,0,0] neg_lo:[0,0,1] neg_hi:[0,0,1]
	v_pk_fma_f32 v[6:7], v[2:3], v[6:7], v[2:3] op_sel:[0,0,1] op_sel_hi:[1,0,0]
	v_mov_b32_e32 v7, v13
	v_pk_mul_f32 v[6:7], v[6:7], v[10:11] op_sel_hi:[1,0]
	s_cbranch_execnz .LBB177_69
	s_branch .LBB177_81
.LBB177_80:                             ;   in Loop: Header=BB177_70 Depth=1
                                        ; implicit-def: $vgpr6_vgpr7
.LBB177_81:                             ;   in Loop: Header=BB177_70 Depth=1
	v_div_scale_f32 v6, s[2:3], v4, v4, v5
	v_rcp_f32_e32 v7, v6
	v_div_scale_f32 v10, vcc, v5, v4, v5
	v_fma_f32 v11, -v6, v7, 1.0
	v_fmac_f32_e32 v7, v11, v7
	v_mul_f32_e32 v11, v10, v7
	v_fma_f32 v12, -v6, v11, v10
	v_fmac_f32_e32 v11, v12, v7
	v_fma_f32 v6, -v6, v11, v10
	v_div_fmas_f32 v6, v6, v7, v11
	v_div_fixup_f32 v6, v6, v4, v5
	v_fmac_f32_e32 v4, v5, v6
	v_div_scale_f32 v5, s[2:3], v4, v4, 1.0
	v_rcp_f32_e32 v7, v5
	v_fma_f32 v10, -v5, v7, 1.0
	v_fmac_f32_e32 v7, v10, v7
	v_div_scale_f32 v10, vcc, 1.0, v4, 1.0
	v_mul_f32_e32 v11, v10, v7
	v_fma_f32 v12, -v5, v11, v10
	v_fmac_f32_e32 v11, v12, v7
	v_fma_f32 v5, -v5, v11, v10
	v_div_fmas_f32 v5, v5, v7, v11
	v_pk_mul_f32 v[6:7], v[2:3], v[6:7] op_sel_hi:[1,0]
	v_pk_add_f32 v[10:11], v[2:3], v[6:7] op_sel:[0,1] op_sel_hi:[1,0] neg_lo:[0,1] neg_hi:[0,1]
	v_pk_add_f32 v[2:3], v[2:3], v[6:7] op_sel:[0,1] op_sel_hi:[1,0]
	v_div_fixup_f32 v4, v5, v4, 1.0
	v_mov_b32_e32 v3, v11
	v_pk_mul_f32 v[6:7], v[2:3], v[4:5] op_sel_hi:[1,0]
	s_branch .LBB177_69
.LBB177_82:
	s_mov_b64 s[2:3], 0
.LBB177_83:
	s_and_b64 vcc, exec, s[2:3]
	s_cbranch_vccz .LBB177_115
; %bb.84:
	s_andn2_b64 vcc, exec, s[0:1]
	s_mov_b32 s6, s50
	s_cbranch_vccnz .LBB177_106
; %bb.85:
	v_lshlrev_b32_e32 v1, 3, v0
	v_lshl_or_b32 v2, s33, 9, v1
	s_mul_i32 s2, s33, 0x208
	v_add_u32_e32 v14, 0x7c00, v2
	s_add_i32 s4, s2, 0xfffffbe0
	s_mov_b32 s5, s50
.LBB177_86:                             ; =>This Loop Header: Depth=1
                                        ;     Child Loop BB177_87 Depth 2
	s_lshl_b32 s9, s5, 6
	s_add_i32 s11, s5, -1
	v_or_b32_e32 v2, s9, v0
	s_lshl_b32 s7, s11, 6
	s_add_i32 s10, s5, -2
	v_lshlrev_b32_e32 v6, 3, v2
	v_or_b32_e32 v2, s7, v0
	s_lshl_b32 s6, s10, 6
	v_lshlrev_b32_e32 v7, 3, v2
	v_or_b32_e32 v2, s6, v0
	s_add_i32 s8, s5, -3
	v_lshlrev_b32_e32 v12, 3, v2
	v_lshl_or_b32 v13, s8, 9, v1
	ds_read_b64 v[10:11], v6 offset:32768
	ds_read_b64 v[8:9], v7 offset:32768
	;; [unrolled: 1-line block ×4, first 2 shown]
	s_cmp_le_i32 s50, s5
	s_mov_b32 s2, s4
	v_mov_b32_e32 v15, v14
	s_mov_b32 s3, s50
	s_cbranch_scc1 .LBB177_88
.LBB177_87:                             ;   Parent Loop BB177_86 Depth=1
                                        ; =>  This Inner Loop Header: Depth=2
	ds_read2st64_b64 v[16:19], v15 offset1:1
	v_mov_b32_e32 v32, s2
	ds_read2_b64 v[20:23], v32 offset0:66 offset1:67
	ds_read2_b64 v[24:27], v32 offset0:64 offset1:65
	;; [unrolled: 1-line block ×3, first 2 shown]
	ds_read2_b64 v[32:35], v32 offset1:1
	s_add_i32 s3, s3, -2
	s_addk_i32 s2, 0xfc00
	s_waitcnt lgkmcnt(3)
	v_mul_f32_e32 v36, v23, v19
	v_mul_f32_e32 v37, v22, v19
	v_mul_f32_e32 v38, v21, v19
	v_mul_f32_e32 v21, v21, v18
	s_waitcnt lgkmcnt(2)
	v_mul_f32_e32 v39, v27, v19
	v_mul_f32_e32 v27, v27, v18
	v_mul_f32_e32 v40, v25, v19
	v_mul_f32_e32 v25, v25, v18
	;; [unrolled: 5-line block ×4, first 2 shown]
	v_fma_f32 v22, v22, v18, -v36
	v_fmac_f32_e32 v37, v23, v18
	v_fma_f32 v23, v20, v18, -v38
	v_fmac_f32_e32 v21, v20, v19
	;; [unrolled: 2-line block ×8, first 2 shown]
	v_sub_f32_e32 v10, v10, v22
	v_sub_f32_e32 v11, v11, v37
	;; [unrolled: 1-line block ×8, first 2 shown]
	v_add_u32_e32 v15, 0xfffffc00, v15
	s_cmp_le_i32 s3, s5
	v_sub_f32_e32 v10, v10, v19
	v_sub_f32_e32 v11, v11, v42
	;; [unrolled: 1-line block ×8, first 2 shown]
	s_cbranch_scc0 .LBB177_87
.LBB177_88:                             ;   in Loop: Header=BB177_86 Depth=1
	s_mul_i32 s12, s5, 0x208
	v_add_u32_e32 v18, 0x8000, v6
	v_mov_b32_e32 v6, s12
	v_add_u32_e32 v16, 0x8000, v12
	v_add_u32_e32 v15, 0x8000, v13
	ds_read_b64 v[12:13], v6
	v_add_u32_e32 v17, 0x8000, v7
	s_waitcnt lgkmcnt(0)
	v_cmp_gt_f32_e32 vcc, 0, v13
	v_cndmask_b32_e64 v6, v13, -v13, vcc
	v_cmp_gt_f32_e32 vcc, 0, v12
	v_cndmask_b32_e64 v7, v12, -v12, vcc
	v_cmp_ngt_f32_e32 vcc, v7, v6
	s_cbranch_vccz .LBB177_90
; %bb.89:                               ;   in Loop: Header=BB177_86 Depth=1
	v_div_scale_f32 v6, s[2:3], v13, v13, v12
	v_rcp_f32_e32 v7, v6
	v_div_scale_f32 v19, vcc, v12, v13, v12
	v_fma_f32 v20, -v6, v7, 1.0
	v_fmac_f32_e32 v7, v20, v7
	v_mul_f32_e32 v20, v19, v7
	v_fma_f32 v21, -v6, v20, v19
	v_fmac_f32_e32 v20, v21, v7
	v_fma_f32 v6, -v6, v20, v19
	v_div_fmas_f32 v6, v6, v7, v20
	v_div_fixup_f32 v7, v6, v13, v12
	v_fma_f32 v6, v12, v7, v13
	v_div_scale_f32 v19, s[2:3], v6, v6, 1.0
	v_rcp_f32_e32 v20, v19
	v_fma_f32 v21, -v19, v20, 1.0
	v_fmac_f32_e32 v20, v21, v20
	v_div_scale_f32 v21, vcc, 1.0, v6, 1.0
	v_mul_f32_e32 v22, v21, v20
	v_fma_f32 v23, -v19, v22, v21
	v_fmac_f32_e32 v22, v23, v20
	v_fma_f32 v19, -v19, v22, v21
	v_div_fmas_f32 v19, v19, v20, v22
	v_div_fixup_f32 v19, v19, v6, 1.0
	v_fma_f32 v6, v10, v7, v11
	v_fma_f32 v7, v11, v7, -v10
	v_mul_f32_e32 v6, v6, v19
	v_mul_f32_e32 v7, v7, v19
	s_cbranch_execz .LBB177_91
	s_branch .LBB177_92
.LBB177_90:                             ;   in Loop: Header=BB177_86 Depth=1
                                        ; implicit-def: $vgpr7
.LBB177_91:                             ;   in Loop: Header=BB177_86 Depth=1
	v_div_scale_f32 v6, s[2:3], v12, v12, v13
	v_rcp_f32_e32 v7, v6
	v_div_scale_f32 v19, vcc, v13, v12, v13
	v_fma_f32 v20, -v6, v7, 1.0
	v_fmac_f32_e32 v7, v20, v7
	v_mul_f32_e32 v20, v19, v7
	v_fma_f32 v21, -v6, v20, v19
	v_fmac_f32_e32 v20, v21, v7
	v_fma_f32 v6, -v6, v20, v19
	v_div_fmas_f32 v6, v6, v7, v20
	v_div_fixup_f32 v7, v6, v12, v13
	v_fmac_f32_e32 v12, v13, v7
	v_div_scale_f32 v6, s[2:3], v12, v12, 1.0
	v_rcp_f32_e32 v13, v6
	v_fma_f32 v19, -v6, v13, 1.0
	v_fmac_f32_e32 v13, v19, v13
	v_div_scale_f32 v19, vcc, 1.0, v12, 1.0
	v_mul_f32_e32 v20, v19, v13
	v_fma_f32 v21, -v6, v20, v19
	v_fmac_f32_e32 v20, v21, v13
	v_fma_f32 v6, -v6, v20, v19
	v_div_fmas_f32 v6, v6, v13, v20
	v_div_fixup_f32 v12, v6, v12, 1.0
	v_fma_f32 v6, v11, v7, v10
	v_fma_f32 v7, -v10, v7, v11
	v_mul_f32_e32 v6, v6, v12
	v_mul_f32_e32 v7, v7, v12
.LBB177_92:                             ;   in Loop: Header=BB177_86 Depth=1
	s_add_i32 s2, s9, s11
	s_lshl_b32 s2, s2, 3
	v_mov_b32_e32 v10, s2
	s_add_i32 s11, s12, 0xfffffdf8
	ds_read_b64 v[12:13], v10
	v_mov_b32_e32 v10, s11
	ds_read_b64 v[10:11], v10
	ds_write_b64 v18, v[6:7]
	s_waitcnt lgkmcnt(2)
	v_mul_f32_e32 v18, v7, v13
	v_fma_f32 v18, v6, v12, -v18
	v_mul_f32_e32 v13, v6, v13
	s_waitcnt lgkmcnt(1)
	v_cmp_gt_f32_e32 vcc, 0, v11
	v_fmac_f32_e32 v13, v7, v12
	v_sub_f32_e32 v12, v8, v18
	v_cndmask_b32_e64 v8, v11, -v11, vcc
	v_cmp_gt_f32_e32 vcc, 0, v10
	v_sub_f32_e32 v13, v9, v13
	v_cndmask_b32_e64 v9, v10, -v10, vcc
	v_cmp_ngt_f32_e32 vcc, v9, v8
	s_cbranch_vccz .LBB177_94
; %bb.93:                               ;   in Loop: Header=BB177_86 Depth=1
	v_div_scale_f32 v8, s[2:3], v11, v11, v10
	v_rcp_f32_e32 v9, v8
	v_div_scale_f32 v18, vcc, v10, v11, v10
	v_fma_f32 v19, -v8, v9, 1.0
	v_fmac_f32_e32 v9, v19, v9
	v_mul_f32_e32 v19, v18, v9
	v_fma_f32 v20, -v8, v19, v18
	v_fmac_f32_e32 v19, v20, v9
	v_fma_f32 v8, -v8, v19, v18
	v_div_fmas_f32 v8, v8, v9, v19
	v_div_fixup_f32 v9, v8, v11, v10
	v_fma_f32 v8, v10, v9, v11
	v_div_scale_f32 v18, s[2:3], v8, v8, 1.0
	v_rcp_f32_e32 v19, v18
	v_fma_f32 v20, -v18, v19, 1.0
	v_fmac_f32_e32 v19, v20, v19
	v_div_scale_f32 v20, vcc, 1.0, v8, 1.0
	v_mul_f32_e32 v21, v20, v19
	v_fma_f32 v22, -v18, v21, v20
	v_fmac_f32_e32 v21, v22, v19
	v_fma_f32 v18, -v18, v21, v20
	v_div_fmas_f32 v18, v18, v19, v21
	v_div_fixup_f32 v18, v18, v8, 1.0
	v_fma_f32 v8, v9, v12, v13
	v_fma_f32 v9, v9, v13, -v12
	v_mul_f32_e32 v8, v8, v18
	v_mul_f32_e32 v9, v9, v18
	s_cbranch_execz .LBB177_95
	s_branch .LBB177_96
.LBB177_94:                             ;   in Loop: Header=BB177_86 Depth=1
                                        ; implicit-def: $vgpr9
.LBB177_95:                             ;   in Loop: Header=BB177_86 Depth=1
	v_div_scale_f32 v8, s[2:3], v10, v10, v11
	v_rcp_f32_e32 v9, v8
	v_div_scale_f32 v18, vcc, v11, v10, v11
	v_fma_f32 v19, -v8, v9, 1.0
	v_fmac_f32_e32 v9, v19, v9
	v_mul_f32_e32 v19, v18, v9
	v_fma_f32 v20, -v8, v19, v18
	v_fmac_f32_e32 v19, v20, v9
	v_fma_f32 v8, -v8, v19, v18
	v_div_fmas_f32 v8, v8, v9, v19
	v_div_fixup_f32 v9, v8, v10, v11
	v_fmac_f32_e32 v10, v11, v9
	v_div_scale_f32 v8, s[2:3], v10, v10, 1.0
	v_rcp_f32_e32 v11, v8
	v_fma_f32 v18, -v8, v11, 1.0
	v_fmac_f32_e32 v11, v18, v11
	v_div_scale_f32 v18, vcc, 1.0, v10, 1.0
	v_mul_f32_e32 v19, v18, v11
	v_fma_f32 v20, -v8, v19, v18
	v_fmac_f32_e32 v19, v20, v11
	v_fma_f32 v8, -v8, v19, v18
	v_div_fmas_f32 v8, v8, v11, v19
	v_div_fixup_f32 v10, v8, v10, 1.0
	v_fma_f32 v8, v9, v13, v12
	v_fma_f32 v9, -v9, v12, v13
	v_mul_f32_e32 v8, v8, v10
	v_mul_f32_e32 v9, v9, v10
.LBB177_96:                             ;   in Loop: Header=BB177_86 Depth=1
	s_add_i32 s2, s9, s10
	s_lshl_b32 s2, s2, 3
	v_mov_b32_e32 v10, s2
	s_add_i32 s2, s7, s10
	s_lshl_b32 s2, s2, 3
	ds_read_b64 v[12:13], v10
	s_add_i32 s10, s11, 0xfffffdf8
	ds_write_b64 v17, v[8:9]
	v_mov_b32_e32 v11, s2
	v_mov_b32_e32 v10, s10
	ds_read_b64 v[18:19], v11
	ds_read_b64 v[10:11], v10
	s_waitcnt lgkmcnt(3)
	v_mul_f32_e32 v17, v7, v13
	v_mul_f32_e32 v13, v6, v13
	v_fma_f32 v17, v6, v12, -v17
	v_fmac_f32_e32 v13, v7, v12
	s_waitcnt lgkmcnt(1)
	v_mul_f32_e32 v12, v9, v19
	v_sub_f32_e32 v4, v4, v17
	v_sub_f32_e32 v5, v5, v13
	v_fma_f32 v12, v8, v18, -v12
	v_mul_f32_e32 v13, v8, v19
	s_waitcnt lgkmcnt(0)
	v_cmp_gt_f32_e32 vcc, 0, v11
	v_fmac_f32_e32 v13, v9, v18
	v_sub_f32_e32 v4, v4, v12
	v_cndmask_b32_e64 v12, v11, -v11, vcc
	v_cmp_gt_f32_e32 vcc, 0, v10
	v_sub_f32_e32 v5, v5, v13
	v_cndmask_b32_e64 v13, v10, -v10, vcc
	v_cmp_ngt_f32_e32 vcc, v13, v12
	s_cbranch_vccz .LBB177_98
; %bb.97:                               ;   in Loop: Header=BB177_86 Depth=1
	v_div_scale_f32 v12, s[2:3], v11, v11, v10
	v_rcp_f32_e32 v13, v12
	v_div_scale_f32 v17, vcc, v10, v11, v10
	v_fma_f32 v18, -v12, v13, 1.0
	v_fmac_f32_e32 v13, v18, v13
	v_mul_f32_e32 v18, v17, v13
	v_fma_f32 v19, -v12, v18, v17
	v_fmac_f32_e32 v18, v19, v13
	v_fma_f32 v12, -v12, v18, v17
	v_div_fmas_f32 v12, v12, v13, v18
	v_div_fixup_f32 v13, v12, v11, v10
	v_fma_f32 v12, v10, v13, v11
	v_div_scale_f32 v17, s[2:3], v12, v12, 1.0
	v_rcp_f32_e32 v18, v17
	v_fma_f32 v19, -v17, v18, 1.0
	v_fmac_f32_e32 v18, v19, v18
	v_div_scale_f32 v19, vcc, 1.0, v12, 1.0
	v_mul_f32_e32 v20, v19, v18
	v_fma_f32 v21, -v17, v20, v19
	v_fmac_f32_e32 v20, v21, v18
	v_fma_f32 v17, -v17, v20, v19
	v_div_fmas_f32 v17, v17, v18, v20
	v_div_fixup_f32 v17, v17, v12, 1.0
	v_fma_f32 v12, v13, v4, v5
	v_fma_f32 v13, v13, v5, -v4
	v_mul_f32_e32 v12, v12, v17
	v_mul_f32_e32 v13, v13, v17
	s_cbranch_execz .LBB177_99
	s_branch .LBB177_100
.LBB177_98:                             ;   in Loop: Header=BB177_86 Depth=1
                                        ; implicit-def: $vgpr13
.LBB177_99:                             ;   in Loop: Header=BB177_86 Depth=1
	v_div_scale_f32 v12, s[2:3], v10, v10, v11
	v_rcp_f32_e32 v13, v12
	v_div_scale_f32 v17, vcc, v11, v10, v11
	v_fma_f32 v18, -v12, v13, 1.0
	v_fmac_f32_e32 v13, v18, v13
	v_mul_f32_e32 v18, v17, v13
	v_fma_f32 v19, -v12, v18, v17
	v_fmac_f32_e32 v18, v19, v13
	v_fma_f32 v12, -v12, v18, v17
	v_div_fmas_f32 v12, v12, v13, v18
	v_div_fixup_f32 v13, v12, v10, v11
	v_fmac_f32_e32 v10, v11, v13
	v_div_scale_f32 v11, s[2:3], v10, v10, 1.0
	v_rcp_f32_e32 v12, v11
	v_fma_f32 v17, -v11, v12, 1.0
	v_fmac_f32_e32 v12, v17, v12
	v_div_scale_f32 v17, vcc, 1.0, v10, 1.0
	v_mul_f32_e32 v18, v17, v12
	v_fma_f32 v19, -v11, v18, v17
	v_fmac_f32_e32 v18, v19, v12
	v_fma_f32 v11, -v11, v18, v17
	v_div_fmas_f32 v11, v11, v12, v18
	v_div_fixup_f32 v10, v11, v10, 1.0
	v_fma_f32 v11, v13, v5, v4
	v_fma_f32 v4, -v13, v4, v5
	v_mul_f32_e32 v12, v11, v10
	v_mul_f32_e32 v13, v4, v10
.LBB177_100:                            ;   in Loop: Header=BB177_86 Depth=1
	s_add_i32 s9, s9, s8
	s_lshl_b32 s2, s9, 3
	v_mov_b32_e32 v4, s2
	s_add_i32 s7, s7, s8
	ds_read_b64 v[10:11], v4
	s_lshl_b32 s2, s7, 3
	s_add_i32 s6, s6, s8
	v_mov_b32_e32 v5, s2
	s_lshl_b32 s2, s6, 3
	v_mov_b32_e32 v18, s2
	s_add_i32 s2, s10, 0xfffffdf8
	ds_write_b64 v16, v[12:13]
	v_mov_b32_e32 v4, s2
	ds_read_b64 v[16:17], v5
	ds_read_b64 v[18:19], v18
	;; [unrolled: 1-line block ×3, first 2 shown]
	s_waitcnt lgkmcnt(4)
	v_mul_f32_e32 v20, v7, v11
	v_fma_f32 v20, v6, v10, -v20
	v_mul_f32_e32 v6, v6, v11
	v_fmac_f32_e32 v6, v7, v10
	v_sub_f32_e32 v3, v3, v6
	s_waitcnt lgkmcnt(2)
	v_mul_f32_e32 v6, v9, v17
	v_sub_f32_e32 v2, v2, v20
	v_fma_f32 v6, v8, v16, -v6
	v_mul_f32_e32 v7, v8, v17
	v_fmac_f32_e32 v7, v9, v16
	v_sub_f32_e32 v2, v2, v6
	s_waitcnt lgkmcnt(1)
	v_mul_f32_e32 v6, v13, v19
	v_sub_f32_e32 v3, v3, v7
	v_fma_f32 v6, v12, v18, -v6
	v_mul_f32_e32 v7, v12, v19
	s_waitcnt lgkmcnt(0)
	v_cmp_gt_f32_e32 vcc, 0, v5
	v_fmac_f32_e32 v7, v13, v18
	v_sub_f32_e32 v6, v2, v6
	v_cndmask_b32_e64 v2, v5, -v5, vcc
	v_cmp_gt_f32_e32 vcc, 0, v4
	v_sub_f32_e32 v7, v3, v7
	v_cndmask_b32_e64 v3, v4, -v4, vcc
	v_cmp_ngt_f32_e32 vcc, v3, v2
	s_cbranch_vccz .LBB177_102
; %bb.101:                              ;   in Loop: Header=BB177_86 Depth=1
	v_div_scale_f32 v2, s[2:3], v5, v5, v4
	v_rcp_f32_e32 v3, v2
	v_div_scale_f32 v8, vcc, v4, v5, v4
	v_fma_f32 v9, -v2, v3, 1.0
	v_fmac_f32_e32 v3, v9, v3
	v_mul_f32_e32 v9, v8, v3
	v_fma_f32 v10, -v2, v9, v8
	v_fmac_f32_e32 v9, v10, v3
	v_fma_f32 v2, -v2, v9, v8
	v_div_fmas_f32 v2, v2, v3, v9
	v_div_fixup_f32 v3, v2, v5, v4
	v_fma_f32 v2, v4, v3, v5
	v_div_scale_f32 v8, s[2:3], v2, v2, 1.0
	v_rcp_f32_e32 v9, v8
	v_fma_f32 v10, -v8, v9, 1.0
	v_fmac_f32_e32 v9, v10, v9
	v_div_scale_f32 v10, vcc, 1.0, v2, 1.0
	v_mul_f32_e32 v11, v10, v9
	v_fma_f32 v12, -v8, v11, v10
	v_fmac_f32_e32 v11, v12, v9
	v_fma_f32 v8, -v8, v11, v10
	v_div_fmas_f32 v8, v8, v9, v11
	v_div_fixup_f32 v8, v8, v2, 1.0
	v_fma_f32 v2, v3, v6, v7
	v_fma_f32 v3, v3, v7, -v6
	v_mul_f32_e32 v2, v2, v8
	v_mul_f32_e32 v3, v3, v8
	s_cbranch_execz .LBB177_103
	s_branch .LBB177_104
.LBB177_102:                            ;   in Loop: Header=BB177_86 Depth=1
                                        ; implicit-def: $vgpr3
.LBB177_103:                            ;   in Loop: Header=BB177_86 Depth=1
	v_div_scale_f32 v2, s[2:3], v4, v4, v5
	v_rcp_f32_e32 v3, v2
	v_div_scale_f32 v8, vcc, v5, v4, v5
	v_fma_f32 v9, -v2, v3, 1.0
	v_fmac_f32_e32 v3, v9, v3
	v_mul_f32_e32 v9, v8, v3
	v_fma_f32 v10, -v2, v9, v8
	v_fmac_f32_e32 v9, v10, v3
	v_fma_f32 v2, -v2, v9, v8
	v_div_fmas_f32 v2, v2, v3, v9
	v_div_fixup_f32 v3, v2, v4, v5
	v_fmac_f32_e32 v4, v5, v3
	v_div_scale_f32 v2, s[2:3], v4, v4, 1.0
	v_rcp_f32_e32 v5, v2
	v_fma_f32 v8, -v2, v5, 1.0
	v_fmac_f32_e32 v5, v8, v5
	v_div_scale_f32 v8, vcc, 1.0, v4, 1.0
	v_mul_f32_e32 v9, v8, v5
	v_fma_f32 v10, -v2, v9, v8
	v_fmac_f32_e32 v9, v10, v5
	v_fma_f32 v2, -v2, v9, v8
	v_div_fmas_f32 v2, v2, v5, v9
	v_div_fixup_f32 v4, v2, v4, 1.0
	v_fma_f32 v2, v3, v7, v6
	v_fma_f32 v3, -v3, v6, v7
	v_mul_f32_e32 v2, v2, v4
	v_mul_f32_e32 v3, v3, v4
.LBB177_104:                            ;   in Loop: Header=BB177_86 Depth=1
	s_add_i32 s6, s5, -4
	s_sub_i32 s4, s4, 32
	s_cmp_lt_i32 s5, 7
	ds_write_b64 v15, v[2:3]
	s_cbranch_scc1 .LBB177_106
; %bb.105:                              ;   in Loop: Header=BB177_86 Depth=1
	s_mov_b32 s5, s6
	s_branch .LBB177_86
.LBB177_106:
	s_cmp_lt_i32 s6, 0
	s_cbranch_scc1 .LBB177_115
; %bb.107:
	s_lshl_b32 s2, s33, 9
	s_lshl_b32 s3, s6, 3
	v_lshl_or_b32 v1, v0, 3, s2
	s_add_i32 s2, s2, s3
	v_add_u32_e32 v1, 0x7e00, v1
	s_add_i32 s4, s2, 0xfffffe00
	v_lshlrev_b32_e32 v8, 3, v0
	s_branch .LBB177_109
.LBB177_108:                            ;   in Loop: Header=BB177_109 Depth=1
	s_add_i32 s2, s6, -1
	s_add_i32 s4, s4, -8
	s_cmp_lt_i32 s6, 1
	s_mov_b32 s6, s2
	ds_write_b64 v9, v[6:7]
	s_cbranch_scc1 .LBB177_115
.LBB177_109:                            ; =>This Loop Header: Depth=1
                                        ;     Child Loop BB177_110 Depth 2
	v_lshl_or_b32 v4, s6, 9, v8
	ds_read_b64 v[2:3], v4 offset:32768
	s_cmp_le_i32 s50, s6
	s_mov_b32 s2, s4
	v_mov_b32_e32 v5, v1
	s_mov_b32 s3, s50
	s_cbranch_scc1 .LBB177_111
.LBB177_110:                            ;   Parent Loop BB177_109 Depth=1
                                        ; =>  This Inner Loop Header: Depth=2
	v_mov_b32_e32 v9, s2
	ds_read_b64 v[6:7], v5
	ds_read_b64 v[10:11], v9
	s_add_i32 s3, s3, -1
	s_addk_i32 s2, 0xfe00
	v_add_u32_e32 v5, 0xfffffe00, v5
	s_cmp_le_i32 s3, s6
	s_waitcnt lgkmcnt(0)
	v_pk_mul_f32 v[12:13], v[10:11], v[6:7] op_sel:[0,1]
	v_pk_fma_f32 v[14:15], v[10:11], v[6:7], v[12:13] op_sel:[0,0,1] op_sel_hi:[1,0,0]
	v_pk_fma_f32 v[6:7], v[10:11], v[6:7], v[12:13] op_sel:[0,0,1] op_sel_hi:[1,0,0] neg_lo:[0,0,1] neg_hi:[0,0,1]
	v_mov_b32_e32 v7, v15
	v_pk_add_f32 v[2:3], v[2:3], v[6:7] neg_lo:[0,1] neg_hi:[0,1]
	s_cbranch_scc0 .LBB177_110
.LBB177_111:                            ;   in Loop: Header=BB177_109 Depth=1
	s_mul_i32 s2, s6, 0x208
	v_add_u32_e32 v9, 0x8000, v4
	v_mov_b32_e32 v4, s2
	ds_read_b64 v[4:5], v4
	s_waitcnt lgkmcnt(0)
	v_cmp_gt_f32_e32 vcc, 0, v5
	v_cndmask_b32_e64 v6, v5, -v5, vcc
	v_cmp_gt_f32_e32 vcc, 0, v4
	v_cndmask_b32_e64 v7, v4, -v4, vcc
	v_cmp_ngt_f32_e32 vcc, v7, v6
	s_cbranch_vccz .LBB177_113
; %bb.112:                              ;   in Loop: Header=BB177_109 Depth=1
	v_div_scale_f32 v6, s[2:3], v5, v5, v4
	v_rcp_f32_e32 v7, v6
	v_div_scale_f32 v10, vcc, v4, v5, v4
	v_fma_f32 v11, -v6, v7, 1.0
	v_fmac_f32_e32 v7, v11, v7
	v_mul_f32_e32 v11, v10, v7
	v_fma_f32 v12, -v6, v11, v10
	v_fmac_f32_e32 v11, v12, v7
	v_fma_f32 v6, -v6, v11, v10
	v_div_fmas_f32 v6, v6, v7, v11
	v_div_fixup_f32 v6, v6, v5, v4
	v_fma_f32 v7, v4, v6, v5
	v_div_scale_f32 v10, s[2:3], v7, v7, 1.0
	v_rcp_f32_e32 v11, v10
	v_fma_f32 v12, -v10, v11, 1.0
	v_fmac_f32_e32 v11, v12, v11
	v_div_scale_f32 v12, vcc, 1.0, v7, 1.0
	v_mul_f32_e32 v13, v12, v11
	v_fma_f32 v14, -v10, v13, v12
	v_fmac_f32_e32 v13, v14, v11
	v_fma_f32 v10, -v10, v13, v12
	v_div_fmas_f32 v10, v10, v11, v13
	v_div_fixup_f32 v10, v10, v7, 1.0
	v_pk_fma_f32 v[12:13], v[2:3], v[6:7], v[2:3] op_sel:[0,0,1] op_sel_hi:[1,0,0] neg_lo:[0,0,1] neg_hi:[0,0,1]
	v_pk_fma_f32 v[6:7], v[2:3], v[6:7], v[2:3] op_sel:[0,0,1] op_sel_hi:[1,0,0]
	v_mov_b32_e32 v7, v13
	v_pk_mul_f32 v[6:7], v[6:7], v[10:11] op_sel_hi:[1,0]
	s_cbranch_execnz .LBB177_108
	s_branch .LBB177_114
.LBB177_113:                            ;   in Loop: Header=BB177_109 Depth=1
                                        ; implicit-def: $vgpr6_vgpr7
.LBB177_114:                            ;   in Loop: Header=BB177_109 Depth=1
	v_div_scale_f32 v6, s[2:3], v4, v4, v5
	v_rcp_f32_e32 v7, v6
	v_div_scale_f32 v10, vcc, v5, v4, v5
	v_fma_f32 v11, -v6, v7, 1.0
	v_fmac_f32_e32 v7, v11, v7
	v_mul_f32_e32 v11, v10, v7
	v_fma_f32 v12, -v6, v11, v10
	v_fmac_f32_e32 v11, v12, v7
	v_fma_f32 v6, -v6, v11, v10
	v_div_fmas_f32 v6, v6, v7, v11
	v_div_fixup_f32 v6, v6, v4, v5
	v_fmac_f32_e32 v4, v5, v6
	v_div_scale_f32 v5, s[2:3], v4, v4, 1.0
	v_rcp_f32_e32 v7, v5
	v_fma_f32 v10, -v5, v7, 1.0
	v_fmac_f32_e32 v7, v10, v7
	v_div_scale_f32 v10, vcc, 1.0, v4, 1.0
	v_mul_f32_e32 v11, v10, v7
	v_fma_f32 v12, -v5, v11, v10
	v_fmac_f32_e32 v11, v12, v7
	v_fma_f32 v5, -v5, v11, v10
	v_div_fmas_f32 v5, v5, v7, v11
	v_pk_mul_f32 v[6:7], v[2:3], v[6:7] op_sel_hi:[1,0]
	v_pk_add_f32 v[10:11], v[2:3], v[6:7] op_sel:[0,1] op_sel_hi:[1,0] neg_lo:[0,1] neg_hi:[0,1]
	v_pk_add_f32 v[2:3], v[2:3], v[6:7] op_sel:[0,1] op_sel_hi:[1,0]
	v_div_fixup_f32 v4, v5, v4, 1.0
	v_mov_b32_e32 v3, v11
	v_pk_mul_f32 v[6:7], v[2:3], v[4:5] op_sel_hi:[1,0]
	s_branch .LBB177_108
.LBB177_115:
	s_mov_b64 s[4:5], 0
.LBB177_116:
	s_andn2_b64 vcc, exec, s[4:5]
	s_cbranch_vccnz .LBB177_148
; %bb.117:
	s_andn2_b64 vcc, exec, s[0:1]
	s_mov_b32 s4, s50
	s_cbranch_vccnz .LBB177_139
; %bb.118:
	v_lshlrev_b32_e32 v1, 3, v0
	v_lshl_or_b32 v2, s33, 9, v1
	s_mul_i32 s0, s33, 0x208
	v_add_u32_e32 v14, 0x7c00, v2
	s_add_i32 s2, s0, 0xfffff7f0
	s_mov_b32 s3, s50
.LBB177_119:                            ; =>This Loop Header: Depth=1
                                        ;     Child Loop BB177_120 Depth 2
	s_lshl_b32 s5, s3, 6
	v_or_b32_e32 v2, s5, v0
	s_add_i32 s6, s5, 0xffffff80
	v_lshlrev_b32_e32 v4, 3, v2
	v_or_b32_e32 v2, s6, v0
	s_addk_i32 s5, 0xff40
	s_add_i32 s4, s3, -1
	v_lshlrev_b32_e32 v10, 3, v2
	v_or_b32_e32 v2, s5, v0
	v_lshl_or_b32 v5, s4, 9, v1
	v_lshlrev_b32_e32 v11, 3, v2
	ds_read_b64 v[2:3], v4 offset:32768
	ds_read_b64 v[12:13], v5 offset:32768
	;; [unrolled: 1-line block ×4, first 2 shown]
	s_cmp_le_i32 s50, s3
	s_mov_b32 s0, s2
	v_mov_b32_e32 v15, v14
	s_mov_b32 s1, s50
	s_cbranch_scc1 .LBB177_121
.LBB177_120:                            ;   Parent Loop BB177_119 Depth=1
                                        ; =>  This Inner Loop Header: Depth=2
	v_mov_b32_e32 v32, s0
	ds_read2st64_b64 v[16:19], v15 offset1:1
	ds_read2_b64 v[20:23], v32 offset0:192 offset1:193
	ds_read2_b64 v[24:27], v32 offset0:128 offset1:129
	;; [unrolled: 1-line block ×3, first 2 shown]
	ds_read2_b64 v[32:35], v32 offset1:1
	s_add_i32 s1, s1, -2
	s_add_i32 s0, s0, -16
	v_add_u32_e32 v15, 0xfffffc00, v15
	s_waitcnt lgkmcnt(3)
	v_mul_f32_e32 v36, v23, v19
	v_mul_f32_e32 v37, v22, v19
	s_waitcnt lgkmcnt(2)
	v_mul_f32_e32 v38, v27, v19
	v_mul_f32_e32 v27, v27, v18
	;; [unrolled: 3-line block ×4, first 2 shown]
	v_mul_f32_e32 v41, v21, v17
	v_mul_f32_e32 v42, v20, v17
	;; [unrolled: 1-line block ×8, first 2 shown]
	v_fma_f32 v22, v22, v18, -v36
	v_fmac_f32_e32 v37, v23, v18
	v_fma_f32 v23, v26, v18, -v38
	v_fmac_f32_e32 v27, v26, v19
	;; [unrolled: 2-line block ×8, first 2 shown]
	v_sub_f32_e32 v2, v2, v22
	v_sub_f32_e32 v3, v3, v37
	;; [unrolled: 1-line block ×8, first 2 shown]
	s_cmp_le_i32 s1, s3
	v_sub_f32_e32 v2, v2, v19
	v_sub_f32_e32 v3, v3, v42
	;; [unrolled: 1-line block ×8, first 2 shown]
	s_cbranch_scc0 .LBB177_120
.LBB177_121:                            ;   in Loop: Header=BB177_119 Depth=1
	s_mul_i32 s7, s3, 0x208
	v_add_u32_e32 v18, 0x8000, v4
	v_mov_b32_e32 v4, s7
	v_add_u32_e32 v17, 0x8000, v5
	ds_read_b64 v[4:5], v4
	v_add_u32_e32 v16, 0x8000, v10
	v_add_u32_e32 v15, 0x8000, v11
	s_waitcnt lgkmcnt(0)
	v_cmp_gt_f32_e32 vcc, 0, v5
	v_cndmask_b32_e64 v10, v5, -v5, vcc
	v_cmp_gt_f32_e32 vcc, 0, v4
	v_cndmask_b32_e64 v11, v4, -v4, vcc
	v_cmp_ngt_f32_e32 vcc, v11, v10
	s_cbranch_vccz .LBB177_123
; %bb.122:                              ;   in Loop: Header=BB177_119 Depth=1
	v_div_scale_f32 v10, s[0:1], v5, v5, v4
	v_rcp_f32_e32 v11, v10
	v_div_scale_f32 v19, vcc, v4, v5, v4
	v_fma_f32 v20, -v10, v11, 1.0
	v_fmac_f32_e32 v11, v20, v11
	v_mul_f32_e32 v20, v19, v11
	v_fma_f32 v21, -v10, v20, v19
	v_fmac_f32_e32 v20, v21, v11
	v_fma_f32 v10, -v10, v20, v19
	v_div_fmas_f32 v10, v10, v11, v20
	v_div_fixup_f32 v11, v10, v5, v4
	v_fma_f32 v10, v4, v11, v5
	v_div_scale_f32 v19, s[0:1], v10, v10, 1.0
	v_rcp_f32_e32 v20, v19
	v_fma_f32 v21, -v19, v20, 1.0
	v_fmac_f32_e32 v20, v21, v20
	v_div_scale_f32 v21, vcc, 1.0, v10, 1.0
	v_mul_f32_e32 v22, v21, v20
	v_fma_f32 v23, -v19, v22, v21
	v_fmac_f32_e32 v22, v23, v20
	v_fma_f32 v19, -v19, v22, v21
	v_div_fmas_f32 v19, v19, v20, v22
	v_div_fixup_f32 v19, v19, v10, 1.0
	v_fma_f32 v10, v2, v11, v3
	v_fma_f32 v11, v3, v11, -v2
	v_mul_f32_e32 v10, v10, v19
	v_mul_f32_e32 v11, v11, v19
	s_cbranch_execz .LBB177_124
	s_branch .LBB177_125
.LBB177_123:                            ;   in Loop: Header=BB177_119 Depth=1
                                        ; implicit-def: $vgpr11
.LBB177_124:                            ;   in Loop: Header=BB177_119 Depth=1
	v_div_scale_f32 v10, s[0:1], v4, v4, v5
	v_rcp_f32_e32 v11, v10
	v_div_scale_f32 v19, vcc, v5, v4, v5
	v_fma_f32 v20, -v10, v11, 1.0
	v_fmac_f32_e32 v11, v20, v11
	v_mul_f32_e32 v20, v19, v11
	v_fma_f32 v21, -v10, v20, v19
	v_fmac_f32_e32 v20, v21, v11
	v_fma_f32 v10, -v10, v20, v19
	v_div_fmas_f32 v10, v10, v11, v20
	v_div_fixup_f32 v11, v10, v4, v5
	v_fmac_f32_e32 v4, v5, v11
	v_div_scale_f32 v5, s[0:1], v4, v4, 1.0
	v_rcp_f32_e32 v10, v5
	v_fma_f32 v19, -v5, v10, 1.0
	v_fmac_f32_e32 v10, v19, v10
	v_div_scale_f32 v19, vcc, 1.0, v4, 1.0
	v_mul_f32_e32 v20, v19, v10
	v_fma_f32 v21, -v5, v20, v19
	v_fmac_f32_e32 v20, v21, v10
	v_fma_f32 v5, -v5, v20, v19
	v_div_fmas_f32 v5, v5, v10, v20
	v_div_fixup_f32 v4, v5, v4, 1.0
	v_fma_f32 v5, v3, v11, v2
	v_fma_f32 v2, -v2, v11, v3
	v_mul_f32_e32 v10, v5, v4
	v_mul_f32_e32 v11, v2, v4
.LBB177_125:                            ;   in Loop: Header=BB177_119 Depth=1
	s_addk_i32 s7, 0xfdf8
	v_mov_b32_e32 v2, s7
	ds_read2_b64 v[2:5], v2 offset1:1
	ds_write_b64 v18, v[10:11]
	s_waitcnt lgkmcnt(1)
	v_mul_f32_e32 v18, v11, v5
	v_mul_f32_e32 v5, v10, v5
	v_fma_f32 v18, v10, v4, -v18
	v_cmp_gt_f32_e32 vcc, 0, v3
	v_fmac_f32_e32 v5, v11, v4
	v_sub_f32_e32 v4, v12, v18
	v_cndmask_b32_e64 v12, v3, -v3, vcc
	v_cmp_gt_f32_e32 vcc, 0, v2
	v_sub_f32_e32 v5, v13, v5
	v_cndmask_b32_e64 v13, v2, -v2, vcc
	v_cmp_ngt_f32_e32 vcc, v13, v12
	s_cbranch_vccz .LBB177_127
; %bb.126:                              ;   in Loop: Header=BB177_119 Depth=1
	v_div_scale_f32 v12, s[0:1], v3, v3, v2
	v_rcp_f32_e32 v13, v12
	v_div_scale_f32 v18, vcc, v2, v3, v2
	v_fma_f32 v19, -v12, v13, 1.0
	v_fmac_f32_e32 v13, v19, v13
	v_mul_f32_e32 v19, v18, v13
	v_fma_f32 v20, -v12, v19, v18
	v_fmac_f32_e32 v19, v20, v13
	v_fma_f32 v12, -v12, v19, v18
	v_div_fmas_f32 v12, v12, v13, v19
	v_div_fixup_f32 v13, v12, v3, v2
	v_fma_f32 v12, v2, v13, v3
	v_div_scale_f32 v18, s[0:1], v12, v12, 1.0
	v_rcp_f32_e32 v19, v18
	v_fma_f32 v20, -v18, v19, 1.0
	v_fmac_f32_e32 v19, v20, v19
	v_div_scale_f32 v20, vcc, 1.0, v12, 1.0
	v_mul_f32_e32 v21, v20, v19
	v_fma_f32 v22, -v18, v21, v20
	v_fmac_f32_e32 v21, v22, v19
	v_fma_f32 v18, -v18, v21, v20
	v_div_fmas_f32 v18, v18, v19, v21
	v_div_fixup_f32 v18, v18, v12, 1.0
	v_fma_f32 v12, v13, v4, v5
	v_fma_f32 v13, v13, v5, -v4
	v_mul_f32_e32 v12, v12, v18
	v_mul_f32_e32 v13, v13, v18
	s_cbranch_execz .LBB177_128
	s_branch .LBB177_129
.LBB177_127:                            ;   in Loop: Header=BB177_119 Depth=1
                                        ; implicit-def: $vgpr13
.LBB177_128:                            ;   in Loop: Header=BB177_119 Depth=1
	v_div_scale_f32 v12, s[0:1], v2, v2, v3
	v_rcp_f32_e32 v13, v12
	v_div_scale_f32 v18, vcc, v3, v2, v3
	v_fma_f32 v19, -v12, v13, 1.0
	v_fmac_f32_e32 v13, v19, v13
	v_mul_f32_e32 v19, v18, v13
	v_fma_f32 v20, -v12, v19, v18
	v_fmac_f32_e32 v19, v20, v13
	v_fma_f32 v12, -v12, v19, v18
	v_div_fmas_f32 v12, v12, v13, v19
	v_div_fixup_f32 v13, v12, v2, v3
	v_fmac_f32_e32 v2, v3, v13
	v_div_scale_f32 v3, s[0:1], v2, v2, 1.0
	v_rcp_f32_e32 v12, v3
	v_fma_f32 v18, -v3, v12, 1.0
	v_fmac_f32_e32 v12, v18, v12
	v_div_scale_f32 v18, vcc, 1.0, v2, 1.0
	v_mul_f32_e32 v19, v18, v12
	v_fma_f32 v20, -v3, v19, v18
	v_fmac_f32_e32 v19, v20, v12
	v_fma_f32 v3, -v3, v19, v18
	v_div_fmas_f32 v3, v3, v12, v19
	v_div_fixup_f32 v2, v3, v2, 1.0
	v_fma_f32 v3, v13, v5, v4
	v_mul_f32_e32 v12, v3, v2
	v_fma_f32 v3, -v13, v4, v5
	v_mul_f32_e32 v13, v3, v2
.LBB177_129:                            ;   in Loop: Header=BB177_119 Depth=1
	s_add_i32 s6, s6, s3
	s_lshl_b32 s0, s6, 3
	v_mov_b32_e32 v2, s0
	ds_read_b64 v[18:19], v2
	s_add_i32 s6, s7, 0xfffffdf8
	v_mov_b32_e32 v2, s6
	ds_read2_b64 v[2:5], v2 offset1:1
	ds_write_b64 v17, v[12:13]
	s_waitcnt lgkmcnt(2)
	v_mul_f32_e32 v17, v11, v19
	v_fma_f32 v17, v10, v18, -v17
	v_mul_f32_e32 v19, v10, v19
	v_sub_f32_e32 v8, v8, v17
	s_waitcnt lgkmcnt(1)
	v_mul_f32_e32 v17, v13, v5
	v_fmac_f32_e32 v19, v11, v18
	v_fma_f32 v17, v12, v4, -v17
	v_mul_f32_e32 v5, v12, v5
	v_cmp_gt_f32_e32 vcc, 0, v3
	v_sub_f32_e32 v9, v9, v19
	v_fmac_f32_e32 v5, v13, v4
	v_sub_f32_e32 v4, v8, v17
	v_cndmask_b32_e64 v8, v3, -v3, vcc
	v_cmp_gt_f32_e32 vcc, 0, v2
	v_sub_f32_e32 v5, v9, v5
	v_cndmask_b32_e64 v9, v2, -v2, vcc
	v_cmp_ngt_f32_e32 vcc, v9, v8
	s_cbranch_vccz .LBB177_131
; %bb.130:                              ;   in Loop: Header=BB177_119 Depth=1
	v_div_scale_f32 v8, s[0:1], v3, v3, v2
	v_rcp_f32_e32 v9, v8
	v_div_scale_f32 v17, vcc, v2, v3, v2
	v_fma_f32 v18, -v8, v9, 1.0
	v_fmac_f32_e32 v9, v18, v9
	v_mul_f32_e32 v18, v17, v9
	v_fma_f32 v19, -v8, v18, v17
	v_fmac_f32_e32 v18, v19, v9
	v_fma_f32 v8, -v8, v18, v17
	v_div_fmas_f32 v8, v8, v9, v18
	v_div_fixup_f32 v9, v8, v3, v2
	v_fma_f32 v8, v2, v9, v3
	v_div_scale_f32 v17, s[0:1], v8, v8, 1.0
	v_rcp_f32_e32 v18, v17
	v_fma_f32 v19, -v17, v18, 1.0
	v_fmac_f32_e32 v18, v19, v18
	v_div_scale_f32 v19, vcc, 1.0, v8, 1.0
	v_mul_f32_e32 v20, v19, v18
	v_fma_f32 v21, -v17, v20, v19
	v_fmac_f32_e32 v20, v21, v18
	v_fma_f32 v17, -v17, v20, v19
	v_div_fmas_f32 v17, v17, v18, v20
	v_div_fixup_f32 v17, v17, v8, 1.0
	v_fma_f32 v8, v9, v4, v5
	v_fma_f32 v9, v9, v5, -v4
	v_mul_f32_e32 v8, v8, v17
	v_mul_f32_e32 v9, v9, v17
	s_cbranch_execz .LBB177_132
	s_branch .LBB177_133
.LBB177_131:                            ;   in Loop: Header=BB177_119 Depth=1
                                        ; implicit-def: $vgpr9
.LBB177_132:                            ;   in Loop: Header=BB177_119 Depth=1
	v_div_scale_f32 v8, s[0:1], v2, v2, v3
	v_rcp_f32_e32 v9, v8
	v_div_scale_f32 v17, vcc, v3, v2, v3
	v_fma_f32 v18, -v8, v9, 1.0
	v_fmac_f32_e32 v9, v18, v9
	v_mul_f32_e32 v18, v17, v9
	v_fma_f32 v19, -v8, v18, v17
	v_fmac_f32_e32 v18, v19, v9
	v_fma_f32 v8, -v8, v18, v17
	v_div_fmas_f32 v8, v8, v9, v18
	v_div_fixup_f32 v9, v8, v2, v3
	v_fmac_f32_e32 v2, v3, v9
	v_div_scale_f32 v3, s[0:1], v2, v2, 1.0
	v_rcp_f32_e32 v8, v3
	v_fma_f32 v17, -v3, v8, 1.0
	v_fmac_f32_e32 v8, v17, v8
	v_div_scale_f32 v17, vcc, 1.0, v2, 1.0
	v_mul_f32_e32 v18, v17, v8
	v_fma_f32 v19, -v3, v18, v17
	v_fmac_f32_e32 v18, v19, v8
	v_fma_f32 v3, -v3, v18, v17
	v_div_fmas_f32 v3, v3, v8, v18
	v_div_fixup_f32 v2, v3, v2, 1.0
	v_fma_f32 v3, v9, v5, v4
	v_mul_f32_e32 v8, v3, v2
	v_fma_f32 v3, -v9, v4, v5
	v_mul_f32_e32 v9, v3, v2
.LBB177_133:                            ;   in Loop: Header=BB177_119 Depth=1
	s_add_i32 s5, s5, s4
	s_lshl_b32 s0, s5, 3
	v_mov_b32_e32 v2, s0
	ds_read2_b64 v[18:21], v2 offset1:1
	s_add_i32 s0, s6, 0xfffffdf8
	v_mov_b32_e32 v2, s0
	ds_write_b64 v16, v[8:9]
	ds_read2_b64 v[2:5], v2 offset1:1
	s_waitcnt lgkmcnt(2)
	v_mul_f32_e32 v16, v11, v21
	v_fma_f32 v16, v10, v20, -v16
	v_mul_f32_e32 v10, v10, v21
	v_fmac_f32_e32 v10, v11, v20
	v_sub_f32_e32 v7, v7, v10
	v_mul_f32_e32 v10, v13, v19
	v_sub_f32_e32 v6, v6, v16
	v_fma_f32 v10, v12, v18, -v10
	v_mul_f32_e32 v11, v12, v19
	v_fmac_f32_e32 v11, v13, v18
	v_sub_f32_e32 v6, v6, v10
	s_waitcnt lgkmcnt(0)
	v_mul_f32_e32 v10, v9, v5
	v_mul_f32_e32 v5, v8, v5
	v_cmp_gt_f32_e32 vcc, 0, v3
	v_sub_f32_e32 v7, v7, v11
	v_fma_f32 v10, v8, v4, -v10
	v_fmac_f32_e32 v5, v9, v4
	v_cndmask_b32_e64 v4, v3, -v3, vcc
	v_cmp_gt_f32_e32 vcc, 0, v2
	v_sub_f32_e32 v7, v7, v5
	v_cndmask_b32_e64 v5, v2, -v2, vcc
	v_cmp_ngt_f32_e32 vcc, v5, v4
	v_sub_f32_e32 v6, v6, v10
	s_cbranch_vccz .LBB177_135
; %bb.134:                              ;   in Loop: Header=BB177_119 Depth=1
	v_div_scale_f32 v4, s[0:1], v3, v3, v2
	v_rcp_f32_e32 v5, v4
	v_div_scale_f32 v8, vcc, v2, v3, v2
	v_fma_f32 v9, -v4, v5, 1.0
	v_fmac_f32_e32 v5, v9, v5
	v_mul_f32_e32 v9, v8, v5
	v_fma_f32 v10, -v4, v9, v8
	v_fmac_f32_e32 v9, v10, v5
	v_fma_f32 v4, -v4, v9, v8
	v_div_fmas_f32 v4, v4, v5, v9
	v_div_fixup_f32 v5, v4, v3, v2
	v_fma_f32 v4, v2, v5, v3
	v_div_scale_f32 v8, s[0:1], v4, v4, 1.0
	v_rcp_f32_e32 v9, v8
	v_fma_f32 v10, -v8, v9, 1.0
	v_fmac_f32_e32 v9, v10, v9
	v_div_scale_f32 v10, vcc, 1.0, v4, 1.0
	v_mul_f32_e32 v11, v10, v9
	v_fma_f32 v12, -v8, v11, v10
	v_fmac_f32_e32 v11, v12, v9
	v_fma_f32 v8, -v8, v11, v10
	v_div_fmas_f32 v8, v8, v9, v11
	v_div_fixup_f32 v8, v8, v4, 1.0
	v_fma_f32 v4, v5, v6, v7
	v_fma_f32 v5, v5, v7, -v6
	v_mul_f32_e32 v4, v4, v8
	v_mul_f32_e32 v5, v5, v8
	s_cbranch_execz .LBB177_136
	s_branch .LBB177_137
.LBB177_135:                            ;   in Loop: Header=BB177_119 Depth=1
                                        ; implicit-def: $vgpr5
.LBB177_136:                            ;   in Loop: Header=BB177_119 Depth=1
	v_div_scale_f32 v4, s[0:1], v2, v2, v3
	v_rcp_f32_e32 v5, v4
	v_div_scale_f32 v8, vcc, v3, v2, v3
	v_fma_f32 v9, -v4, v5, 1.0
	v_fmac_f32_e32 v5, v9, v5
	v_mul_f32_e32 v9, v8, v5
	v_fma_f32 v10, -v4, v9, v8
	v_fmac_f32_e32 v9, v10, v5
	v_fma_f32 v4, -v4, v9, v8
	v_div_fmas_f32 v4, v4, v5, v9
	v_div_fixup_f32 v5, v4, v2, v3
	v_fmac_f32_e32 v2, v3, v5
	v_div_scale_f32 v3, s[0:1], v2, v2, 1.0
	v_rcp_f32_e32 v4, v3
	v_fma_f32 v8, -v3, v4, 1.0
	v_fmac_f32_e32 v4, v8, v4
	v_div_scale_f32 v8, vcc, 1.0, v2, 1.0
	v_mul_f32_e32 v9, v8, v4
	v_fma_f32 v10, -v3, v9, v8
	v_fmac_f32_e32 v9, v10, v4
	v_fma_f32 v3, -v3, v9, v8
	v_div_fmas_f32 v3, v3, v4, v9
	v_div_fixup_f32 v2, v3, v2, 1.0
	v_fma_f32 v3, v5, v7, v6
	v_mul_f32_e32 v4, v3, v2
	v_fma_f32 v3, -v5, v6, v7
	v_mul_f32_e32 v5, v3, v2
.LBB177_137:                            ;   in Loop: Header=BB177_119 Depth=1
	s_add_i32 s4, s3, -4
	s_addk_i32 s2, 0xf800
	s_cmp_lt_i32 s3, 7
	ds_write_b64 v15, v[4:5]
	s_cbranch_scc1 .LBB177_139
; %bb.138:                              ;   in Loop: Header=BB177_119 Depth=1
	s_mov_b32 s3, s4
	s_branch .LBB177_119
.LBB177_139:
	s_cmp_lt_i32 s4, 0
	s_cbranch_scc1 .LBB177_148
; %bb.140:
	v_lshlrev_b32_e32 v1, 3, v0
	s_lshl_b32 s0, s4, 9
	s_lshl_b32 s1, s33, 3
	v_lshl_or_b32 v2, s33, 9, v1
	s_add_i32 s0, s0, s1
	v_add_u32_e32 v8, 0x7e00, v2
	s_add_i32 s2, s0, -8
	s_branch .LBB177_142
.LBB177_141:                            ;   in Loop: Header=BB177_142 Depth=1
	s_add_i32 s0, s4, -1
	s_addk_i32 s2, 0xfe00
	s_cmp_lt_i32 s4, 1
	s_mov_b32 s4, s0
	ds_write_b64 v9, v[6:7]
	s_cbranch_scc1 .LBB177_148
.LBB177_142:                            ; =>This Loop Header: Depth=1
                                        ;     Child Loop BB177_143 Depth 2
	v_lshl_or_b32 v4, s4, 9, v1
	ds_read_b64 v[2:3], v4 offset:32768
	s_cmp_le_i32 s50, s4
	s_mov_b32 s0, s2
	v_mov_b32_e32 v5, v8
	s_mov_b32 s1, s50
	s_cbranch_scc1 .LBB177_144
.LBB177_143:                            ;   Parent Loop BB177_142 Depth=1
                                        ; =>  This Inner Loop Header: Depth=2
	v_mov_b32_e32 v9, s0
	ds_read_b64 v[6:7], v5
	ds_read_b64 v[10:11], v9
	s_add_i32 s1, s1, -1
	s_add_i32 s0, s0, -8
	v_add_u32_e32 v5, 0xfffffe00, v5
	s_cmp_le_i32 s1, s4
	s_waitcnt lgkmcnt(0)
	v_pk_mul_f32 v[12:13], v[10:11], v[6:7] op_sel:[0,1]
	v_pk_fma_f32 v[14:15], v[10:11], v[6:7], v[12:13] op_sel:[0,0,1] op_sel_hi:[1,0,0]
	v_pk_fma_f32 v[6:7], v[10:11], v[6:7], v[12:13] op_sel:[0,0,1] op_sel_hi:[1,0,0] neg_lo:[0,0,1] neg_hi:[0,0,1]
	v_mov_b32_e32 v7, v15
	v_pk_add_f32 v[2:3], v[2:3], v[6:7] neg_lo:[0,1] neg_hi:[0,1]
	s_cbranch_scc0 .LBB177_143
.LBB177_144:                            ;   in Loop: Header=BB177_142 Depth=1
	s_mul_i32 s0, s4, 0x208
	v_add_u32_e32 v9, 0x8000, v4
	v_mov_b32_e32 v4, s0
	ds_read_b64 v[4:5], v4
	s_waitcnt lgkmcnt(0)
	v_cmp_gt_f32_e32 vcc, 0, v5
	v_cndmask_b32_e64 v6, v5, -v5, vcc
	v_cmp_gt_f32_e32 vcc, 0, v4
	v_cndmask_b32_e64 v7, v4, -v4, vcc
	v_cmp_ngt_f32_e32 vcc, v7, v6
	s_cbranch_vccz .LBB177_146
; %bb.145:                              ;   in Loop: Header=BB177_142 Depth=1
	v_div_scale_f32 v6, s[0:1], v5, v5, v4
	v_rcp_f32_e32 v7, v6
	v_div_scale_f32 v10, vcc, v4, v5, v4
	v_fma_f32 v11, -v6, v7, 1.0
	v_fmac_f32_e32 v7, v11, v7
	v_mul_f32_e32 v11, v10, v7
	v_fma_f32 v12, -v6, v11, v10
	v_fmac_f32_e32 v11, v12, v7
	v_fma_f32 v6, -v6, v11, v10
	v_div_fmas_f32 v6, v6, v7, v11
	v_div_fixup_f32 v6, v6, v5, v4
	v_fma_f32 v7, v4, v6, v5
	v_div_scale_f32 v10, s[0:1], v7, v7, 1.0
	v_rcp_f32_e32 v11, v10
	v_fma_f32 v12, -v10, v11, 1.0
	v_fmac_f32_e32 v11, v12, v11
	v_div_scale_f32 v12, vcc, 1.0, v7, 1.0
	v_mul_f32_e32 v13, v12, v11
	v_fma_f32 v14, -v10, v13, v12
	v_fmac_f32_e32 v13, v14, v11
	v_fma_f32 v10, -v10, v13, v12
	v_div_fmas_f32 v10, v10, v11, v13
	v_div_fixup_f32 v10, v10, v7, 1.0
	v_pk_fma_f32 v[12:13], v[2:3], v[6:7], v[2:3] op_sel:[0,0,1] op_sel_hi:[1,0,0] neg_lo:[0,0,1] neg_hi:[0,0,1]
	v_pk_fma_f32 v[6:7], v[2:3], v[6:7], v[2:3] op_sel:[0,0,1] op_sel_hi:[1,0,0]
	v_mov_b32_e32 v7, v13
	v_pk_mul_f32 v[6:7], v[6:7], v[10:11] op_sel_hi:[1,0]
	s_cbranch_execnz .LBB177_141
	s_branch .LBB177_147
.LBB177_146:                            ;   in Loop: Header=BB177_142 Depth=1
                                        ; implicit-def: $vgpr6_vgpr7
.LBB177_147:                            ;   in Loop: Header=BB177_142 Depth=1
	v_div_scale_f32 v6, s[0:1], v4, v4, v5
	v_rcp_f32_e32 v7, v6
	v_div_scale_f32 v10, vcc, v5, v4, v5
	v_fma_f32 v11, -v6, v7, 1.0
	v_fmac_f32_e32 v7, v11, v7
	v_mul_f32_e32 v11, v10, v7
	v_fma_f32 v12, -v6, v11, v10
	v_fmac_f32_e32 v11, v12, v7
	v_fma_f32 v6, -v6, v11, v10
	v_div_fmas_f32 v6, v6, v7, v11
	v_div_fixup_f32 v6, v6, v4, v5
	v_fmac_f32_e32 v4, v5, v6
	v_div_scale_f32 v5, s[0:1], v4, v4, 1.0
	v_rcp_f32_e32 v7, v5
	v_fma_f32 v10, -v5, v7, 1.0
	v_fmac_f32_e32 v7, v10, v7
	v_div_scale_f32 v10, vcc, 1.0, v4, 1.0
	v_mul_f32_e32 v11, v10, v7
	v_fma_f32 v12, -v5, v11, v10
	v_fmac_f32_e32 v11, v12, v7
	v_fma_f32 v5, -v5, v11, v10
	v_div_fmas_f32 v5, v5, v7, v11
	v_pk_mul_f32 v[6:7], v[2:3], v[6:7] op_sel_hi:[1,0]
	v_pk_add_f32 v[10:11], v[2:3], v[6:7] op_sel:[0,1] op_sel_hi:[1,0] neg_lo:[0,1] neg_hi:[0,1]
	v_pk_add_f32 v[2:3], v[2:3], v[6:7] op_sel:[0,1] op_sel_hi:[1,0]
	v_div_fixup_f32 v4, v5, v4, 1.0
	v_mov_b32_e32 v3, v11
	v_pk_mul_f32 v[6:7], v[2:3], v[4:5] op_sel_hi:[1,0]
	s_branch .LBB177_141
.LBB177_148:
	s_mov_b64 s[4:5], 0
.LBB177_149:
	s_andn2_b64 vcc, exec, s[4:5]
	s_cbranch_vccnz .LBB177_188
; %bb.150:
	s_cmp_lt_i32 s16, 4
	s_mov_b32 s4, 0
	s_cbranch_scc1 .LBB177_173
; %bb.151:
	v_mov_b32_e32 v1, 0x8000
	v_lshl_or_b32 v1, v0, 3, v1
	s_mov_b32 s2, 0
	s_mov_b32 s3, 0
.LBB177_152:                            ; =>This Loop Header: Depth=1
                                        ;     Child Loop BB177_154 Depth 2
	s_lshl_b32 s0, s3, 6
	v_or_b32_e32 v2, s0, v0
	s_or_b32 s6, s0, 64
	v_lshlrev_b32_e32 v4, 3, v2
	v_or_b32_e32 v2, s6, v0
	s_or_b32 s5, s0, 0x80
	v_lshlrev_b32_e32 v5, 3, v2
	;; [unrolled: 3-line block ×3, first 2 shown]
	v_or_b32_e32 v2, s4, v0
	v_lshlrev_b32_e32 v13, 3, v2
	ds_read_b64 v[2:3], v4 offset:32768
	ds_read_b64 v[10:11], v5 offset:32768
	ds_read_b64 v[8:9], v12 offset:32768
	ds_read_b64 v[6:7], v13 offset:32768
	s_cmp_eq_u32 s3, 0
	s_cbranch_scc1 .LBB177_155
; %bb.153:                              ;   in Loop: Header=BB177_152 Depth=1
	s_mov_b32 s0, 0
	s_mov_b32 s1, s2
	v_mov_b32_e32 v14, v1
.LBB177_154:                            ;   Parent Loop BB177_152 Depth=1
                                        ; =>  This Inner Loop Header: Depth=2
	v_mov_b32_e32 v15, s1
	ds_read2st64_b64 v[16:19], v14 offset1:1
	ds_read_b128 v[20:23], v15
	ds_read_b128 v[24:27], v15 offset:512
	ds_read_b128 v[28:31], v15 offset:1024
	;; [unrolled: 1-line block ×3, first 2 shown]
	s_add_i32 s0, s0, 2
	s_add_i32 s1, s1, 16
	v_add_u32_e32 v14, 0x400, v14
	s_waitcnt lgkmcnt(3)
	v_mul_f32_e32 v15, v21, v17
	v_mul_f32_e32 v36, v20, v17
	s_waitcnt lgkmcnt(2)
	v_mul_f32_e32 v37, v25, v17
	v_mul_f32_e32 v25, v25, v16
	;; [unrolled: 3-line block ×4, first 2 shown]
	v_mul_f32_e32 v40, v23, v19
	v_mul_f32_e32 v41, v22, v19
	;; [unrolled: 1-line block ×8, first 2 shown]
	v_fma_f32 v15, v20, v16, -v15
	v_fmac_f32_e32 v36, v21, v16
	v_fma_f32 v20, v24, v16, -v37
	v_fmac_f32_e32 v25, v24, v17
	;; [unrolled: 2-line block ×8, first 2 shown]
	v_sub_f32_e32 v2, v2, v15
	v_sub_f32_e32 v3, v3, v36
	v_sub_f32_e32 v10, v10, v20
	v_sub_f32_e32 v11, v11, v25
	v_sub_f32_e32 v8, v8, v21
	v_sub_f32_e32 v9, v9, v29
	v_sub_f32_e32 v6, v6, v16
	v_sub_f32_e32 v7, v7, v33
	s_cmp_ge_u32 s0, s3
	v_sub_f32_e32 v2, v2, v17
	v_sub_f32_e32 v3, v3, v41
	;; [unrolled: 1-line block ×8, first 2 shown]
	s_cbranch_scc0 .LBB177_154
.LBB177_155:                            ;   in Loop: Header=BB177_152 Depth=1
	s_mul_i32 s7, s3, 0x208
	v_add_u32_e32 v17, 0x8000, v4
	v_mov_b32_e32 v4, s7
	v_add_u32_e32 v16, 0x8000, v5
	ds_read_b64 v[4:5], v4
	v_add_u32_e32 v15, 0x8000, v12
	v_add_u32_e32 v14, 0x8000, v13
	s_waitcnt lgkmcnt(0)
	v_cmp_gt_f32_e32 vcc, 0, v5
	v_cndmask_b32_e64 v12, v5, -v5, vcc
	v_cmp_gt_f32_e32 vcc, 0, v4
	v_cndmask_b32_e64 v13, v4, -v4, vcc
	v_cmp_ngt_f32_e32 vcc, v13, v12
	s_cbranch_vccz .LBB177_157
; %bb.156:                              ;   in Loop: Header=BB177_152 Depth=1
	v_div_scale_f32 v12, s[0:1], v5, v5, v4
	v_rcp_f32_e32 v13, v12
	v_div_scale_f32 v18, vcc, v4, v5, v4
	v_fma_f32 v19, -v12, v13, 1.0
	v_fmac_f32_e32 v13, v19, v13
	v_mul_f32_e32 v19, v18, v13
	v_fma_f32 v20, -v12, v19, v18
	v_fmac_f32_e32 v19, v20, v13
	v_fma_f32 v12, -v12, v19, v18
	v_div_fmas_f32 v12, v12, v13, v19
	v_div_fixup_f32 v13, v12, v5, v4
	v_fma_f32 v12, v4, v13, v5
	v_div_scale_f32 v18, s[0:1], v12, v12, 1.0
	v_rcp_f32_e32 v19, v18
	v_fma_f32 v20, -v18, v19, 1.0
	v_fmac_f32_e32 v19, v20, v19
	v_div_scale_f32 v20, vcc, 1.0, v12, 1.0
	v_mul_f32_e32 v21, v20, v19
	v_fma_f32 v22, -v18, v21, v20
	v_fmac_f32_e32 v21, v22, v19
	v_fma_f32 v18, -v18, v21, v20
	v_div_fmas_f32 v18, v18, v19, v21
	v_div_fixup_f32 v18, v18, v12, 1.0
	v_fma_f32 v12, v2, v13, v3
	v_fma_f32 v13, v3, v13, -v2
	v_mul_f32_e32 v12, v12, v18
	v_mul_f32_e32 v13, v13, v18
	s_cbranch_execz .LBB177_158
	s_branch .LBB177_159
.LBB177_157:                            ;   in Loop: Header=BB177_152 Depth=1
                                        ; implicit-def: $vgpr13
.LBB177_158:                            ;   in Loop: Header=BB177_152 Depth=1
	v_div_scale_f32 v12, s[0:1], v4, v4, v5
	v_rcp_f32_e32 v13, v12
	v_div_scale_f32 v18, vcc, v5, v4, v5
	v_fma_f32 v19, -v12, v13, 1.0
	v_fmac_f32_e32 v13, v19, v13
	v_mul_f32_e32 v19, v18, v13
	v_fma_f32 v20, -v12, v19, v18
	v_fmac_f32_e32 v19, v20, v13
	v_fma_f32 v12, -v12, v19, v18
	v_div_fmas_f32 v12, v12, v13, v19
	v_div_fixup_f32 v13, v12, v4, v5
	v_fmac_f32_e32 v4, v5, v13
	v_div_scale_f32 v5, s[0:1], v4, v4, 1.0
	v_rcp_f32_e32 v12, v5
	v_fma_f32 v18, -v5, v12, 1.0
	v_fmac_f32_e32 v12, v18, v12
	v_div_scale_f32 v18, vcc, 1.0, v4, 1.0
	v_mul_f32_e32 v19, v18, v12
	v_fma_f32 v20, -v5, v19, v18
	v_fmac_f32_e32 v19, v20, v12
	v_fma_f32 v5, -v5, v19, v18
	v_div_fmas_f32 v5, v5, v12, v19
	v_div_fixup_f32 v4, v5, v4, 1.0
	v_fma_f32 v5, v3, v13, v2
	v_fma_f32 v2, -v2, v13, v3
	v_mul_f32_e32 v12, v5, v4
	v_mul_f32_e32 v13, v2, v4
.LBB177_159:                            ;   in Loop: Header=BB177_152 Depth=1
	s_add_i32 s6, s6, s3
	s_lshl_b32 s0, s6, 3
	v_mov_b32_e32 v2, s0
	ds_read_b128 v[2:5], v2
	ds_write_b64 v17, v[12:13]
	s_waitcnt lgkmcnt(1)
	v_mul_f32_e32 v17, v13, v3
	v_mul_f32_e32 v3, v12, v3
	v_fma_f32 v17, v12, v2, -v17
	v_cmp_gt_f32_e32 vcc, 0, v5
	v_fmac_f32_e32 v3, v13, v2
	v_sub_f32_e32 v2, v10, v17
	v_cndmask_b32_e64 v10, v5, -v5, vcc
	v_cmp_gt_f32_e32 vcc, 0, v4
	v_sub_f32_e32 v3, v11, v3
	v_cndmask_b32_e64 v11, v4, -v4, vcc
	v_cmp_ngt_f32_e32 vcc, v11, v10
	s_cbranch_vccz .LBB177_161
; %bb.160:                              ;   in Loop: Header=BB177_152 Depth=1
	v_div_scale_f32 v10, s[0:1], v5, v5, v4
	v_rcp_f32_e32 v11, v10
	v_div_scale_f32 v17, vcc, v4, v5, v4
	v_fma_f32 v18, -v10, v11, 1.0
	v_fmac_f32_e32 v11, v18, v11
	v_mul_f32_e32 v18, v17, v11
	v_fma_f32 v19, -v10, v18, v17
	v_fmac_f32_e32 v18, v19, v11
	v_fma_f32 v10, -v10, v18, v17
	v_div_fmas_f32 v10, v10, v11, v18
	v_div_fixup_f32 v11, v10, v5, v4
	v_fma_f32 v10, v4, v11, v5
	v_div_scale_f32 v17, s[0:1], v10, v10, 1.0
	v_rcp_f32_e32 v18, v17
	v_fma_f32 v19, -v17, v18, 1.0
	v_fmac_f32_e32 v18, v19, v18
	v_div_scale_f32 v19, vcc, 1.0, v10, 1.0
	v_mul_f32_e32 v20, v19, v18
	v_fma_f32 v21, -v17, v20, v19
	v_fmac_f32_e32 v20, v21, v18
	v_fma_f32 v17, -v17, v20, v19
	v_div_fmas_f32 v17, v17, v18, v20
	v_div_fixup_f32 v17, v17, v10, 1.0
	v_fma_f32 v10, v11, v2, v3
	v_fma_f32 v11, v11, v3, -v2
	v_mul_f32_e32 v10, v10, v17
	v_mul_f32_e32 v11, v11, v17
	s_cbranch_execz .LBB177_162
	s_branch .LBB177_163
.LBB177_161:                            ;   in Loop: Header=BB177_152 Depth=1
                                        ; implicit-def: $vgpr11
.LBB177_162:                            ;   in Loop: Header=BB177_152 Depth=1
	v_div_scale_f32 v10, s[0:1], v4, v4, v5
	v_rcp_f32_e32 v11, v10
	v_div_scale_f32 v17, vcc, v5, v4, v5
	v_fma_f32 v18, -v10, v11, 1.0
	v_fmac_f32_e32 v11, v18, v11
	v_mul_f32_e32 v18, v17, v11
	v_fma_f32 v19, -v10, v18, v17
	v_fmac_f32_e32 v18, v19, v11
	v_fma_f32 v10, -v10, v18, v17
	v_div_fmas_f32 v10, v10, v11, v18
	v_div_fixup_f32 v11, v10, v4, v5
	v_fmac_f32_e32 v4, v5, v11
	v_div_scale_f32 v5, s[0:1], v4, v4, 1.0
	v_rcp_f32_e32 v10, v5
	v_fma_f32 v17, -v5, v10, 1.0
	v_fmac_f32_e32 v10, v17, v10
	v_div_scale_f32 v17, vcc, 1.0, v4, 1.0
	v_mul_f32_e32 v18, v17, v10
	v_fma_f32 v19, -v5, v18, v17
	v_fmac_f32_e32 v18, v19, v10
	v_fma_f32 v5, -v5, v18, v17
	v_div_fmas_f32 v5, v5, v10, v18
	v_div_fixup_f32 v4, v5, v4, 1.0
	v_fma_f32 v5, v11, v3, v2
	v_fma_f32 v2, -v11, v2, v3
	v_mul_f32_e32 v10, v5, v4
	v_mul_f32_e32 v11, v2, v4
.LBB177_163:                            ;   in Loop: Header=BB177_152 Depth=1
	s_add_i32 s5, s5, s3
	s_lshl_b32 s0, s5, 3
	v_mov_b32_e32 v2, s0
	ds_read_b128 v[18:21], v2
	v_mov_b32_e32 v2, s7
	ds_read_b64 v[2:3], v2 offset:1040
	ds_write_b64 v16, v[10:11]
	s_waitcnt lgkmcnt(2)
	v_mul_f32_e32 v4, v13, v19
	v_mul_f32_e32 v5, v12, v19
	v_fma_f32 v4, v12, v18, -v4
	v_fmac_f32_e32 v5, v13, v18
	v_sub_f32_e32 v4, v8, v4
	v_mul_f32_e32 v8, v11, v21
	v_sub_f32_e32 v5, v9, v5
	v_fma_f32 v8, v10, v20, -v8
	v_mul_f32_e32 v9, v10, v21
	s_waitcnt lgkmcnt(1)
	v_cmp_gt_f32_e32 vcc, 0, v3
	v_fmac_f32_e32 v9, v11, v20
	v_sub_f32_e32 v4, v4, v8
	v_cndmask_b32_e64 v8, v3, -v3, vcc
	v_cmp_gt_f32_e32 vcc, 0, v2
	v_sub_f32_e32 v5, v5, v9
	v_cndmask_b32_e64 v9, v2, -v2, vcc
	v_cmp_ngt_f32_e32 vcc, v9, v8
	s_cbranch_vccz .LBB177_165
; %bb.164:                              ;   in Loop: Header=BB177_152 Depth=1
	v_div_scale_f32 v8, s[0:1], v3, v3, v2
	v_rcp_f32_e32 v9, v8
	v_div_scale_f32 v16, vcc, v2, v3, v2
	v_fma_f32 v17, -v8, v9, 1.0
	v_fmac_f32_e32 v9, v17, v9
	v_mul_f32_e32 v17, v16, v9
	v_fma_f32 v18, -v8, v17, v16
	v_fmac_f32_e32 v17, v18, v9
	v_fma_f32 v8, -v8, v17, v16
	v_div_fmas_f32 v8, v8, v9, v17
	v_div_fixup_f32 v9, v8, v3, v2
	v_fma_f32 v8, v2, v9, v3
	v_div_scale_f32 v16, s[0:1], v8, v8, 1.0
	v_rcp_f32_e32 v17, v16
	v_fma_f32 v18, -v16, v17, 1.0
	v_fmac_f32_e32 v17, v18, v17
	v_div_scale_f32 v18, vcc, 1.0, v8, 1.0
	v_mul_f32_e32 v19, v18, v17
	v_fma_f32 v20, -v16, v19, v18
	v_fmac_f32_e32 v19, v20, v17
	v_fma_f32 v16, -v16, v19, v18
	v_div_fmas_f32 v16, v16, v17, v19
	v_div_fixup_f32 v16, v16, v8, 1.0
	v_fma_f32 v8, v9, v4, v5
	v_fma_f32 v9, v9, v5, -v4
	v_mul_f32_e32 v8, v8, v16
	v_mul_f32_e32 v9, v9, v16
	s_cbranch_execz .LBB177_166
	s_branch .LBB177_167
.LBB177_165:                            ;   in Loop: Header=BB177_152 Depth=1
                                        ; implicit-def: $vgpr9
.LBB177_166:                            ;   in Loop: Header=BB177_152 Depth=1
	v_div_scale_f32 v8, s[0:1], v2, v2, v3
	v_rcp_f32_e32 v9, v8
	v_div_scale_f32 v16, vcc, v3, v2, v3
	v_fma_f32 v17, -v8, v9, 1.0
	v_fmac_f32_e32 v9, v17, v9
	v_mul_f32_e32 v17, v16, v9
	v_fma_f32 v18, -v8, v17, v16
	v_fmac_f32_e32 v17, v18, v9
	v_fma_f32 v8, -v8, v17, v16
	v_div_fmas_f32 v8, v8, v9, v17
	v_div_fixup_f32 v9, v8, v2, v3
	v_fmac_f32_e32 v2, v3, v9
	v_div_scale_f32 v3, s[0:1], v2, v2, 1.0
	v_rcp_f32_e32 v8, v3
	v_fma_f32 v16, -v3, v8, 1.0
	v_fmac_f32_e32 v8, v16, v8
	v_div_scale_f32 v16, vcc, 1.0, v2, 1.0
	v_mul_f32_e32 v17, v16, v8
	v_fma_f32 v18, -v3, v17, v16
	v_fmac_f32_e32 v17, v18, v8
	v_fma_f32 v3, -v3, v17, v16
	v_div_fmas_f32 v3, v3, v8, v17
	v_div_fixup_f32 v2, v3, v2, 1.0
	v_fma_f32 v3, v9, v5, v4
	v_mul_f32_e32 v8, v3, v2
	v_fma_f32 v3, -v9, v4, v5
	v_mul_f32_e32 v9, v3, v2
.LBB177_167:                            ;   in Loop: Header=BB177_152 Depth=1
	s_add_i32 s4, s4, s3
	s_lshl_b32 s0, s4, 3
	v_mov_b32_e32 v2, s0
	ds_read_b128 v[16:19], v2
	ds_write_b64 v15, v[8:9]
	ds_read_b128 v[2:5], v2 offset:16
	s_waitcnt lgkmcnt(2)
	v_mul_f32_e32 v15, v13, v17
	v_mul_f32_e32 v17, v12, v17
	v_fma_f32 v12, v12, v16, -v15
	v_sub_f32_e32 v6, v6, v12
	v_mul_f32_e32 v12, v11, v19
	v_fmac_f32_e32 v17, v13, v16
	v_fma_f32 v12, v10, v18, -v12
	v_mul_f32_e32 v10, v10, v19
	v_sub_f32_e32 v7, v7, v17
	v_fmac_f32_e32 v10, v11, v18
	v_sub_f32_e32 v7, v7, v10
	s_waitcnt lgkmcnt(0)
	v_mul_f32_e32 v10, v9, v3
	v_mul_f32_e32 v3, v8, v3
	v_cmp_gt_f32_e32 vcc, 0, v5
	v_fma_f32 v10, v8, v2, -v10
	v_fmac_f32_e32 v3, v9, v2
	v_cndmask_b32_e64 v2, v5, -v5, vcc
	v_cmp_gt_f32_e32 vcc, 0, v4
	v_sub_f32_e32 v7, v7, v3
	v_cndmask_b32_e64 v3, v4, -v4, vcc
	v_sub_f32_e32 v6, v6, v12
	v_cmp_ngt_f32_e32 vcc, v3, v2
	v_sub_f32_e32 v6, v6, v10
	s_cbranch_vccz .LBB177_169
; %bb.168:                              ;   in Loop: Header=BB177_152 Depth=1
	v_div_scale_f32 v2, s[0:1], v5, v5, v4
	v_rcp_f32_e32 v3, v2
	v_div_scale_f32 v8, vcc, v4, v5, v4
	v_fma_f32 v9, -v2, v3, 1.0
	v_fmac_f32_e32 v3, v9, v3
	v_mul_f32_e32 v9, v8, v3
	v_fma_f32 v10, -v2, v9, v8
	v_fmac_f32_e32 v9, v10, v3
	v_fma_f32 v2, -v2, v9, v8
	v_div_fmas_f32 v2, v2, v3, v9
	v_div_fixup_f32 v3, v2, v5, v4
	v_fma_f32 v2, v4, v3, v5
	v_div_scale_f32 v8, s[0:1], v2, v2, 1.0
	v_rcp_f32_e32 v9, v8
	v_fma_f32 v10, -v8, v9, 1.0
	v_fmac_f32_e32 v9, v10, v9
	v_div_scale_f32 v10, vcc, 1.0, v2, 1.0
	v_mul_f32_e32 v11, v10, v9
	v_fma_f32 v12, -v8, v11, v10
	v_fmac_f32_e32 v11, v12, v9
	v_fma_f32 v8, -v8, v11, v10
	v_div_fmas_f32 v8, v8, v9, v11
	v_div_fixup_f32 v8, v8, v2, 1.0
	v_fma_f32 v2, v3, v6, v7
	v_fma_f32 v3, v3, v7, -v6
	v_mul_f32_e32 v2, v2, v8
	v_mul_f32_e32 v3, v3, v8
	s_cbranch_execz .LBB177_170
	s_branch .LBB177_171
.LBB177_169:                            ;   in Loop: Header=BB177_152 Depth=1
                                        ; implicit-def: $vgpr3
.LBB177_170:                            ;   in Loop: Header=BB177_152 Depth=1
	v_div_scale_f32 v2, s[0:1], v4, v4, v5
	v_rcp_f32_e32 v3, v2
	v_div_scale_f32 v8, vcc, v5, v4, v5
	v_fma_f32 v9, -v2, v3, 1.0
	v_fmac_f32_e32 v3, v9, v3
	v_mul_f32_e32 v9, v8, v3
	v_fma_f32 v10, -v2, v9, v8
	v_fmac_f32_e32 v9, v10, v3
	v_fma_f32 v2, -v2, v9, v8
	v_div_fmas_f32 v2, v2, v3, v9
	v_div_fixup_f32 v3, v2, v4, v5
	v_fmac_f32_e32 v4, v5, v3
	v_div_scale_f32 v2, s[0:1], v4, v4, 1.0
	v_rcp_f32_e32 v5, v2
	v_fma_f32 v8, -v2, v5, 1.0
	v_fmac_f32_e32 v5, v8, v5
	v_div_scale_f32 v8, vcc, 1.0, v4, 1.0
	v_mul_f32_e32 v9, v8, v5
	v_fma_f32 v10, -v2, v9, v8
	v_fmac_f32_e32 v9, v10, v5
	v_fma_f32 v2, -v2, v9, v8
	v_div_fmas_f32 v2, v2, v5, v9
	v_div_fixup_f32 v4, v2, v4, 1.0
	v_fma_f32 v2, v3, v7, v6
	v_fma_f32 v3, -v3, v6, v7
	v_mul_f32_e32 v2, v2, v4
	v_mul_f32_e32 v3, v3, v4
.LBB177_171:                            ;   in Loop: Header=BB177_152 Depth=1
	s_add_i32 s4, s3, 4
	s_add_i32 s0, s3, 7
	s_addk_i32 s2, 0x800
	s_cmp_ge_i32 s0, s33
	ds_write_b64 v14, v[2:3]
	s_cbranch_scc1 .LBB177_173
; %bb.172:                              ;   in Loop: Header=BB177_152 Depth=1
	s_mov_b32 s3, s4
	s_branch .LBB177_152
.LBB177_173:
	s_cmp_ge_i32 s4, s33
	s_cbranch_scc1 .LBB177_188
; %bb.174:
	v_mov_b32_e32 v1, 0x8000
	s_add_i32 s2, s4, -1
	v_lshl_or_b32 v1, v0, 3, v1
	s_lshl_b32 s3, s4, 9
	s_mov_b32 s5, 0
	v_lshlrev_b32_e32 v8, 3, v0
	s_mov_b32 s6, s4
	s_branch .LBB177_176
.LBB177_175:                            ;   in Loop: Header=BB177_176 Depth=1
	s_add_i32 s4, s4, 1
	s_add_i32 s5, s5, 1
	s_addk_i32 s3, 0x200
	v_add_u16_e64 v2, s6, 1
	s_cmp_ge_i32 s4, s33
	v_readfirstlane_b32 s6, v2
	ds_write_b64 v9, v[6:7]
	s_cbranch_scc1 .LBB177_188
.LBB177_176:                            ; =>This Loop Header: Depth=1
                                        ;     Child Loop BB177_179 Depth 2
                                        ;     Child Loop BB177_183 Depth 2
	v_lshl_or_b32 v4, s4, 9, v8
	ds_read_b64 v[2:3], v4 offset:32768
	s_cmp_eq_u32 s4, 0
	s_cbranch_scc1 .LBB177_184
; %bb.177:                              ;   in Loop: Header=BB177_176 Depth=1
	s_add_i32 s0, s2, s5
	s_cmp_lt_u32 s0, 7
	s_cbranch_scc1 .LBB177_181
; %bb.178:                              ;   in Loop: Header=BB177_176 Depth=1
	s_and_b32 s0, s4, -8
	s_mov_b32 s1, 0
	s_mov_b32 s7, s3
	v_mov_b32_e32 v5, v1
.LBB177_179:                            ;   Parent Loop BB177_176 Depth=1
                                        ; =>  This Inner Loop Header: Depth=2
	v_mov_b32_e32 v6, s7
	ds_read2st64_b64 v[10:13], v5 offset1:1
	ds_read2st64_b64 v[14:17], v5 offset0:2 offset1:3
	ds_read2st64_b64 v[18:21], v5 offset0:4 offset1:5
	;; [unrolled: 1-line block ×3, first 2 shown]
	ds_read_b128 v[26:29], v6
	ds_read_b128 v[30:33], v6 offset:16
	ds_read_b128 v[34:37], v6 offset:32
	;; [unrolled: 1-line block ×3, first 2 shown]
	s_add_i32 s1, s1, 8
	s_waitcnt lgkmcnt(3)
	v_pk_mul_f32 v[6:7], v[26:27], v[10:11] op_sel:[0,1]
	v_pk_mul_f32 v[42:43], v[28:29], v[12:13] op_sel:[0,1]
	v_pk_fma_f32 v[56:57], v[26:27], v[10:11], v[6:7] op_sel:[0,0,1] op_sel_hi:[1,0,0]
	v_pk_fma_f32 v[6:7], v[26:27], v[10:11], v[6:7] op_sel:[0,0,1] op_sel_hi:[1,0,0] neg_lo:[0,0,1] neg_hi:[0,0,1]
	s_waitcnt lgkmcnt(2)
	v_pk_mul_f32 v[44:45], v[30:31], v[14:15] op_sel:[0,1]
	v_pk_fma_f32 v[10:11], v[28:29], v[12:13], v[42:43] op_sel:[0,0,1] op_sel_hi:[1,0,0]
	v_pk_fma_f32 v[12:13], v[28:29], v[12:13], v[42:43] op_sel:[0,0,1] op_sel_hi:[1,0,0] neg_lo:[0,0,1] neg_hi:[0,0,1]
	v_mov_b32_e32 v7, v57
	v_pk_mul_f32 v[46:47], v[32:33], v[16:17] op_sel:[0,1]
	v_pk_fma_f32 v[26:27], v[30:31], v[14:15], v[44:45] op_sel:[0,0,1] op_sel_hi:[1,0,0]
	v_pk_fma_f32 v[14:15], v[30:31], v[14:15], v[44:45] op_sel:[0,0,1] op_sel_hi:[1,0,0] neg_lo:[0,0,1] neg_hi:[0,0,1]
	v_mov_b32_e32 v13, v11
	v_pk_add_f32 v[2:3], v[2:3], v[6:7] neg_lo:[0,1] neg_hi:[0,1]
	s_waitcnt lgkmcnt(1)
	v_pk_mul_f32 v[48:49], v[34:35], v[18:19] op_sel:[0,1]
	v_pk_fma_f32 v[28:29], v[32:33], v[16:17], v[46:47] op_sel:[0,0,1] op_sel_hi:[1,0,0]
	v_pk_fma_f32 v[16:17], v[32:33], v[16:17], v[46:47] op_sel:[0,0,1] op_sel_hi:[1,0,0] neg_lo:[0,0,1] neg_hi:[0,0,1]
	v_mov_b32_e32 v15, v27
	v_pk_add_f32 v[2:3], v[2:3], v[12:13] neg_lo:[0,1] neg_hi:[0,1]
	v_pk_mul_f32 v[50:51], v[36:37], v[20:21] op_sel:[0,1]
	v_pk_fma_f32 v[30:31], v[34:35], v[18:19], v[48:49] op_sel:[0,0,1] op_sel_hi:[1,0,0]
	v_pk_fma_f32 v[18:19], v[34:35], v[18:19], v[48:49] op_sel:[0,0,1] op_sel_hi:[1,0,0] neg_lo:[0,0,1] neg_hi:[0,0,1]
	v_mov_b32_e32 v17, v29
	v_pk_add_f32 v[2:3], v[2:3], v[14:15] neg_lo:[0,1] neg_hi:[0,1]
	s_waitcnt lgkmcnt(0)
	v_pk_mul_f32 v[52:53], v[38:39], v[22:23] op_sel:[0,1]
	v_pk_fma_f32 v[32:33], v[36:37], v[20:21], v[50:51] op_sel:[0,0,1] op_sel_hi:[1,0,0]
	v_pk_fma_f32 v[20:21], v[36:37], v[20:21], v[50:51] op_sel:[0,0,1] op_sel_hi:[1,0,0] neg_lo:[0,0,1] neg_hi:[0,0,1]
	v_mov_b32_e32 v19, v31
	v_pk_add_f32 v[2:3], v[2:3], v[16:17] neg_lo:[0,1] neg_hi:[0,1]
	v_pk_mul_f32 v[54:55], v[40:41], v[24:25] op_sel:[0,1]
	v_pk_fma_f32 v[34:35], v[38:39], v[22:23], v[52:53] op_sel:[0,0,1] op_sel_hi:[1,0,0]
	v_pk_fma_f32 v[22:23], v[38:39], v[22:23], v[52:53] op_sel:[0,0,1] op_sel_hi:[1,0,0] neg_lo:[0,0,1] neg_hi:[0,0,1]
	v_mov_b32_e32 v21, v33
	v_pk_add_f32 v[2:3], v[2:3], v[18:19] neg_lo:[0,1] neg_hi:[0,1]
	v_pk_fma_f32 v[36:37], v[40:41], v[24:25], v[54:55] op_sel:[0,0,1] op_sel_hi:[1,0,0]
	v_pk_fma_f32 v[24:25], v[40:41], v[24:25], v[54:55] op_sel:[0,0,1] op_sel_hi:[1,0,0] neg_lo:[0,0,1] neg_hi:[0,0,1]
	v_mov_b32_e32 v23, v35
	v_pk_add_f32 v[2:3], v[2:3], v[20:21] neg_lo:[0,1] neg_hi:[0,1]
	s_add_i32 s7, s7, 64
	v_mov_b32_e32 v25, v37
	v_pk_add_f32 v[2:3], v[2:3], v[22:23] neg_lo:[0,1] neg_hi:[0,1]
	v_add_u32_e32 v5, 0x1000, v5
	s_cmp_eq_u32 s0, s1
	v_pk_add_f32 v[2:3], v[2:3], v[24:25] neg_lo:[0,1] neg_hi:[0,1]
	s_cbranch_scc0 .LBB177_179
; %bb.180:                              ;   in Loop: Header=BB177_176 Depth=1
	s_and_b32 s1, s4, 7
	s_cmp_eq_u32 s1, 0
	s_cbranch_scc0 .LBB177_182
	s_branch .LBB177_184
.LBB177_181:                            ;   in Loop: Header=BB177_176 Depth=1
	s_mov_b32 s0, 0
	s_and_b32 s1, s4, 7
	s_cmp_eq_u32 s1, 0
	s_cbranch_scc1 .LBB177_184
.LBB177_182:                            ;   in Loop: Header=BB177_176 Depth=1
	s_and_b32 s1, s6, 7
	s_lshl_b32 s7, s0, 3
	v_lshl_add_u32 v5, s0, 9, v1
.LBB177_183:                            ;   Parent Loop BB177_176 Depth=1
                                        ; =>  This Inner Loop Header: Depth=2
	s_add_i32 s0, s3, s7
	v_mov_b32_e32 v9, s0
	ds_read_b64 v[6:7], v5
	ds_read_b64 v[10:11], v9
	s_add_i32 s7, s7, 8
	s_add_i32 s1, s1, -1
	v_add_u32_e32 v5, 0x200, v5
	s_cmp_lg_u32 s1, 0
	s_waitcnt lgkmcnt(0)
	v_pk_mul_f32 v[12:13], v[10:11], v[6:7] op_sel:[0,1]
	v_pk_fma_f32 v[14:15], v[10:11], v[6:7], v[12:13] op_sel:[0,0,1] op_sel_hi:[1,0,0]
	v_pk_fma_f32 v[6:7], v[10:11], v[6:7], v[12:13] op_sel:[0,0,1] op_sel_hi:[1,0,0] neg_lo:[0,0,1] neg_hi:[0,0,1]
	v_mov_b32_e32 v7, v15
	v_pk_add_f32 v[2:3], v[2:3], v[6:7] neg_lo:[0,1] neg_hi:[0,1]
	s_cbranch_scc1 .LBB177_183
.LBB177_184:                            ;   in Loop: Header=BB177_176 Depth=1
	s_mul_i32 s0, s4, 0x208
	v_add_u32_e32 v9, 0x8000, v4
	v_mov_b32_e32 v4, s0
	ds_read_b64 v[4:5], v4
	s_waitcnt lgkmcnt(0)
	v_cmp_gt_f32_e32 vcc, 0, v5
	v_cndmask_b32_e64 v6, v5, -v5, vcc
	v_cmp_gt_f32_e32 vcc, 0, v4
	v_cndmask_b32_e64 v7, v4, -v4, vcc
	v_cmp_ngt_f32_e32 vcc, v7, v6
	s_cbranch_vccz .LBB177_186
; %bb.185:                              ;   in Loop: Header=BB177_176 Depth=1
	v_div_scale_f32 v6, s[0:1], v5, v5, v4
	v_rcp_f32_e32 v7, v6
	v_div_scale_f32 v10, vcc, v4, v5, v4
	v_fma_f32 v11, -v6, v7, 1.0
	v_fmac_f32_e32 v7, v11, v7
	v_mul_f32_e32 v11, v10, v7
	v_fma_f32 v12, -v6, v11, v10
	v_fmac_f32_e32 v11, v12, v7
	v_fma_f32 v6, -v6, v11, v10
	v_div_fmas_f32 v6, v6, v7, v11
	v_div_fixup_f32 v6, v6, v5, v4
	v_fma_f32 v7, v4, v6, v5
	v_div_scale_f32 v10, s[0:1], v7, v7, 1.0
	v_rcp_f32_e32 v11, v10
	v_fma_f32 v12, -v10, v11, 1.0
	v_fmac_f32_e32 v11, v12, v11
	v_div_scale_f32 v12, vcc, 1.0, v7, 1.0
	v_mul_f32_e32 v13, v12, v11
	v_fma_f32 v14, -v10, v13, v12
	v_fmac_f32_e32 v13, v14, v11
	v_fma_f32 v10, -v10, v13, v12
	v_div_fmas_f32 v10, v10, v11, v13
	v_div_fixup_f32 v10, v10, v7, 1.0
	v_pk_fma_f32 v[12:13], v[2:3], v[6:7], v[2:3] op_sel:[0,0,1] op_sel_hi:[1,0,0] neg_lo:[0,0,1] neg_hi:[0,0,1]
	v_pk_fma_f32 v[6:7], v[2:3], v[6:7], v[2:3] op_sel:[0,0,1] op_sel_hi:[1,0,0]
	v_mov_b32_e32 v7, v13
	v_pk_mul_f32 v[6:7], v[6:7], v[10:11] op_sel_hi:[1,0]
	s_cbranch_execnz .LBB177_175
	s_branch .LBB177_187
.LBB177_186:                            ;   in Loop: Header=BB177_176 Depth=1
                                        ; implicit-def: $vgpr6_vgpr7
.LBB177_187:                            ;   in Loop: Header=BB177_176 Depth=1
	v_div_scale_f32 v6, s[0:1], v4, v4, v5
	v_rcp_f32_e32 v7, v6
	v_div_scale_f32 v10, vcc, v5, v4, v5
	v_fma_f32 v11, -v6, v7, 1.0
	v_fmac_f32_e32 v7, v11, v7
	v_mul_f32_e32 v11, v10, v7
	v_fma_f32 v12, -v6, v11, v10
	v_fmac_f32_e32 v11, v12, v7
	v_fma_f32 v6, -v6, v11, v10
	v_div_fmas_f32 v6, v6, v7, v11
	v_div_fixup_f32 v6, v6, v4, v5
	v_fmac_f32_e32 v4, v5, v6
	v_div_scale_f32 v5, s[0:1], v4, v4, 1.0
	v_rcp_f32_e32 v7, v5
	v_fma_f32 v10, -v5, v7, 1.0
	v_fmac_f32_e32 v7, v10, v7
	v_div_scale_f32 v10, vcc, 1.0, v4, 1.0
	v_mul_f32_e32 v11, v10, v7
	v_fma_f32 v12, -v5, v11, v10
	v_fmac_f32_e32 v11, v12, v7
	v_fma_f32 v5, -v5, v11, v10
	v_div_fmas_f32 v5, v5, v7, v11
	v_pk_mul_f32 v[6:7], v[2:3], v[6:7] op_sel_hi:[1,0]
	v_pk_add_f32 v[10:11], v[2:3], v[6:7] op_sel:[0,1] op_sel_hi:[1,0] neg_lo:[0,1] neg_hi:[0,1]
	v_pk_add_f32 v[2:3], v[2:3], v[6:7] op_sel:[0,1] op_sel_hi:[1,0]
	v_div_fixup_f32 v4, v5, v4, 1.0
	v_mov_b32_e32 v3, v11
	v_pk_mul_f32 v[6:7], v[2:3], v[4:5] op_sel_hi:[1,0]
	s_branch .LBB177_175
.LBB177_188:
	s_and_saveexec_b64 s[0:1], s[28:29]
	s_cbranch_execz .LBB177_195
; %bb.189:
	s_ashr_i32 s15, s14, 31
	s_mov_b32 s6, 0
	s_cmp_lt_u32 s16, 4
	v_lshlrev_b32_e32 v4, 3, v0
	s_cbranch_scc1 .LBB177_192
; %bb.190:
	v_mov_b32_e32 v1, s49
	v_add_co_u32_e32 v2, vcc, s48, v4
	v_addc_co_u32_e32 v3, vcc, 0, v1, vcc
	v_mov_b32_e32 v1, 0x8000
	s_mul_hi_i32 s9, s14, 24
	s_lshl_b64 s[0:1], s[14:15], 5
	s_lshl_b64 s[2:3], s[14:15], 4
	;; [unrolled: 1-line block ×3, first 2 shown]
	s_and_b32 s6, s16, 0x7ffffffc
	v_lshl_or_b32 v0, v0, 3, v1
	s_mul_i32 s7, s14, 24
	s_mov_b32 s8, 0
	v_mov_b32_e32 v1, s5
	v_mov_b32_e32 v5, s3
	;; [unrolled: 1-line block ×4, first 2 shown]
.LBB177_191:                            ; =>This Inner Loop Header: Depth=1
	v_add_co_u32_e32 v16, vcc, s4, v2
	v_addc_co_u32_e32 v17, vcc, v3, v1, vcc
	ds_read2st64_b64 v[8:11], v0 offset1:1
	ds_read2st64_b64 v[12:15], v0 offset0:2 offset1:3
	v_add_co_u32_e32 v18, vcc, s2, v2
	v_addc_co_u32_e32 v19, vcc, v3, v5, vcc
	v_add_co_u32_e32 v20, vcc, s7, v2
	v_addc_co_u32_e32 v21, vcc, v3, v6, vcc
	s_add_i32 s8, s8, 4
	s_waitcnt lgkmcnt(1)
	global_store_dwordx2 v[2:3], v[8:9], off
	global_store_dwordx2 v[16:17], v[10:11], off
	s_waitcnt lgkmcnt(0)
	global_store_dwordx2 v[18:19], v[12:13], off
	global_store_dwordx2 v[20:21], v[14:15], off
	v_add_co_u32_e32 v2, vcc, s0, v2
	v_add_u32_e32 v0, 0x800, v0
	s_cmp_lg_u32 s6, s8
	v_addc_co_u32_e32 v3, vcc, v3, v7, vcc
	s_cbranch_scc1 .LBB177_191
.LBB177_192:
	s_and_b32 s2, s16, 3
	s_cmp_eq_u32 s2, 0
	s_cbranch_scc1 .LBB177_195
; %bb.193:
	s_mul_hi_i32 s1, s14, s6
	s_mul_i32 s0, s14, s6
	s_lshl_b64 s[0:1], s[0:1], 3
	s_add_u32 s0, s24, s0
	s_addc_u32 s1, s25, s1
	s_add_u32 s0, s0, s26
	s_addc_u32 s1, s1, s27
	s_add_u32 s0, s0, s20
	s_addc_u32 s1, s1, s21
	s_add_u32 s0, s22, s0
	s_addc_u32 s1, s23, s1
	v_mov_b32_e32 v1, s1
	v_add_co_u32_e32 v0, vcc, s0, v4
	s_lshl_b64 s[0:1], s[14:15], 3
	v_lshl_or_b32 v2, s6, 9, v4
	v_addc_co_u32_e32 v1, vcc, 0, v1, vcc
	v_add_u32_e32 v2, 0x8000, v2
	v_mov_b32_e32 v3, s1
.LBB177_194:                            ; =>This Inner Loop Header: Depth=1
	ds_read_b64 v[4:5], v2
	s_add_i32 s2, s2, -1
	v_add_u32_e32 v2, 0x200, v2
	s_cmp_lg_u32 s2, 0
	s_waitcnt lgkmcnt(0)
	global_store_dwordx2 v[0:1], v[4:5], off
	v_add_co_u32_e32 v0, vcc, s0, v0
	v_addc_co_u32_e32 v1, vcc, v1, v3, vcc
	s_cbranch_scc1 .LBB177_194
.LBB177_195:
	s_endpgm
	.section	.rodata,"a",@progbits
	.p2align	6, 0x0
	.amdhsa_kernel _ZL31rocblas_trsm_small_right_deviceI19rocblas_complex_numIfES1_PKS1_PS1_Li64EEv13rocblas_fill_18rocblas_operation_17rocblas_diagonal_iiT0_T1_lilT2_lili
		.amdhsa_group_segment_fixed_size 65536
		.amdhsa_private_segment_fixed_size 0
		.amdhsa_kernarg_size 360
		.amdhsa_user_sgpr_count 6
		.amdhsa_user_sgpr_private_segment_buffer 1
		.amdhsa_user_sgpr_dispatch_ptr 0
		.amdhsa_user_sgpr_queue_ptr 0
		.amdhsa_user_sgpr_kernarg_segment_ptr 1
		.amdhsa_user_sgpr_dispatch_id 0
		.amdhsa_user_sgpr_flat_scratch_init 0
		.amdhsa_user_sgpr_kernarg_preload_length 0
		.amdhsa_user_sgpr_kernarg_preload_offset 0
		.amdhsa_user_sgpr_private_segment_size 0
		.amdhsa_uses_dynamic_stack 0
		.amdhsa_system_sgpr_private_segment_wavefront_offset 0
		.amdhsa_system_sgpr_workgroup_id_x 1
		.amdhsa_system_sgpr_workgroup_id_y 0
		.amdhsa_system_sgpr_workgroup_id_z 1
		.amdhsa_system_sgpr_workgroup_info 0
		.amdhsa_system_vgpr_workitem_id 0
		.amdhsa_next_free_vgpr 58
		.amdhsa_next_free_sgpr 60
		.amdhsa_accum_offset 60
		.amdhsa_reserve_vcc 1
		.amdhsa_reserve_flat_scratch 0
		.amdhsa_float_round_mode_32 0
		.amdhsa_float_round_mode_16_64 0
		.amdhsa_float_denorm_mode_32 3
		.amdhsa_float_denorm_mode_16_64 3
		.amdhsa_dx10_clamp 1
		.amdhsa_ieee_mode 1
		.amdhsa_fp16_overflow 0
		.amdhsa_tg_split 0
		.amdhsa_exception_fp_ieee_invalid_op 0
		.amdhsa_exception_fp_denorm_src 0
		.amdhsa_exception_fp_ieee_div_zero 0
		.amdhsa_exception_fp_ieee_overflow 0
		.amdhsa_exception_fp_ieee_underflow 0
		.amdhsa_exception_fp_ieee_inexact 0
		.amdhsa_exception_int_div_zero 0
	.end_amdhsa_kernel
	.section	.text._ZL31rocblas_trsm_small_right_deviceI19rocblas_complex_numIfES1_PKS1_PS1_Li64EEv13rocblas_fill_18rocblas_operation_17rocblas_diagonal_iiT0_T1_lilT2_lili,"axG",@progbits,_ZL31rocblas_trsm_small_right_deviceI19rocblas_complex_numIfES1_PKS1_PS1_Li64EEv13rocblas_fill_18rocblas_operation_17rocblas_diagonal_iiT0_T1_lilT2_lili,comdat
.Lfunc_end177:
	.size	_ZL31rocblas_trsm_small_right_deviceI19rocblas_complex_numIfES1_PKS1_PS1_Li64EEv13rocblas_fill_18rocblas_operation_17rocblas_diagonal_iiT0_T1_lilT2_lili, .Lfunc_end177-_ZL31rocblas_trsm_small_right_deviceI19rocblas_complex_numIfES1_PKS1_PS1_Li64EEv13rocblas_fill_18rocblas_operation_17rocblas_diagonal_iiT0_T1_lilT2_lili
                                        ; -- End function
	.section	.AMDGPU.csdata,"",@progbits
; Kernel info:
; codeLenInByte = 15784
; NumSgprs: 64
; NumVgprs: 58
; NumAgprs: 0
; TotalNumVgprs: 58
; ScratchSize: 0
; MemoryBound: 0
; FloatMode: 240
; IeeeMode: 1
; LDSByteSize: 65536 bytes/workgroup (compile time only)
; SGPRBlocks: 7
; VGPRBlocks: 7
; NumSGPRsForWavesPerEU: 64
; NumVGPRsForWavesPerEU: 58
; AccumOffset: 60
; Occupancy: 1
; WaveLimiterHint : 0
; COMPUTE_PGM_RSRC2:SCRATCH_EN: 0
; COMPUTE_PGM_RSRC2:USER_SGPR: 6
; COMPUTE_PGM_RSRC2:TRAP_HANDLER: 0
; COMPUTE_PGM_RSRC2:TGID_X_EN: 1
; COMPUTE_PGM_RSRC2:TGID_Y_EN: 0
; COMPUTE_PGM_RSRC2:TGID_Z_EN: 1
; COMPUTE_PGM_RSRC2:TIDIG_COMP_CNT: 0
; COMPUTE_PGM_RSRC3_GFX90A:ACCUM_OFFSET: 14
; COMPUTE_PGM_RSRC3_GFX90A:TG_SPLIT: 0
	.section	.text._ZL39rocblas_trsm_block_forward_substitutionI19rocblas_complex_numIfES1_PKS1_PS1_Lb0ELb0ELb0EEv18rocblas_operation_llT0_T1_lllT2_lllib,"axG",@progbits,_ZL39rocblas_trsm_block_forward_substitutionI19rocblas_complex_numIfES1_PKS1_PS1_Lb0ELb0ELb0EEv18rocblas_operation_llT0_T1_lllT2_lllib,comdat
	.globl	_ZL39rocblas_trsm_block_forward_substitutionI19rocblas_complex_numIfES1_PKS1_PS1_Lb0ELb0ELb0EEv18rocblas_operation_llT0_T1_lllT2_lllib ; -- Begin function _ZL39rocblas_trsm_block_forward_substitutionI19rocblas_complex_numIfES1_PKS1_PS1_Lb0ELb0ELb0EEv18rocblas_operation_llT0_T1_lllT2_lllib
	.p2align	8
	.type	_ZL39rocblas_trsm_block_forward_substitutionI19rocblas_complex_numIfES1_PKS1_PS1_Lb0ELb0ELb0EEv18rocblas_operation_llT0_T1_lllT2_lllib,@function
_ZL39rocblas_trsm_block_forward_substitutionI19rocblas_complex_numIfES1_PKS1_PS1_Lb0ELb0ELb0EEv18rocblas_operation_llT0_T1_lllT2_lllib: ; @_ZL39rocblas_trsm_block_forward_substitutionI19rocblas_complex_numIfES1_PKS1_PS1_Lb0ELb0ELb0EEv18rocblas_operation_llT0_T1_lllT2_lllib
; %bb.0:
	s_load_dword s0, s[4:5], 0x64
	s_load_dwordx4 s[28:31], s[4:5], 0x8
	s_load_dwordx2 s[34:35], s[4:5], 0x18
	s_load_dwordx16 s[12:27], s[4:5], 0x20
	s_load_dword s6, s[4:5], 0x74
	s_waitcnt lgkmcnt(0)
	s_bitcmp1_b32 s0, 0
	s_cselect_b64 s[0:1], -1, 0
	s_xor_b64 s[2:3], s[0:1], -1
	s_mul_i32 s0, s8, s19
	s_mul_hi_u32 s1, s8, s18
	s_add_i32 s1, s1, s0
	s_mul_i32 s0, s8, s18
	s_lshl_b64 s[0:1], s[0:1], 3
	s_add_u32 s9, s12, s0
	s_addc_u32 s11, s13, s1
	s_lshl_b64 s[0:1], s[14:15], 3
	s_add_u32 s10, s9, s0
	s_addc_u32 s11, s11, s1
	s_add_u32 s12, s4, 0x68
	v_and_b32_e32 v2, 0x3ff, v0
	v_bfe_u32 v8, v0, 10, 10
	s_addc_u32 s13, s5, 0
	s_lshr_b32 s6, s6, 16
	s_and_b64 vcc, exec, s[2:3]
	s_cbranch_vccnz .LBB178_15
; %bb.1:
	s_lshl_b32 s0, s6, 3
	s_add_i32 s14, s0, 0
	v_cmp_lt_i64_e64 s[0:1], s[28:29], 1
	s_and_b64 vcc, exec, s[0:1]
	s_cbranch_vccnz .LBB178_14
; %bb.2:
	v_lshlrev_b32_e32 v0, 3, v2
	v_mov_b32_e32 v3, 0
	v_cmp_le_u64_e32 vcc, s[28:29], v[2:3]
	v_mov_b32_e32 v1, s11
	v_add_co_u32_e64 v3, s[0:1], s10, v0
	v_add_u32_e32 v9, s14, v0
	v_addc_co_u32_e64 v10, s[0:1], 0, v1, s[0:1]
	v_mad_u64_u32 v[0:1], s[0:1], v2, s16, 0
	v_mov_b32_e32 v4, v1
	v_mad_u64_u32 v[4:5], s[0:1], v2, s17, v[4:5]
	v_mov_b32_e32 v1, v4
	v_lshlrev_b64 v[0:1], 3, v[0:1]
	v_add_co_u32_e64 v0, s[0:1], v3, v0
	v_addc_co_u32_e64 v1, s[0:1], v10, v1, s[0:1]
	s_xor_b64 s[0:1], vcc, -1
	s_mov_b32 s10, s6
	v_mov_b32_e32 v11, v8
	s_branch .LBB178_6
.LBB178_3:                              ;   in Loop: Header=BB178_6 Depth=1
	s_or_b64 exec, exec, s[38:39]
	s_load_dword s9, s[12:13], 0xc
	s_waitcnt lgkmcnt(0)
	s_and_b32 s9, s9, 0xffff
	v_mul_u32_u24_e32 v4, s9, v2
	v_lshl_add_u32 v4, v4, 3, v9
	ds_write_b64 v4, v[6:7]
.LBB178_4:                              ;   in Loop: Header=BB178_6 Depth=1
	s_or_b64 exec, exec, s[36:37]
.LBB178_5:                              ;   in Loop: Header=BB178_6 Depth=1
	s_or_b64 exec, exec, s[18:19]
	s_ashr_i32 s11, s10, 31
	v_pk_mov_b32 v[4:5], s[28:29], s[28:29] op_sel:[0,1]
	v_cmp_ge_i64_e32 vcc, s[10:11], v[4:5]
	v_add_u32_e32 v11, s6, v11
	s_add_i32 s10, s10, s6
	s_cbranch_vccnz .LBB178_14
.LBB178_6:                              ; =>This Inner Loop Header: Depth=1
	v_cmp_gt_i32_e32 vcc, v2, v11
	s_and_b64 s[18:19], s[0:1], vcc
	s_and_saveexec_b64 s[36:37], s[18:19]
	s_xor_b64 s[18:19], exec, s[36:37]
	s_cbranch_execz .LBB178_8
; %bb.7:                                ;   in Loop: Header=BB178_6 Depth=1
	v_ashrrev_i32_e32 v4, 31, v11
	v_mul_lo_u32 v6, v11, s17
	v_mul_lo_u32 v7, v4, s16
	v_mad_u64_u32 v[4:5], s[36:37], v11, s16, 0
	v_add3_u32 v5, v5, v6, v7
	v_lshlrev_b64 v[4:5], 3, v[4:5]
	v_add_co_u32_e32 v4, vcc, v3, v4
	v_addc_co_u32_e32 v5, vcc, v10, v5, vcc
	global_load_dwordx2 v[4:5], v[4:5], off
	s_load_dword s9, s[12:13], 0xc
	s_waitcnt lgkmcnt(0)
	s_and_b32 s9, s9, 0xffff
	v_mul_lo_u32 v6, v11, s9
	v_lshl_add_u32 v6, v6, 3, v9
	s_waitcnt vmcnt(0)
	ds_write_b64 v6, v[4:5]
.LBB178_8:                              ;   in Loop: Header=BB178_6 Depth=1
	s_andn2_saveexec_b64 s[18:19], s[18:19]
	s_cbranch_execz .LBB178_5
; %bb.9:                                ;   in Loop: Header=BB178_6 Depth=1
	v_cmp_eq_u32_e32 vcc, v2, v11
	s_and_b64 s[38:39], s[0:1], vcc
	s_and_saveexec_b64 s[36:37], s[38:39]
	s_cbranch_execz .LBB178_4
; %bb.10:                               ;   in Loop: Header=BB178_6 Depth=1
	global_load_dwordx2 v[4:5], v[0:1], off
	s_waitcnt vmcnt(0)
	v_cmp_gt_f32_e32 vcc, 0, v5
	v_cndmask_b32_e64 v6, v5, -v5, vcc
	v_cmp_gt_f32_e32 vcc, 0, v4
	v_cndmask_b32_e64 v7, v4, -v4, vcc
	v_cmp_ngt_f32_e32 vcc, v7, v6
                                        ; implicit-def: $vgpr6_vgpr7
	s_and_saveexec_b64 s[38:39], vcc
	s_xor_b64 s[38:39], exec, s[38:39]
	s_cbranch_execz .LBB178_12
; %bb.11:                               ;   in Loop: Header=BB178_6 Depth=1
	v_div_scale_f32 v6, s[40:41], v5, v5, v4
	v_rcp_f32_e32 v7, v6
	v_div_scale_f32 v12, vcc, v4, v5, v4
	v_fma_f32 v13, -v6, v7, 1.0
	v_fmac_f32_e32 v7, v13, v7
	v_mul_f32_e32 v13, v12, v7
	v_fma_f32 v14, -v6, v13, v12
	v_fmac_f32_e32 v13, v14, v7
	v_fma_f32 v6, -v6, v13, v12
	v_div_fmas_f32 v6, v6, v7, v13
	v_div_fixup_f32 v6, v6, v5, v4
	v_fmac_f32_e32 v5, v4, v6
	v_div_scale_f32 v4, s[40:41], v5, v5, 1.0
	v_rcp_f32_e32 v7, v4
	v_fma_f32 v12, -v4, v7, 1.0
	v_fmac_f32_e32 v7, v12, v7
	v_div_scale_f32 v12, vcc, 1.0, v5, 1.0
	v_mul_f32_e32 v13, v12, v7
	v_fma_f32 v14, -v4, v13, v12
	v_fmac_f32_e32 v13, v14, v7
	v_fma_f32 v4, -v4, v13, v12
	v_div_fmas_f32 v4, v4, v7, v13
	v_div_fixup_f32 v4, v4, v5, 1.0
	v_mul_f32_e32 v6, v6, v4
	v_xor_b32_e32 v7, 0x80000000, v4
                                        ; implicit-def: $vgpr4_vgpr5
.LBB178_12:                             ;   in Loop: Header=BB178_6 Depth=1
	s_andn2_saveexec_b64 s[38:39], s[38:39]
	s_cbranch_execz .LBB178_3
; %bb.13:                               ;   in Loop: Header=BB178_6 Depth=1
	v_div_scale_f32 v6, s[40:41], v4, v4, v5
	v_rcp_f32_e32 v7, v6
	v_div_scale_f32 v12, vcc, v5, v4, v5
	v_fma_f32 v13, -v6, v7, 1.0
	v_fmac_f32_e32 v7, v13, v7
	v_mul_f32_e32 v13, v12, v7
	v_fma_f32 v14, -v6, v13, v12
	v_fmac_f32_e32 v13, v14, v7
	v_fma_f32 v6, -v6, v13, v12
	v_div_fmas_f32 v6, v6, v7, v13
	v_div_fixup_f32 v7, v6, v4, v5
	v_fmac_f32_e32 v4, v5, v7
	v_div_scale_f32 v5, s[40:41], v4, v4, 1.0
	v_rcp_f32_e32 v6, v5
	v_fma_f32 v12, -v5, v6, 1.0
	v_fmac_f32_e32 v6, v12, v6
	v_div_scale_f32 v12, vcc, 1.0, v4, 1.0
	v_mul_f32_e32 v13, v12, v6
	v_fma_f32 v14, -v5, v13, v12
	v_fmac_f32_e32 v13, v14, v6
	v_fma_f32 v5, -v5, v13, v12
	v_div_fmas_f32 v5, v5, v6, v13
	v_div_fixup_f32 v6, v5, v4, 1.0
	v_mul_f32_e64 v7, v7, -v6
	s_branch .LBB178_3
.LBB178_14:
	s_load_dword s9, s[12:13], 0xc
	s_mov_b64 s[0:1], src_shared_base
	s_mov_b32 s15, s1
	s_mov_b32 s17, 0
	s_mov_b64 s[10:11], s[14:15]
	s_waitcnt lgkmcnt(0)
	s_and_b32 s16, s9, 0xffff
.LBB178_15:
	s_mul_i32 s7, s7, s6
	v_add_u32_e32 v0, s7, v8
	v_mov_b32_e32 v1, 0
	v_cmp_gt_i64_e32 vcc, s[30:31], v[0:1]
	s_and_saveexec_b64 s[0:1], vcc
	s_cbranch_execz .LBB178_43
; %bb.16:
	v_mov_b32_e32 v3, v1
	v_cmp_gt_i64_e32 vcc, s[28:29], v[2:3]
	s_and_b64 exec, exec, vcc
	s_cbranch_execz .LBB178_43
; %bb.17:
	s_mul_i32 s0, s8, s27
	s_mul_hi_u32 s1, s8, s26
	s_add_i32 s1, s1, s0
	s_mul_i32 s0, s8, s26
	s_lshl_b64 s[0:1], s[0:1], 3
	s_add_u32 s6, s20, s0
	s_addc_u32 s7, s21, s1
	s_lshl_b64 s[0:1], s[22:23], 3
	s_add_u32 s6, s6, s0
	s_addc_u32 s7, s7, s1
	v_mad_u64_u32 v[4:5], s[0:1], v0, s24, 0
	v_mov_b32_e32 v6, v5
	v_mad_u64_u32 v[0:1], s[0:1], v0, s25, v[6:7]
	v_mov_b32_e32 v5, v0
	v_lshlrev_b64 v[0:1], 3, v[4:5]
	v_mov_b32_e32 v4, s7
	v_add_co_u32_e32 v0, vcc, s6, v0
	v_addc_co_u32_e32 v1, vcc, v4, v1, vcc
	v_lshlrev_b32_e32 v9, 3, v2
	v_add_co_u32_e32 v0, vcc, v0, v9
	v_addc_co_u32_e32 v1, vcc, 0, v1, vcc
	global_load_dwordx2 v[6:7], v[0:1], off
	v_cmp_lt_u64_e64 s[0:1], s[28:29], 2
	s_add_u32 s6, s28, -1
	s_addc_u32 s7, s29, -1
	s_and_b64 vcc, exec, s[0:1]
	s_waitcnt vmcnt(0)
	v_pk_mul_f32 v[10:11], s[34:35], v[6:7]
	v_mul_f32_e32 v5, s35, v6
	v_sub_f32_e32 v4, v10, v11
	v_fmac_f32_e32 v5, s34, v7
	s_cbranch_vccnz .LBB178_34
; %bb.18:
	v_mad_u64_u32 v[6:7], s[0:1], v2, s16, v[2:3]
	v_mov_b32_e32 v10, v7
	v_mad_u64_u32 v[10:11], s[0:1], v2, s17, v[10:11]
	s_load_dword s4, s[4:5], 0x0
	v_mov_b32_e32 v7, v10
	v_lshlrev_b64 v[6:7], 3, v[6:7]
	v_mov_b32_e32 v10, s11
	v_add_co_u32_e32 v6, vcc, s10, v6
	v_addc_co_u32_e32 v7, vcc, v10, v7, vcc
	v_lshl_add_u32 v12, v8, 3, 0
	v_add_co_u32_e32 v8, vcc, s10, v9
	s_waitcnt lgkmcnt(0)
	s_cmpk_lg_i32 s4, 0x71
	v_addc_co_u32_e32 v9, vcc, 0, v10, vcc
	v_cndmask_b32_e64 v10, 0, 1, s[2:3]
	s_cselect_b64 s[4:5], -1, 0
	s_lshl_b64 s[8:9], s[16:17], 3
	s_mov_b64 s[12:13], 0
	v_cmp_ne_u32_e64 s[0:1], 1, v10
	s_branch .LBB178_21
.LBB178_19:                             ;   in Loop: Header=BB178_21 Depth=1
	ds_read_b64 v[14:15], v12
	s_waitcnt vmcnt(0) lgkmcnt(0)
	v_mul_f32_e32 v13, v15, v11
	v_mul_f32_e32 v15, v15, v10
	v_fma_f32 v10, v14, v10, -v13
	v_fmac_f32_e32 v15, v14, v11
	v_sub_f32_e32 v4, v4, v10
	v_sub_f32_e32 v5, v5, v15
.LBB178_20:                             ;   in Loop: Header=BB178_21 Depth=1
	s_or_b64 exec, exec, s[14:15]
	s_add_u32 s12, s12, 1
	s_addc_u32 s13, s13, 0
	v_mov_b32_e32 v10, s9
	v_add_co_u32_e32 v8, vcc, s8, v8
	s_cmp_eq_u64 s[6:7], s[12:13]
	v_addc_co_u32_e32 v9, vcc, v9, v10, vcc
	s_cbranch_scc1 .LBB178_34
.LBB178_21:                             ; =>This Inner Loop Header: Depth=1
	v_cmp_eq_u64_e32 vcc, s[12:13], v[2:3]
	s_barrier
	s_and_saveexec_b64 s[14:15], vcc
	s_cbranch_execz .LBB178_29
; %bb.22:                               ;   in Loop: Header=BB178_21 Depth=1
	flat_load_dwordx2 v[10:11], v[6:7]
	s_and_b64 vcc, exec, s[0:1]
	s_cbranch_vccnz .LBB178_28
; %bb.23:                               ;   in Loop: Header=BB178_21 Depth=1
	s_waitcnt vmcnt(0) lgkmcnt(0)
	v_cmp_gt_f32_e32 vcc, 0, v10
	v_cndmask_b32_e64 v13, v10, -v10, vcc
	v_cmp_gt_f32_e32 vcc, 0, v11
	v_cndmask_b32_e64 v14, v11, -v11, vcc
	v_cmp_ngt_f32_e32 vcc, v13, v14
	s_and_saveexec_b64 s[18:19], vcc
	s_xor_b64 s[18:19], exec, s[18:19]
	s_cbranch_execz .LBB178_25
; %bb.24:                               ;   in Loop: Header=BB178_21 Depth=1
	v_div_scale_f32 v13, s[20:21], v11, v11, v10
	v_rcp_f32_e32 v14, v13
	v_div_scale_f32 v15, vcc, v10, v11, v10
	v_fma_f32 v16, -v13, v14, 1.0
	v_fmac_f32_e32 v14, v16, v14
	v_mul_f32_e32 v16, v15, v14
	v_fma_f32 v17, -v13, v16, v15
	v_fmac_f32_e32 v16, v17, v14
	v_fma_f32 v13, -v13, v16, v15
	v_div_fmas_f32 v13, v13, v14, v16
	v_div_fixup_f32 v13, v13, v11, v10
	v_fmac_f32_e32 v11, v10, v13
	v_div_scale_f32 v10, s[20:21], v11, v11, 1.0
	v_rcp_f32_e32 v14, v10
	v_fma_f32 v15, -v10, v14, 1.0
	v_fmac_f32_e32 v14, v15, v14
	v_div_scale_f32 v15, vcc, 1.0, v11, 1.0
	v_mul_f32_e32 v16, v15, v14
	v_fma_f32 v17, -v10, v16, v15
	v_fmac_f32_e32 v16, v17, v14
	v_fma_f32 v10, -v10, v16, v15
	v_div_fmas_f32 v10, v10, v14, v16
	v_div_fixup_f32 v11, v10, v11, 1.0
	v_mul_f32_e32 v10, v13, v11
	v_xor_b32_e32 v11, 0x80000000, v11
.LBB178_25:                             ;   in Loop: Header=BB178_21 Depth=1
	s_andn2_saveexec_b64 s[18:19], s[18:19]
	s_cbranch_execz .LBB178_27
; %bb.26:                               ;   in Loop: Header=BB178_21 Depth=1
	v_div_scale_f32 v13, s[20:21], v10, v10, v11
	v_rcp_f32_e32 v14, v13
	v_div_scale_f32 v15, vcc, v11, v10, v11
	v_fma_f32 v16, -v13, v14, 1.0
	v_fmac_f32_e32 v14, v16, v14
	v_mul_f32_e32 v16, v15, v14
	v_fma_f32 v17, -v13, v16, v15
	v_fmac_f32_e32 v16, v17, v14
	v_fma_f32 v13, -v13, v16, v15
	v_div_fmas_f32 v13, v13, v14, v16
	v_div_fixup_f32 v13, v13, v10, v11
	v_fmac_f32_e32 v10, v11, v13
	v_div_scale_f32 v11, s[20:21], v10, v10, 1.0
	v_rcp_f32_e32 v14, v11
	v_fma_f32 v15, -v11, v14, 1.0
	v_fmac_f32_e32 v14, v15, v14
	v_div_scale_f32 v15, vcc, 1.0, v10, 1.0
	v_mul_f32_e32 v16, v15, v14
	v_fma_f32 v17, -v11, v16, v15
	v_fmac_f32_e32 v16, v17, v14
	v_fma_f32 v11, -v11, v16, v15
	v_div_fmas_f32 v11, v11, v14, v16
	v_div_fixup_f32 v10, v11, v10, 1.0
	v_mul_f32_e64 v11, v13, -v10
.LBB178_27:                             ;   in Loop: Header=BB178_21 Depth=1
	s_or_b64 exec, exec, s[18:19]
.LBB178_28:                             ;   in Loop: Header=BB178_21 Depth=1
	s_waitcnt vmcnt(0) lgkmcnt(0)
	v_mul_f32_e32 v13, v5, v11
	v_mul_f32_e32 v15, v4, v11
	v_fma_f32 v14, v4, v10, -v13
	v_fmac_f32_e32 v15, v5, v10
	v_mov_b32_e32 v5, v15
	v_mov_b32_e32 v4, v14
	ds_write_b64 v12, v[14:15]
.LBB178_29:                             ;   in Loop: Header=BB178_21 Depth=1
	s_or_b64 exec, exec, s[14:15]
	v_cmp_lt_u64_e32 vcc, s[12:13], v[2:3]
	s_waitcnt lgkmcnt(0)
	s_barrier
	s_and_saveexec_b64 s[14:15], vcc
	s_cbranch_execz .LBB178_20
; %bb.30:                               ;   in Loop: Header=BB178_21 Depth=1
	s_and_b64 vcc, exec, s[4:5]
	s_cbranch_vccz .LBB178_32
; %bb.31:                               ;   in Loop: Header=BB178_21 Depth=1
	flat_load_dwordx2 v[10:11], v[8:9]
	s_cbranch_execnz .LBB178_19
	s_branch .LBB178_33
.LBB178_32:                             ;   in Loop: Header=BB178_21 Depth=1
                                        ; implicit-def: $vgpr10
.LBB178_33:                             ;   in Loop: Header=BB178_21 Depth=1
	s_waitcnt vmcnt(0) lgkmcnt(0)
	flat_load_dwordx2 v[10:11], v[8:9]
	s_waitcnt vmcnt(0) lgkmcnt(0)
	v_xor_b32_e32 v11, 0x80000000, v11
	s_branch .LBB178_19
.LBB178_34:
	v_cmp_eq_u64_e32 vcc, s[6:7], v[2:3]
	s_and_saveexec_b64 s[0:1], vcc
	s_cbranch_execz .LBB178_42
; %bb.35:
	v_mad_u64_u32 v[6:7], s[4:5], v2, s16, v[2:3]
	v_mov_b32_e32 v8, v7
	v_mad_u64_u32 v[2:3], s[4:5], v2, s17, v[8:9]
	v_mov_b32_e32 v7, v2
	v_lshlrev_b64 v[2:3], 3, v[6:7]
	v_mov_b32_e32 v6, s11
	v_add_co_u32_e32 v2, vcc, s10, v2
	v_addc_co_u32_e32 v3, vcc, v6, v3, vcc
	flat_load_dwordx2 v[2:3], v[2:3]
	s_andn2_b64 vcc, exec, s[2:3]
	s_cbranch_vccnz .LBB178_41
; %bb.36:
	s_waitcnt vmcnt(0) lgkmcnt(0)
	v_cmp_gt_f32_e32 vcc, 0, v2
	v_cndmask_b32_e64 v6, v2, -v2, vcc
	v_cmp_gt_f32_e32 vcc, 0, v3
	v_cndmask_b32_e64 v7, v3, -v3, vcc
	v_cmp_ngt_f32_e32 vcc, v6, v7
	s_and_saveexec_b64 s[2:3], vcc
	s_xor_b64 s[2:3], exec, s[2:3]
	s_cbranch_execz .LBB178_38
; %bb.37:
	v_div_scale_f32 v6, s[4:5], v3, v3, v2
	v_rcp_f32_e32 v7, v6
	v_div_scale_f32 v8, vcc, v2, v3, v2
	v_fma_f32 v9, -v6, v7, 1.0
	v_fmac_f32_e32 v7, v9, v7
	v_mul_f32_e32 v9, v8, v7
	v_fma_f32 v10, -v6, v9, v8
	v_fmac_f32_e32 v9, v10, v7
	v_fma_f32 v6, -v6, v9, v8
	v_div_fmas_f32 v6, v6, v7, v9
	v_div_fixup_f32 v6, v6, v3, v2
	v_fmac_f32_e32 v3, v2, v6
	v_div_scale_f32 v2, s[4:5], v3, v3, 1.0
	v_rcp_f32_e32 v7, v2
	v_fma_f32 v8, -v2, v7, 1.0
	v_fmac_f32_e32 v7, v8, v7
	v_div_scale_f32 v8, vcc, 1.0, v3, 1.0
	v_mul_f32_e32 v9, v8, v7
	v_fma_f32 v10, -v2, v9, v8
	v_fmac_f32_e32 v9, v10, v7
	v_fma_f32 v2, -v2, v9, v8
	v_div_fmas_f32 v2, v2, v7, v9
	v_div_fixup_f32 v3, v2, v3, 1.0
	v_mul_f32_e32 v2, v6, v3
	v_xor_b32_e32 v3, 0x80000000, v3
.LBB178_38:
	s_andn2_saveexec_b64 s[2:3], s[2:3]
	s_cbranch_execz .LBB178_40
; %bb.39:
	v_div_scale_f32 v6, s[4:5], v2, v2, v3
	v_rcp_f32_e32 v7, v6
	v_div_scale_f32 v8, vcc, v3, v2, v3
	v_fma_f32 v9, -v6, v7, 1.0
	v_fmac_f32_e32 v7, v9, v7
	v_mul_f32_e32 v9, v8, v7
	v_fma_f32 v10, -v6, v9, v8
	v_fmac_f32_e32 v9, v10, v7
	v_fma_f32 v6, -v6, v9, v8
	v_div_fmas_f32 v6, v6, v7, v9
	v_div_fixup_f32 v6, v6, v2, v3
	v_fmac_f32_e32 v2, v3, v6
	v_div_scale_f32 v3, s[4:5], v2, v2, 1.0
	v_rcp_f32_e32 v7, v3
	v_fma_f32 v8, -v3, v7, 1.0
	v_fmac_f32_e32 v7, v8, v7
	v_div_scale_f32 v8, vcc, 1.0, v2, 1.0
	v_mul_f32_e32 v9, v8, v7
	v_fma_f32 v10, -v3, v9, v8
	v_fmac_f32_e32 v9, v10, v7
	v_fma_f32 v3, -v3, v9, v8
	v_div_fmas_f32 v3, v3, v7, v9
	v_div_fixup_f32 v2, v3, v2, 1.0
	v_mul_f32_e64 v3, v6, -v2
.LBB178_40:
	s_or_b64 exec, exec, s[2:3]
.LBB178_41:
	s_waitcnt vmcnt(0) lgkmcnt(0)
	v_mul_f32_e32 v6, v5, v3
	v_fma_f32 v6, v4, v2, -v6
	v_mul_f32_e32 v5, v5, v2
	v_fmac_f32_e32 v5, v4, v3
	v_mov_b32_e32 v4, v6
.LBB178_42:
	s_or_b64 exec, exec, s[0:1]
	global_store_dwordx2 v[0:1], v[4:5], off
.LBB178_43:
	s_endpgm
	.section	.rodata,"a",@progbits
	.p2align	6, 0x0
	.amdhsa_kernel _ZL39rocblas_trsm_block_forward_substitutionI19rocblas_complex_numIfES1_PKS1_PS1_Lb0ELb0ELb0EEv18rocblas_operation_llT0_T1_lllT2_lllib
		.amdhsa_group_segment_fixed_size 0
		.amdhsa_private_segment_fixed_size 0
		.amdhsa_kernarg_size 360
		.amdhsa_user_sgpr_count 6
		.amdhsa_user_sgpr_private_segment_buffer 1
		.amdhsa_user_sgpr_dispatch_ptr 0
		.amdhsa_user_sgpr_queue_ptr 0
		.amdhsa_user_sgpr_kernarg_segment_ptr 1
		.amdhsa_user_sgpr_dispatch_id 0
		.amdhsa_user_sgpr_flat_scratch_init 0
		.amdhsa_user_sgpr_kernarg_preload_length 0
		.amdhsa_user_sgpr_kernarg_preload_offset 0
		.amdhsa_user_sgpr_private_segment_size 0
		.amdhsa_uses_dynamic_stack 0
		.amdhsa_system_sgpr_private_segment_wavefront_offset 0
		.amdhsa_system_sgpr_workgroup_id_x 1
		.amdhsa_system_sgpr_workgroup_id_y 1
		.amdhsa_system_sgpr_workgroup_id_z 1
		.amdhsa_system_sgpr_workgroup_info 0
		.amdhsa_system_vgpr_workitem_id 1
		.amdhsa_next_free_vgpr 18
		.amdhsa_next_free_sgpr 42
		.amdhsa_accum_offset 20
		.amdhsa_reserve_vcc 1
		.amdhsa_reserve_flat_scratch 0
		.amdhsa_float_round_mode_32 0
		.amdhsa_float_round_mode_16_64 0
		.amdhsa_float_denorm_mode_32 3
		.amdhsa_float_denorm_mode_16_64 3
		.amdhsa_dx10_clamp 1
		.amdhsa_ieee_mode 1
		.amdhsa_fp16_overflow 0
		.amdhsa_tg_split 0
		.amdhsa_exception_fp_ieee_invalid_op 0
		.amdhsa_exception_fp_denorm_src 0
		.amdhsa_exception_fp_ieee_div_zero 0
		.amdhsa_exception_fp_ieee_overflow 0
		.amdhsa_exception_fp_ieee_underflow 0
		.amdhsa_exception_fp_ieee_inexact 0
		.amdhsa_exception_int_div_zero 0
	.end_amdhsa_kernel
	.section	.text._ZL39rocblas_trsm_block_forward_substitutionI19rocblas_complex_numIfES1_PKS1_PS1_Lb0ELb0ELb0EEv18rocblas_operation_llT0_T1_lllT2_lllib,"axG",@progbits,_ZL39rocblas_trsm_block_forward_substitutionI19rocblas_complex_numIfES1_PKS1_PS1_Lb0ELb0ELb0EEv18rocblas_operation_llT0_T1_lllT2_lllib,comdat
.Lfunc_end178:
	.size	_ZL39rocblas_trsm_block_forward_substitutionI19rocblas_complex_numIfES1_PKS1_PS1_Lb0ELb0ELb0EEv18rocblas_operation_llT0_T1_lllT2_lllib, .Lfunc_end178-_ZL39rocblas_trsm_block_forward_substitutionI19rocblas_complex_numIfES1_PKS1_PS1_Lb0ELb0ELb0EEv18rocblas_operation_llT0_T1_lllT2_lllib
                                        ; -- End function
	.section	.AMDGPU.csdata,"",@progbits
; Kernel info:
; codeLenInByte = 2288
; NumSgprs: 46
; NumVgprs: 18
; NumAgprs: 0
; TotalNumVgprs: 18
; ScratchSize: 0
; MemoryBound: 0
; FloatMode: 240
; IeeeMode: 1
; LDSByteSize: 0 bytes/workgroup (compile time only)
; SGPRBlocks: 5
; VGPRBlocks: 2
; NumSGPRsForWavesPerEU: 46
; NumVGPRsForWavesPerEU: 18
; AccumOffset: 20
; Occupancy: 8
; WaveLimiterHint : 1
; COMPUTE_PGM_RSRC2:SCRATCH_EN: 0
; COMPUTE_PGM_RSRC2:USER_SGPR: 6
; COMPUTE_PGM_RSRC2:TRAP_HANDLER: 0
; COMPUTE_PGM_RSRC2:TGID_X_EN: 1
; COMPUTE_PGM_RSRC2:TGID_Y_EN: 1
; COMPUTE_PGM_RSRC2:TGID_Z_EN: 1
; COMPUTE_PGM_RSRC2:TIDIG_COMP_CNT: 1
; COMPUTE_PGM_RSRC3_GFX90A:ACCUM_OFFSET: 4
; COMPUTE_PGM_RSRC3_GFX90A:TG_SPLIT: 0
	.section	.text._ZL40rocblas_trsm_block_backward_substitutionI19rocblas_complex_numIfES1_PKS1_PS1_Lb0ELb0ELb0EEv18rocblas_operation_llT0_T1_lllT2_lllib,"axG",@progbits,_ZL40rocblas_trsm_block_backward_substitutionI19rocblas_complex_numIfES1_PKS1_PS1_Lb0ELb0ELb0EEv18rocblas_operation_llT0_T1_lllT2_lllib,comdat
	.globl	_ZL40rocblas_trsm_block_backward_substitutionI19rocblas_complex_numIfES1_PKS1_PS1_Lb0ELb0ELb0EEv18rocblas_operation_llT0_T1_lllT2_lllib ; -- Begin function _ZL40rocblas_trsm_block_backward_substitutionI19rocblas_complex_numIfES1_PKS1_PS1_Lb0ELb0ELb0EEv18rocblas_operation_llT0_T1_lllT2_lllib
	.p2align	8
	.type	_ZL40rocblas_trsm_block_backward_substitutionI19rocblas_complex_numIfES1_PKS1_PS1_Lb0ELb0ELb0EEv18rocblas_operation_llT0_T1_lllT2_lllib,@function
_ZL40rocblas_trsm_block_backward_substitutionI19rocblas_complex_numIfES1_PKS1_PS1_Lb0ELb0ELb0EEv18rocblas_operation_llT0_T1_lllT2_lllib: ; @_ZL40rocblas_trsm_block_backward_substitutionI19rocblas_complex_numIfES1_PKS1_PS1_Lb0ELb0ELb0EEv18rocblas_operation_llT0_T1_lllT2_lllib
; %bb.0:
	s_load_dwordx16 s[12:27], s[4:5], 0x20
	s_load_dword s0, s[4:5], 0x64
	s_load_dwordx4 s[28:31], s[4:5], 0x8
	s_load_dwordx2 s[36:37], s[4:5], 0x18
	s_load_dword s6, s[4:5], 0x74
	v_and_b32_e32 v2, 0x3ff, v0
	s_waitcnt lgkmcnt(0)
	s_bitcmp1_b32 s0, 0
	s_cselect_b64 s[0:1], -1, 0
	s_xor_b64 s[34:35], s[0:1], -1
	s_mul_i32 s0, s8, s19
	s_mul_hi_u32 s1, s8, s18
	s_add_i32 s1, s1, s0
	s_mul_i32 s0, s8, s18
	s_lshl_b64 s[0:1], s[0:1], 3
	s_add_u32 s2, s12, s0
	s_addc_u32 s3, s13, s1
	s_lshl_b64 s[0:1], s[14:15], 3
	s_add_u32 s2, s2, s0
	s_addc_u32 s3, s3, s1
	s_add_u32 s12, s4, 0x68
	v_bfe_u32 v10, v0, 10, 10
	s_addc_u32 s13, s5, 0
	s_lshr_b32 s6, s6, 16
	s_mov_b64 s[0:1], 1
	s_and_b64 vcc, exec, s[34:35]
	s_cbranch_vccnz .LBB179_15
; %bb.1:
	s_lshl_b32 s0, s6, 3
	s_add_i32 s14, s0, 0
	v_cmp_lt_i64_e64 s[0:1], s[28:29], 1
	s_mov_b64 s[10:11], 1
	s_and_b64 vcc, exec, s[0:1]
	s_cbranch_vccnz .LBB179_16
; %bb.2:
	v_mad_u64_u32 v[0:1], s[38:39], v2, s16, 0
	v_mov_b32_e32 v4, v1
	v_mad_u64_u32 v[4:5], s[16:17], v2, s17, v[4:5]
	v_mov_b32_e32 v1, v4
	v_mov_b32_e32 v3, 0
	v_lshlrev_b64 v[0:1], 3, v[0:1]
	v_cmp_le_u64_e64 s[18:19], s[28:29], v[2:3]
	v_cmp_gt_u64_e64 s[0:1], s[28:29], v[2:3]
	v_mov_b32_e32 v4, s3
	v_add_co_u32_e32 v3, vcc, s2, v0
	v_lshlrev_b32_e32 v6, 3, v2
	v_addc_co_u32_e32 v12, vcc, v4, v1, vcc
	v_add_co_u32_e32 v0, vcc, v3, v6
	v_add_u32_e32 v11, s14, v6
	v_addc_co_u32_e32 v1, vcc, 0, v12, vcc
	s_xor_b64 s[16:17], s[18:19], -1
	s_mov_b32 s38, s6
	v_mov_b32_e32 v4, v10
	s_branch .LBB179_5
.LBB179_3:                              ;   in Loop: Header=BB179_5 Depth=1
	s_or_b64 exec, exec, s[40:41]
	s_load_dword s9, s[12:13], 0xc
	s_waitcnt lgkmcnt(0)
	s_and_b32 s9, s9, 0xffff
	v_mul_u32_u24_e32 v5, s9, v2
	v_lshl_add_u32 v5, v5, 3, v11
	ds_write_b64 v5, v[8:9]
.LBB179_4:                              ;   in Loop: Header=BB179_5 Depth=1
	s_or_b64 exec, exec, s[2:3]
	s_ashr_i32 s39, s38, 31
	v_pk_mov_b32 v[6:7], s[28:29], s[28:29] op_sel:[0,1]
	v_cmp_ge_i64_e32 vcc, s[38:39], v[6:7]
	v_add_u32_e32 v4, s6, v4
	s_add_i32 s38, s38, s6
	s_cbranch_vccnz .LBB179_16
.LBB179_5:                              ; =>This Inner Loop Header: Depth=1
	s_mov_b64 s[42:43], s[18:19]
	s_and_saveexec_b64 s[40:41], s[0:1]
	s_cbranch_execz .LBB179_9
; %bb.6:                                ;   in Loop: Header=BB179_5 Depth=1
	v_ashrrev_i32_e32 v5, 31, v4
	v_cmp_gt_i64_e32 vcc, s[28:29], v[4:5]
	v_cmp_lt_i32_e64 s[2:3], v2, v4
	s_and_b64 s[44:45], s[2:3], vcc
	s_mov_b64 s[42:43], -1
	s_and_saveexec_b64 s[2:3], s[44:45]
	s_cbranch_execz .LBB179_8
; %bb.7:                                ;   in Loop: Header=BB179_5 Depth=1
	v_lshlrev_b64 v[6:7], 3, v[4:5]
	v_add_co_u32_e32 v6, vcc, v3, v6
	v_addc_co_u32_e32 v7, vcc, v12, v7, vcc
	global_load_dwordx2 v[6:7], v[6:7], off
	s_load_dword s9, s[12:13], 0xc
	s_xor_b64 s[42:43], exec, -1
	s_waitcnt lgkmcnt(0)
	s_and_b32 s9, s9, 0xffff
	v_mul_lo_u32 v5, v4, s9
	v_lshl_add_u32 v5, v5, 3, v11
	s_waitcnt vmcnt(0)
	ds_write_b64 v5, v[6:7]
.LBB179_8:                              ;   in Loop: Header=BB179_5 Depth=1
	s_or_b64 exec, exec, s[2:3]
	s_andn2_b64 s[2:3], s[18:19], exec
	s_and_b64 s[42:43], s[42:43], exec
	s_or_b64 s[42:43], s[2:3], s[42:43]
.LBB179_9:                              ;   in Loop: Header=BB179_5 Depth=1
	s_or_b64 exec, exec, s[40:41]
	s_and_saveexec_b64 s[2:3], s[42:43]
	s_cbranch_execz .LBB179_4
; %bb.10:                               ;   in Loop: Header=BB179_5 Depth=1
	v_cmp_eq_u32_e32 vcc, v2, v4
	s_and_b64 s[40:41], s[16:17], vcc
	s_and_b64 exec, exec, s[40:41]
	s_cbranch_execz .LBB179_4
; %bb.11:                               ;   in Loop: Header=BB179_5 Depth=1
	global_load_dwordx2 v[6:7], v[0:1], off
	s_waitcnt vmcnt(0)
	v_cmp_gt_f32_e32 vcc, 0, v7
	v_cndmask_b32_e64 v5, v7, -v7, vcc
	v_cmp_gt_f32_e32 vcc, 0, v6
	v_cndmask_b32_e64 v8, v6, -v6, vcc
	v_cmp_ngt_f32_e32 vcc, v8, v5
                                        ; implicit-def: $vgpr8_vgpr9
	s_and_saveexec_b64 s[40:41], vcc
	s_xor_b64 s[40:41], exec, s[40:41]
	s_cbranch_execz .LBB179_13
; %bb.12:                               ;   in Loop: Header=BB179_5 Depth=1
	v_div_scale_f32 v5, s[42:43], v7, v7, v6
	v_rcp_f32_e32 v8, v5
	v_div_scale_f32 v9, vcc, v6, v7, v6
	v_fma_f32 v13, -v5, v8, 1.0
	v_fmac_f32_e32 v8, v13, v8
	v_mul_f32_e32 v13, v9, v8
	v_fma_f32 v14, -v5, v13, v9
	v_fmac_f32_e32 v13, v14, v8
	v_fma_f32 v5, -v5, v13, v9
	v_div_fmas_f32 v5, v5, v8, v13
	v_div_fixup_f32 v5, v5, v7, v6
	v_fmac_f32_e32 v7, v6, v5
	v_div_scale_f32 v6, s[42:43], v7, v7, 1.0
	v_rcp_f32_e32 v8, v6
	v_fma_f32 v9, -v6, v8, 1.0
	v_fmac_f32_e32 v8, v9, v8
	v_div_scale_f32 v9, vcc, 1.0, v7, 1.0
	v_mul_f32_e32 v13, v9, v8
	v_fma_f32 v14, -v6, v13, v9
	v_fmac_f32_e32 v13, v14, v8
	v_fma_f32 v6, -v6, v13, v9
	v_div_fmas_f32 v6, v6, v8, v13
	v_div_fixup_f32 v6, v6, v7, 1.0
	v_mul_f32_e32 v8, v5, v6
	v_xor_b32_e32 v9, 0x80000000, v6
                                        ; implicit-def: $vgpr6_vgpr7
.LBB179_13:                             ;   in Loop: Header=BB179_5 Depth=1
	s_andn2_saveexec_b64 s[40:41], s[40:41]
	s_cbranch_execz .LBB179_3
; %bb.14:                               ;   in Loop: Header=BB179_5 Depth=1
	v_div_scale_f32 v5, s[42:43], v6, v6, v7
	v_rcp_f32_e32 v8, v5
	v_div_scale_f32 v9, vcc, v7, v6, v7
	v_fma_f32 v13, -v5, v8, 1.0
	v_fmac_f32_e32 v8, v13, v8
	v_mul_f32_e32 v13, v9, v8
	v_fma_f32 v14, -v5, v13, v9
	v_fmac_f32_e32 v13, v14, v8
	v_fma_f32 v5, -v5, v13, v9
	v_div_fmas_f32 v5, v5, v8, v13
	v_div_fixup_f32 v5, v5, v6, v7
	v_fmac_f32_e32 v6, v7, v5
	v_div_scale_f32 v7, s[42:43], v6, v6, 1.0
	v_rcp_f32_e32 v8, v7
	v_fma_f32 v9, -v7, v8, 1.0
	v_fmac_f32_e32 v8, v9, v8
	v_div_scale_f32 v9, vcc, 1.0, v6, 1.0
	v_mul_f32_e32 v13, v9, v8
	v_fma_f32 v14, -v7, v13, v9
	v_fmac_f32_e32 v13, v14, v8
	v_fma_f32 v7, -v7, v13, v9
	v_div_fmas_f32 v7, v7, v8, v13
	v_div_fixup_f32 v8, v7, v6, 1.0
	v_mul_f32_e64 v9, v5, -v8
	s_branch .LBB179_3
.LBB179_15:
	s_mov_b32 s10, s16
	s_mov_b32 s11, s17
	s_branch .LBB179_17
.LBB179_16:
	s_load_dword s0, s[12:13], 0xc
	s_mov_b64 s[2:3], src_shared_base
	s_mov_b32 s15, s3
	s_mov_b32 s1, 0
	s_mov_b64 s[2:3], s[14:15]
	s_waitcnt lgkmcnt(0)
	s_and_b32 s0, s0, 0xffff
.LBB179_17:
	s_mul_i32 s7, s7, s6
	v_add_u32_e32 v0, s7, v10
	v_mov_b32_e32 v1, 0
	v_cmp_gt_i64_e32 vcc, s[30:31], v[0:1]
	s_and_saveexec_b64 s[6:7], vcc
	s_cbranch_execz .LBB179_46
; %bb.18:
	v_mov_b32_e32 v3, v1
	v_cmp_gt_i64_e32 vcc, s[28:29], v[2:3]
	s_and_b64 exec, exec, vcc
	s_cbranch_execz .LBB179_46
; %bb.19:
	s_mul_i32 s6, s8, s27
	s_mul_hi_u32 s7, s8, s26
	s_add_i32 s7, s7, s6
	s_mul_i32 s6, s8, s26
	s_lshl_b64 s[6:7], s[6:7], 3
	s_add_u32 s8, s20, s6
	s_addc_u32 s9, s21, s7
	s_lshl_b64 s[6:7], s[22:23], 3
	s_add_u32 s8, s8, s6
	s_addc_u32 s9, s9, s7
	v_mad_u64_u32 v[4:5], s[6:7], v2, s24, 0
	v_mov_b32_e32 v6, v5
	v_mad_u64_u32 v[6:7], s[6:7], v2, s25, v[6:7]
	v_mov_b32_e32 v5, v6
	v_lshlrev_b64 v[4:5], 3, v[4:5]
	v_mov_b32_e32 v6, s9
	v_add_co_u32_e32 v4, vcc, s8, v4
	v_addc_co_u32_e32 v5, vcc, v6, v5, vcc
	v_lshlrev_b64 v[0:1], 3, v[0:1]
	v_add_co_u32_e32 v0, vcc, v4, v0
	v_addc_co_u32_e32 v1, vcc, v5, v1, vcc
	global_load_dwordx2 v[6:7], v[0:1], off
	v_cmp_lt_u64_e64 s[6:7], s[28:29], 2
	s_and_b64 vcc, exec, s[6:7]
	s_waitcnt vmcnt(0)
	v_pk_mul_f32 v[8:9], s[36:37], v[6:7]
	v_mul_f32_e32 v5, s37, v6
	v_sub_f32_e32 v4, v8, v9
	v_fmac_f32_e32 v5, s36, v7
	s_cbranch_vccnz .LBB179_37
; %bb.20:
	s_load_dword s4, s[4:5], 0x0
	v_lshl_add_u32 v12, v10, 3, 0
	s_waitcnt lgkmcnt(0)
	s_cmpk_lg_i32 s4, 0x71
	s_cselect_b64 s[4:5], -1, 0
	s_add_u32 s6, s0, s10
	v_mad_u64_u32 v[6:7], s[6:7], s6, v2, 0
	s_addc_u32 s8, s1, s11
	v_mov_b32_e32 v8, v7
	v_mad_u64_u32 v[8:9], s[6:7], s8, v2, v[8:9]
	v_mov_b32_e32 v7, v8
	v_lshlrev_b64 v[6:7], 3, v[6:7]
	v_mov_b32_e32 v8, s3
	v_add_co_u32_e32 v6, vcc, s2, v6
	v_addc_co_u32_e32 v7, vcc, v8, v7, vcc
	v_mad_u64_u32 v[8:9], s[6:7], s10, v2, 0
	v_mov_b32_e32 v10, v9
	v_mad_u64_u32 v[10:11], s[6:7], s11, v2, v[10:11]
	s_add_u32 s6, s28, -1
	s_addc_u32 s7, s29, -1
	s_mul_i32 s8, s0, s7
	s_mul_hi_u32 s9, s0, s6
	s_add_i32 s9, s9, s8
	s_mul_i32 s8, s0, s6
	v_mov_b32_e32 v9, v10
	s_lshl_b64 s[8:9], s[8:9], 3
	v_lshlrev_b64 v[8:9], 3, v[8:9]
	s_add_u32 s8, s2, s8
	s_addc_u32 s9, s3, s9
	v_add_co_u32_e32 v8, vcc, s8, v8
	s_lshl_b32 s8, s0, 3
	v_mov_b32_e32 v10, s9
	s_sub_u32 s14, 0, s8
	v_addc_co_u32_e32 v9, vcc, v10, v9, vcc
	s_subb_u32 s15, 0, 0
.LBB179_21:                             ; =>This Inner Loop Header: Depth=1
	v_cmp_eq_u64_e32 vcc, s[6:7], v[2:3]
	s_barrier
	s_and_saveexec_b64 s[8:9], vcc
	s_cbranch_execz .LBB179_29
; %bb.22:                               ;   in Loop: Header=BB179_21 Depth=1
	flat_load_dwordx2 v[10:11], v[6:7]
	s_andn2_b64 vcc, exec, s[34:35]
	s_cbranch_vccnz .LBB179_28
; %bb.23:                               ;   in Loop: Header=BB179_21 Depth=1
	s_waitcnt vmcnt(0) lgkmcnt(0)
	v_cmp_gt_f32_e32 vcc, 0, v10
	v_cndmask_b32_e64 v13, v10, -v10, vcc
	v_cmp_gt_f32_e32 vcc, 0, v11
	v_cndmask_b32_e64 v14, v11, -v11, vcc
	v_cmp_ngt_f32_e32 vcc, v13, v14
	s_and_saveexec_b64 s[12:13], vcc
	s_xor_b64 s[12:13], exec, s[12:13]
	s_cbranch_execz .LBB179_25
; %bb.24:                               ;   in Loop: Header=BB179_21 Depth=1
	v_div_scale_f32 v13, s[16:17], v11, v11, v10
	v_rcp_f32_e32 v14, v13
	v_div_scale_f32 v15, vcc, v10, v11, v10
	v_fma_f32 v16, -v13, v14, 1.0
	v_fmac_f32_e32 v14, v16, v14
	v_mul_f32_e32 v16, v15, v14
	v_fma_f32 v17, -v13, v16, v15
	v_fmac_f32_e32 v16, v17, v14
	v_fma_f32 v13, -v13, v16, v15
	v_div_fmas_f32 v13, v13, v14, v16
	v_div_fixup_f32 v13, v13, v11, v10
	v_fmac_f32_e32 v11, v10, v13
	v_div_scale_f32 v10, s[16:17], v11, v11, 1.0
	v_rcp_f32_e32 v14, v10
	v_fma_f32 v15, -v10, v14, 1.0
	v_fmac_f32_e32 v14, v15, v14
	v_div_scale_f32 v15, vcc, 1.0, v11, 1.0
	v_mul_f32_e32 v16, v15, v14
	v_fma_f32 v17, -v10, v16, v15
	v_fmac_f32_e32 v16, v17, v14
	v_fma_f32 v10, -v10, v16, v15
	v_div_fmas_f32 v10, v10, v14, v16
	v_div_fixup_f32 v11, v10, v11, 1.0
	v_mul_f32_e32 v10, v13, v11
	v_xor_b32_e32 v11, 0x80000000, v11
.LBB179_25:                             ;   in Loop: Header=BB179_21 Depth=1
	s_andn2_saveexec_b64 s[12:13], s[12:13]
	s_cbranch_execz .LBB179_27
; %bb.26:                               ;   in Loop: Header=BB179_21 Depth=1
	v_div_scale_f32 v13, s[16:17], v10, v10, v11
	v_rcp_f32_e32 v14, v13
	v_div_scale_f32 v15, vcc, v11, v10, v11
	v_fma_f32 v16, -v13, v14, 1.0
	v_fmac_f32_e32 v14, v16, v14
	v_mul_f32_e32 v16, v15, v14
	v_fma_f32 v17, -v13, v16, v15
	v_fmac_f32_e32 v16, v17, v14
	v_fma_f32 v13, -v13, v16, v15
	v_div_fmas_f32 v13, v13, v14, v16
	v_div_fixup_f32 v13, v13, v10, v11
	v_fmac_f32_e32 v10, v11, v13
	v_div_scale_f32 v11, s[16:17], v10, v10, 1.0
	v_rcp_f32_e32 v14, v11
	v_fma_f32 v15, -v11, v14, 1.0
	v_fmac_f32_e32 v14, v15, v14
	v_div_scale_f32 v15, vcc, 1.0, v10, 1.0
	v_mul_f32_e32 v16, v15, v14
	v_fma_f32 v17, -v11, v16, v15
	v_fmac_f32_e32 v16, v17, v14
	v_fma_f32 v11, -v11, v16, v15
	v_div_fmas_f32 v11, v11, v14, v16
	v_div_fixup_f32 v10, v11, v10, 1.0
	v_mul_f32_e64 v11, v13, -v10
.LBB179_27:                             ;   in Loop: Header=BB179_21 Depth=1
	s_or_b64 exec, exec, s[12:13]
.LBB179_28:                             ;   in Loop: Header=BB179_21 Depth=1
	s_waitcnt vmcnt(0) lgkmcnt(0)
	v_mul_f32_e32 v13, v5, v11
	v_mul_f32_e32 v15, v4, v11
	v_fma_f32 v14, v4, v10, -v13
	v_fmac_f32_e32 v15, v5, v10
	v_mov_b32_e32 v5, v15
	v_mov_b32_e32 v4, v14
	ds_write_b64 v12, v[14:15]
.LBB179_29:                             ;   in Loop: Header=BB179_21 Depth=1
	s_or_b64 exec, exec, s[8:9]
	v_cmp_gt_i64_e32 vcc, s[6:7], v[2:3]
	s_waitcnt lgkmcnt(0)
	s_barrier
	s_and_saveexec_b64 s[8:9], vcc
	s_cbranch_execz .LBB179_35
; %bb.30:                               ;   in Loop: Header=BB179_21 Depth=1
	s_and_b64 vcc, exec, s[4:5]
	s_cbranch_vccz .LBB179_32
; %bb.31:                               ;   in Loop: Header=BB179_21 Depth=1
	flat_load_dwordx2 v[10:11], v[8:9]
	s_cbranch_execz .LBB179_33
	s_branch .LBB179_34
.LBB179_32:                             ;   in Loop: Header=BB179_21 Depth=1
                                        ; implicit-def: $vgpr10
.LBB179_33:                             ;   in Loop: Header=BB179_21 Depth=1
	s_waitcnt vmcnt(0) lgkmcnt(0)
	flat_load_dwordx2 v[10:11], v[8:9]
	s_waitcnt vmcnt(0) lgkmcnt(0)
	v_xor_b32_e32 v11, 0x80000000, v11
.LBB179_34:                             ;   in Loop: Header=BB179_21 Depth=1
	ds_read_b64 v[14:15], v12
	s_waitcnt vmcnt(0) lgkmcnt(0)
	v_mul_f32_e32 v13, v15, v11
	v_mul_f32_e32 v15, v15, v10
	v_fma_f32 v10, v14, v10, -v13
	v_fmac_f32_e32 v15, v14, v11
	v_sub_f32_e32 v4, v4, v10
	v_sub_f32_e32 v5, v5, v15
.LBB179_35:                             ;   in Loop: Header=BB179_21 Depth=1
	s_or_b64 exec, exec, s[8:9]
	s_add_u32 s8, s6, -1
	s_addc_u32 s9, s7, -1
	s_add_u32 s6, s6, 1
	s_addc_u32 s7, s7, 0
	v_mov_b32_e32 v10, s15
	v_add_co_u32_e32 v8, vcc, s14, v8
	v_addc_co_u32_e32 v9, vcc, v9, v10, vcc
	v_cmp_lt_u64_e64 s[6:7], s[6:7], 3
	s_and_b64 vcc, exec, s[6:7]
	s_cbranch_vccnz .LBB179_37
; %bb.36:                               ;   in Loop: Header=BB179_21 Depth=1
	s_mov_b64 s[6:7], s[8:9]
	s_branch .LBB179_21
.LBB179_37:
	v_cmp_eq_u32_e32 vcc, 0, v2
	s_and_saveexec_b64 s[4:5], vcc
	s_cbranch_execz .LBB179_45
; %bb.38:
	s_add_u32 s0, s0, s10
	s_addc_u32 s6, s1, s11
	v_mad_u64_u32 v[6:7], s[0:1], s0, v2, 0
	v_mov_b32_e32 v8, v7
	v_mad_u64_u32 v[2:3], s[0:1], s6, v2, v[8:9]
	v_mov_b32_e32 v7, v2
	v_lshlrev_b64 v[2:3], 3, v[6:7]
	v_mov_b32_e32 v6, s3
	v_add_co_u32_e32 v2, vcc, s2, v2
	v_addc_co_u32_e32 v3, vcc, v6, v3, vcc
	flat_load_dwordx2 v[2:3], v[2:3]
	s_andn2_b64 vcc, exec, s[34:35]
	s_cbranch_vccnz .LBB179_44
; %bb.39:
	s_waitcnt vmcnt(0) lgkmcnt(0)
	v_cmp_gt_f32_e32 vcc, 0, v2
	v_cndmask_b32_e64 v6, v2, -v2, vcc
	v_cmp_gt_f32_e32 vcc, 0, v3
	v_cndmask_b32_e64 v7, v3, -v3, vcc
	v_cmp_ngt_f32_e32 vcc, v6, v7
	s_and_saveexec_b64 s[0:1], vcc
	s_xor_b64 s[0:1], exec, s[0:1]
	s_cbranch_execz .LBB179_41
; %bb.40:
	v_div_scale_f32 v6, s[2:3], v3, v3, v2
	v_rcp_f32_e32 v7, v6
	v_div_scale_f32 v8, vcc, v2, v3, v2
	v_fma_f32 v9, -v6, v7, 1.0
	v_fmac_f32_e32 v7, v9, v7
	v_mul_f32_e32 v9, v8, v7
	v_fma_f32 v10, -v6, v9, v8
	v_fmac_f32_e32 v9, v10, v7
	v_fma_f32 v6, -v6, v9, v8
	v_div_fmas_f32 v6, v6, v7, v9
	v_div_fixup_f32 v6, v6, v3, v2
	v_fmac_f32_e32 v3, v2, v6
	v_div_scale_f32 v2, s[2:3], v3, v3, 1.0
	v_rcp_f32_e32 v7, v2
	v_fma_f32 v8, -v2, v7, 1.0
	v_fmac_f32_e32 v7, v8, v7
	v_div_scale_f32 v8, vcc, 1.0, v3, 1.0
	v_mul_f32_e32 v9, v8, v7
	v_fma_f32 v10, -v2, v9, v8
	v_fmac_f32_e32 v9, v10, v7
	v_fma_f32 v2, -v2, v9, v8
	v_div_fmas_f32 v2, v2, v7, v9
	v_div_fixup_f32 v3, v2, v3, 1.0
	v_mul_f32_e32 v2, v6, v3
	v_xor_b32_e32 v3, 0x80000000, v3
.LBB179_41:
	s_andn2_saveexec_b64 s[0:1], s[0:1]
	s_cbranch_execz .LBB179_43
; %bb.42:
	v_div_scale_f32 v6, s[2:3], v2, v2, v3
	v_rcp_f32_e32 v7, v6
	v_div_scale_f32 v8, vcc, v3, v2, v3
	v_fma_f32 v9, -v6, v7, 1.0
	v_fmac_f32_e32 v7, v9, v7
	v_mul_f32_e32 v9, v8, v7
	v_fma_f32 v10, -v6, v9, v8
	v_fmac_f32_e32 v9, v10, v7
	v_fma_f32 v6, -v6, v9, v8
	v_div_fmas_f32 v6, v6, v7, v9
	v_div_fixup_f32 v6, v6, v2, v3
	v_fmac_f32_e32 v2, v3, v6
	v_div_scale_f32 v3, s[2:3], v2, v2, 1.0
	v_rcp_f32_e32 v7, v3
	v_fma_f32 v8, -v3, v7, 1.0
	v_fmac_f32_e32 v7, v8, v7
	v_div_scale_f32 v8, vcc, 1.0, v2, 1.0
	v_mul_f32_e32 v9, v8, v7
	v_fma_f32 v10, -v3, v9, v8
	v_fmac_f32_e32 v9, v10, v7
	v_fma_f32 v3, -v3, v9, v8
	v_div_fmas_f32 v3, v3, v7, v9
	v_div_fixup_f32 v2, v3, v2, 1.0
	v_mul_f32_e64 v3, v6, -v2
.LBB179_43:
	s_or_b64 exec, exec, s[0:1]
.LBB179_44:
	s_waitcnt vmcnt(0) lgkmcnt(0)
	v_mul_f32_e32 v6, v5, v3
	v_fma_f32 v6, v4, v2, -v6
	v_mul_f32_e32 v5, v5, v2
	v_fmac_f32_e32 v5, v4, v3
	v_mov_b32_e32 v4, v6
.LBB179_45:
	s_or_b64 exec, exec, s[4:5]
	global_store_dwordx2 v[0:1], v[4:5], off
.LBB179_46:
	s_endpgm
	.section	.rodata,"a",@progbits
	.p2align	6, 0x0
	.amdhsa_kernel _ZL40rocblas_trsm_block_backward_substitutionI19rocblas_complex_numIfES1_PKS1_PS1_Lb0ELb0ELb0EEv18rocblas_operation_llT0_T1_lllT2_lllib
		.amdhsa_group_segment_fixed_size 0
		.amdhsa_private_segment_fixed_size 0
		.amdhsa_kernarg_size 360
		.amdhsa_user_sgpr_count 6
		.amdhsa_user_sgpr_private_segment_buffer 1
		.amdhsa_user_sgpr_dispatch_ptr 0
		.amdhsa_user_sgpr_queue_ptr 0
		.amdhsa_user_sgpr_kernarg_segment_ptr 1
		.amdhsa_user_sgpr_dispatch_id 0
		.amdhsa_user_sgpr_flat_scratch_init 0
		.amdhsa_user_sgpr_kernarg_preload_length 0
		.amdhsa_user_sgpr_kernarg_preload_offset 0
		.amdhsa_user_sgpr_private_segment_size 0
		.amdhsa_uses_dynamic_stack 0
		.amdhsa_system_sgpr_private_segment_wavefront_offset 0
		.amdhsa_system_sgpr_workgroup_id_x 1
		.amdhsa_system_sgpr_workgroup_id_y 1
		.amdhsa_system_sgpr_workgroup_id_z 1
		.amdhsa_system_sgpr_workgroup_info 0
		.amdhsa_system_vgpr_workitem_id 1
		.amdhsa_next_free_vgpr 18
		.amdhsa_next_free_sgpr 46
		.amdhsa_accum_offset 20
		.amdhsa_reserve_vcc 1
		.amdhsa_reserve_flat_scratch 0
		.amdhsa_float_round_mode_32 0
		.amdhsa_float_round_mode_16_64 0
		.amdhsa_float_denorm_mode_32 3
		.amdhsa_float_denorm_mode_16_64 3
		.amdhsa_dx10_clamp 1
		.amdhsa_ieee_mode 1
		.amdhsa_fp16_overflow 0
		.amdhsa_tg_split 0
		.amdhsa_exception_fp_ieee_invalid_op 0
		.amdhsa_exception_fp_denorm_src 0
		.amdhsa_exception_fp_ieee_div_zero 0
		.amdhsa_exception_fp_ieee_overflow 0
		.amdhsa_exception_fp_ieee_underflow 0
		.amdhsa_exception_fp_ieee_inexact 0
		.amdhsa_exception_int_div_zero 0
	.end_amdhsa_kernel
	.section	.text._ZL40rocblas_trsm_block_backward_substitutionI19rocblas_complex_numIfES1_PKS1_PS1_Lb0ELb0ELb0EEv18rocblas_operation_llT0_T1_lllT2_lllib,"axG",@progbits,_ZL40rocblas_trsm_block_backward_substitutionI19rocblas_complex_numIfES1_PKS1_PS1_Lb0ELb0ELb0EEv18rocblas_operation_llT0_T1_lllT2_lllib,comdat
.Lfunc_end179:
	.size	_ZL40rocblas_trsm_block_backward_substitutionI19rocblas_complex_numIfES1_PKS1_PS1_Lb0ELb0ELb0EEv18rocblas_operation_llT0_T1_lllT2_lllib, .Lfunc_end179-_ZL40rocblas_trsm_block_backward_substitutionI19rocblas_complex_numIfES1_PKS1_PS1_Lb0ELb0ELb0EEv18rocblas_operation_llT0_T1_lllT2_lllib
                                        ; -- End function
	.section	.AMDGPU.csdata,"",@progbits
; Kernel info:
; codeLenInByte = 2400
; NumSgprs: 50
; NumVgprs: 18
; NumAgprs: 0
; TotalNumVgprs: 18
; ScratchSize: 0
; MemoryBound: 0
; FloatMode: 240
; IeeeMode: 1
; LDSByteSize: 0 bytes/workgroup (compile time only)
; SGPRBlocks: 6
; VGPRBlocks: 2
; NumSGPRsForWavesPerEU: 50
; NumVGPRsForWavesPerEU: 18
; AccumOffset: 20
; Occupancy: 8
; WaveLimiterHint : 1
; COMPUTE_PGM_RSRC2:SCRATCH_EN: 0
; COMPUTE_PGM_RSRC2:USER_SGPR: 6
; COMPUTE_PGM_RSRC2:TRAP_HANDLER: 0
; COMPUTE_PGM_RSRC2:TGID_X_EN: 1
; COMPUTE_PGM_RSRC2:TGID_Y_EN: 1
; COMPUTE_PGM_RSRC2:TGID_Z_EN: 1
; COMPUTE_PGM_RSRC2:TIDIG_COMP_CNT: 1
; COMPUTE_PGM_RSRC3_GFX90A:ACCUM_OFFSET: 4
; COMPUTE_PGM_RSRC3_GFX90A:TG_SPLIT: 0
	.section	.text._ZL39rocblas_trsm_block_forward_substitutionI19rocblas_complex_numIfES1_PKS1_PS1_Lb0ELb0ELb1EEv18rocblas_operation_llT0_T1_lllT2_lllib,"axG",@progbits,_ZL39rocblas_trsm_block_forward_substitutionI19rocblas_complex_numIfES1_PKS1_PS1_Lb0ELb0ELb1EEv18rocblas_operation_llT0_T1_lllT2_lllib,comdat
	.globl	_ZL39rocblas_trsm_block_forward_substitutionI19rocblas_complex_numIfES1_PKS1_PS1_Lb0ELb0ELb1EEv18rocblas_operation_llT0_T1_lllT2_lllib ; -- Begin function _ZL39rocblas_trsm_block_forward_substitutionI19rocblas_complex_numIfES1_PKS1_PS1_Lb0ELb0ELb1EEv18rocblas_operation_llT0_T1_lllT2_lllib
	.p2align	8
	.type	_ZL39rocblas_trsm_block_forward_substitutionI19rocblas_complex_numIfES1_PKS1_PS1_Lb0ELb0ELb1EEv18rocblas_operation_llT0_T1_lllT2_lllib,@function
_ZL39rocblas_trsm_block_forward_substitutionI19rocblas_complex_numIfES1_PKS1_PS1_Lb0ELb0ELb1EEv18rocblas_operation_llT0_T1_lllT2_lllib: ; @_ZL39rocblas_trsm_block_forward_substitutionI19rocblas_complex_numIfES1_PKS1_PS1_Lb0ELb0ELb1EEv18rocblas_operation_llT0_T1_lllT2_lllib
; %bb.0:
	s_load_dwordx16 s[12:27], s[4:5], 0x20
	s_load_dwordx4 s[28:31], s[4:5], 0x8
	s_load_dwordx2 s[2:3], s[4:5], 0x18
	v_and_b32_e32 v2, 0x3ff, v0
	v_bfe_u32 v8, v0, 10, 10
	s_waitcnt lgkmcnt(0)
	s_mul_i32 s0, s8, s19
	s_mul_hi_u32 s1, s8, s18
	s_add_i32 s1, s1, s0
	s_mul_i32 s0, s8, s18
	s_lshl_b64 s[0:1], s[0:1], 3
	s_add_u32 s6, s12, s0
	s_addc_u32 s9, s13, s1
	s_lshl_b64 s[0:1], s[14:15], 3
	s_add_u32 s10, s6, s0
	s_load_dword s0, s[4:5], 0x64
	s_load_dword s6, s[4:5], 0x74
	s_addc_u32 s11, s9, s1
	s_add_u32 s12, s4, 0x68
	s_addc_u32 s13, s5, 0
	s_waitcnt lgkmcnt(0)
	s_lshr_b32 s6, s6, 16
	s_bitcmp0_b32 s0, 0
	s_cbranch_scc1 .LBB180_7
; %bb.1:
	s_lshl_b32 s0, s6, 3
	s_add_i32 s14, s0, 0
	v_cmp_lt_i64_e64 s[0:1], s[28:29], 1
	s_and_b64 vcc, exec, s[0:1]
	s_cbranch_vccnz .LBB180_6
; %bb.2:
	v_lshlrev_b32_e32 v0, 3, v2
	v_mov_b32_e32 v3, 0
	v_cmp_gt_u64_e64 s[0:1], s[28:29], v[2:3]
	v_mov_b32_e32 v1, s11
	v_add_co_u32_e32 v3, vcc, s10, v0
	v_add_u32_e32 v4, s14, v0
	s_mov_b32 s18, 0
	v_addc_co_u32_e32 v5, vcc, 0, v1, vcc
	v_pk_mov_b32 v[0:1], s[28:29], s[28:29] op_sel:[0,1]
	s_branch .LBB180_4
.LBB180_3:                              ;   in Loop: Header=BB180_4 Depth=1
	s_or_b64 exec, exec, s[10:11]
	s_add_i32 s18, s18, s6
	s_ashr_i32 s19, s18, 31
	v_cmp_ge_i64_e32 vcc, s[18:19], v[0:1]
	s_cbranch_vccnz .LBB180_6
.LBB180_4:                              ; =>This Inner Loop Header: Depth=1
	v_add_u32_e32 v6, s18, v8
	v_cmp_gt_i32_e32 vcc, v2, v6
	s_and_b64 s[34:35], s[0:1], vcc
	s_and_saveexec_b64 s[10:11], s[34:35]
	s_cbranch_execz .LBB180_3
; %bb.5:                                ;   in Loop: Header=BB180_4 Depth=1
	v_ashrrev_i32_e32 v7, 31, v6
	v_mul_lo_u32 v9, v6, s17
	v_mul_lo_u32 v7, v7, s16
	v_mad_u64_u32 v[10:11], s[34:35], v6, s16, 0
	v_add3_u32 v11, v11, v9, v7
	v_lshlrev_b64 v[10:11], 3, v[10:11]
	v_add_co_u32_e32 v10, vcc, v3, v10
	v_addc_co_u32_e32 v11, vcc, v5, v11, vcc
	global_load_dwordx2 v[10:11], v[10:11], off
	s_load_dword s9, s[12:13], 0xc
	s_waitcnt lgkmcnt(0)
	s_and_b32 s9, s9, 0xffff
	v_mul_lo_u32 v6, v6, s9
	v_lshl_add_u32 v6, v6, 3, v4
	s_waitcnt vmcnt(0)
	ds_write_b64 v6, v[10:11]
	s_branch .LBB180_3
.LBB180_6:
	s_load_dword s9, s[12:13], 0xc
	s_mov_b64 s[0:1], src_shared_base
	s_mov_b32 s15, s1
	s_mov_b32 s17, 0
	s_mov_b64 s[10:11], s[14:15]
	s_waitcnt lgkmcnt(0)
	s_and_b32 s16, s9, 0xffff
.LBB180_7:
	s_mul_i32 s7, s7, s6
	v_add_u32_e32 v0, s7, v8
	v_mov_b32_e32 v1, 0
	v_cmp_gt_i64_e32 vcc, s[30:31], v[0:1]
	s_and_saveexec_b64 s[0:1], vcc
	s_cbranch_execz .LBB180_22
; %bb.8:
	v_mov_b32_e32 v3, v1
	v_cmp_gt_i64_e32 vcc, s[28:29], v[2:3]
	s_and_b64 exec, exec, vcc
	s_cbranch_execz .LBB180_22
; %bb.9:
	s_mul_i32 s0, s8, s27
	s_mul_hi_u32 s1, s8, s26
	s_add_i32 s1, s1, s0
	s_mul_i32 s0, s8, s26
	s_lshl_b64 s[0:1], s[0:1], 3
	s_add_u32 s6, s20, s0
	s_addc_u32 s7, s21, s1
	s_lshl_b64 s[0:1], s[22:23], 3
	s_add_u32 s6, s6, s0
	s_addc_u32 s7, s7, s1
	v_mad_u64_u32 v[4:5], s[0:1], v0, s24, 0
	v_mov_b32_e32 v6, v5
	v_mad_u64_u32 v[0:1], s[0:1], v0, s25, v[6:7]
	v_mov_b32_e32 v5, v0
	v_lshlrev_b64 v[0:1], 3, v[4:5]
	v_mov_b32_e32 v4, s7
	v_add_co_u32_e32 v0, vcc, s6, v0
	v_addc_co_u32_e32 v1, vcc, v4, v1, vcc
	v_lshlrev_b32_e32 v9, 3, v2
	v_add_co_u32_e32 v0, vcc, v0, v9
	v_addc_co_u32_e32 v1, vcc, 0, v1, vcc
	global_load_dwordx2 v[6:7], v[0:1], off
	s_mov_b32 s0, s3
	v_cmp_lt_u64_e64 s[6:7], s[28:29], 2
	s_and_b64 vcc, exec, s[6:7]
	s_waitcnt vmcnt(0)
	v_pk_mul_f32 v[4:5], s[2:3], v[6:7]
	v_mov_b32_e32 v4, v7
	v_mov_b32_e32 v10, v5
	v_pk_mul_f32 v[12:13], s[2:3], v[4:5]
	v_pk_fma_f32 v[4:5], s[2:3], v[6:7], v[10:11] neg_lo:[0,0,1] neg_hi:[0,0,1]
	v_pk_fma_f32 v[6:7], s[0:1], v[6:7], v[12:13]
	s_cbranch_vccnz .LBB180_21
; %bb.10:
	s_load_dword s0, s[4:5], 0x0
	v_mov_b32_e32 v5, v6
	v_mov_b32_e32 v7, s11
	v_add_co_u32_e32 v6, vcc, s10, v9
	s_waitcnt lgkmcnt(0)
	s_cmpk_lg_i32 s0, 0x71
	s_cselect_b64 s[0:1], -1, 0
	s_add_u32 s2, s28, -1
	s_addc_u32 s3, s29, -1
	s_lshl_b64 s[4:5], s[16:17], 3
	v_lshl_add_u32 v11, v8, 3, 0
	v_addc_co_u32_e32 v7, vcc, 0, v7, vcc
	s_mov_b64 s[6:7], 0
	v_mov_b32_e32 v12, s5
	s_branch .LBB180_13
.LBB180_11:                             ;   in Loop: Header=BB180_13 Depth=1
	ds_read_b64 v[14:15], v11
	s_waitcnt lgkmcnt(0)
	v_pk_mul_f32 v[16:17], v[14:15], v[10:11] op_sel_hi:[1,0]
	v_pk_fma_f32 v[18:19], v[14:15], v[8:9], v[16:17] op_sel:[0,0,1] op_sel_hi:[1,1,0] neg_lo:[0,0,1] neg_hi:[0,0,1]
	v_pk_fma_f32 v[8:9], v[14:15], v[8:9], v[16:17] op_sel:[0,0,1] op_sel_hi:[1,0,0]
	v_mov_b32_e32 v19, v9
	v_pk_add_f32 v[4:5], v[4:5], v[18:19] neg_lo:[0,1] neg_hi:[0,1]
.LBB180_12:                             ;   in Loop: Header=BB180_13 Depth=1
	s_or_b64 exec, exec, s[8:9]
	s_add_u32 s6, s6, 1
	s_addc_u32 s7, s7, 0
	v_add_co_u32_e32 v6, vcc, s4, v6
	s_cmp_eq_u64 s[2:3], s[6:7]
	v_addc_co_u32_e32 v7, vcc, v7, v12, vcc
	s_cbranch_scc1 .LBB180_20
.LBB180_13:                             ; =>This Inner Loop Header: Depth=1
	v_cmp_eq_u64_e32 vcc, s[6:7], v[2:3]
	s_barrier
	s_and_saveexec_b64 s[8:9], vcc
	s_cbranch_execz .LBB180_15
; %bb.14:                               ;   in Loop: Header=BB180_13 Depth=1
	ds_write_b64 v11, v[4:5]
.LBB180_15:                             ;   in Loop: Header=BB180_13 Depth=1
	s_or_b64 exec, exec, s[8:9]
	v_cmp_lt_u64_e32 vcc, s[6:7], v[2:3]
	s_waitcnt lgkmcnt(0)
	s_barrier
	s_and_saveexec_b64 s[8:9], vcc
	s_cbranch_execz .LBB180_12
; %bb.16:                               ;   in Loop: Header=BB180_13 Depth=1
	s_and_b64 vcc, exec, s[0:1]
	s_cbranch_vccz .LBB180_18
; %bb.17:                               ;   in Loop: Header=BB180_13 Depth=1
	flat_load_dwordx2 v[8:9], v[6:7]
	s_waitcnt vmcnt(0) lgkmcnt(0)
	v_mov_b32_e32 v10, v9
	s_cbranch_execnz .LBB180_11
	s_branch .LBB180_19
.LBB180_18:                             ;   in Loop: Header=BB180_13 Depth=1
                                        ; implicit-def: $vgpr8
                                        ; implicit-def: $vgpr10
.LBB180_19:                             ;   in Loop: Header=BB180_13 Depth=1
	flat_load_dwordx2 v[8:9], v[6:7]
	s_waitcnt vmcnt(0) lgkmcnt(0)
	v_xor_b32_e32 v10, 0x80000000, v9
	s_branch .LBB180_11
.LBB180_20:
	v_mov_b32_e32 v6, v5
.LBB180_21:
	v_mov_b32_e32 v5, v6
	global_store_dwordx2 v[0:1], v[4:5], off
.LBB180_22:
	s_endpgm
	.section	.rodata,"a",@progbits
	.p2align	6, 0x0
	.amdhsa_kernel _ZL39rocblas_trsm_block_forward_substitutionI19rocblas_complex_numIfES1_PKS1_PS1_Lb0ELb0ELb1EEv18rocblas_operation_llT0_T1_lllT2_lllib
		.amdhsa_group_segment_fixed_size 0
		.amdhsa_private_segment_fixed_size 0
		.amdhsa_kernarg_size 360
		.amdhsa_user_sgpr_count 6
		.amdhsa_user_sgpr_private_segment_buffer 1
		.amdhsa_user_sgpr_dispatch_ptr 0
		.amdhsa_user_sgpr_queue_ptr 0
		.amdhsa_user_sgpr_kernarg_segment_ptr 1
		.amdhsa_user_sgpr_dispatch_id 0
		.amdhsa_user_sgpr_flat_scratch_init 0
		.amdhsa_user_sgpr_kernarg_preload_length 0
		.amdhsa_user_sgpr_kernarg_preload_offset 0
		.amdhsa_user_sgpr_private_segment_size 0
		.amdhsa_uses_dynamic_stack 0
		.amdhsa_system_sgpr_private_segment_wavefront_offset 0
		.amdhsa_system_sgpr_workgroup_id_x 1
		.amdhsa_system_sgpr_workgroup_id_y 1
		.amdhsa_system_sgpr_workgroup_id_z 1
		.amdhsa_system_sgpr_workgroup_info 0
		.amdhsa_system_vgpr_workitem_id 1
		.amdhsa_next_free_vgpr 20
		.amdhsa_next_free_sgpr 36
		.amdhsa_accum_offset 20
		.amdhsa_reserve_vcc 1
		.amdhsa_reserve_flat_scratch 0
		.amdhsa_float_round_mode_32 0
		.amdhsa_float_round_mode_16_64 0
		.amdhsa_float_denorm_mode_32 3
		.amdhsa_float_denorm_mode_16_64 3
		.amdhsa_dx10_clamp 1
		.amdhsa_ieee_mode 1
		.amdhsa_fp16_overflow 0
		.amdhsa_tg_split 0
		.amdhsa_exception_fp_ieee_invalid_op 0
		.amdhsa_exception_fp_denorm_src 0
		.amdhsa_exception_fp_ieee_div_zero 0
		.amdhsa_exception_fp_ieee_overflow 0
		.amdhsa_exception_fp_ieee_underflow 0
		.amdhsa_exception_fp_ieee_inexact 0
		.amdhsa_exception_int_div_zero 0
	.end_amdhsa_kernel
	.section	.text._ZL39rocblas_trsm_block_forward_substitutionI19rocblas_complex_numIfES1_PKS1_PS1_Lb0ELb0ELb1EEv18rocblas_operation_llT0_T1_lllT2_lllib,"axG",@progbits,_ZL39rocblas_trsm_block_forward_substitutionI19rocblas_complex_numIfES1_PKS1_PS1_Lb0ELb0ELb1EEv18rocblas_operation_llT0_T1_lllT2_lllib,comdat
.Lfunc_end180:
	.size	_ZL39rocblas_trsm_block_forward_substitutionI19rocblas_complex_numIfES1_PKS1_PS1_Lb0ELb0ELb1EEv18rocblas_operation_llT0_T1_lllT2_lllib, .Lfunc_end180-_ZL39rocblas_trsm_block_forward_substitutionI19rocblas_complex_numIfES1_PKS1_PS1_Lb0ELb0ELb1EEv18rocblas_operation_llT0_T1_lllT2_lllib
                                        ; -- End function
	.section	.AMDGPU.csdata,"",@progbits
; Kernel info:
; codeLenInByte = 864
; NumSgprs: 40
; NumVgprs: 20
; NumAgprs: 0
; TotalNumVgprs: 20
; ScratchSize: 0
; MemoryBound: 0
; FloatMode: 240
; IeeeMode: 1
; LDSByteSize: 0 bytes/workgroup (compile time only)
; SGPRBlocks: 4
; VGPRBlocks: 2
; NumSGPRsForWavesPerEU: 40
; NumVGPRsForWavesPerEU: 20
; AccumOffset: 20
; Occupancy: 8
; WaveLimiterHint : 1
; COMPUTE_PGM_RSRC2:SCRATCH_EN: 0
; COMPUTE_PGM_RSRC2:USER_SGPR: 6
; COMPUTE_PGM_RSRC2:TRAP_HANDLER: 0
; COMPUTE_PGM_RSRC2:TGID_X_EN: 1
; COMPUTE_PGM_RSRC2:TGID_Y_EN: 1
; COMPUTE_PGM_RSRC2:TGID_Z_EN: 1
; COMPUTE_PGM_RSRC2:TIDIG_COMP_CNT: 1
; COMPUTE_PGM_RSRC3_GFX90A:ACCUM_OFFSET: 4
; COMPUTE_PGM_RSRC3_GFX90A:TG_SPLIT: 0
	.section	.text._ZL40rocblas_trsm_block_backward_substitutionI19rocblas_complex_numIfES1_PKS1_PS1_Lb0ELb0ELb1EEv18rocblas_operation_llT0_T1_lllT2_lllib,"axG",@progbits,_ZL40rocblas_trsm_block_backward_substitutionI19rocblas_complex_numIfES1_PKS1_PS1_Lb0ELb0ELb1EEv18rocblas_operation_llT0_T1_lllT2_lllib,comdat
	.globl	_ZL40rocblas_trsm_block_backward_substitutionI19rocblas_complex_numIfES1_PKS1_PS1_Lb0ELb0ELb1EEv18rocblas_operation_llT0_T1_lllT2_lllib ; -- Begin function _ZL40rocblas_trsm_block_backward_substitutionI19rocblas_complex_numIfES1_PKS1_PS1_Lb0ELb0ELb1EEv18rocblas_operation_llT0_T1_lllT2_lllib
	.p2align	8
	.type	_ZL40rocblas_trsm_block_backward_substitutionI19rocblas_complex_numIfES1_PKS1_PS1_Lb0ELb0ELb1EEv18rocblas_operation_llT0_T1_lllT2_lllib,@function
_ZL40rocblas_trsm_block_backward_substitutionI19rocblas_complex_numIfES1_PKS1_PS1_Lb0ELb0ELb1EEv18rocblas_operation_llT0_T1_lllT2_lllib: ; @_ZL40rocblas_trsm_block_backward_substitutionI19rocblas_complex_numIfES1_PKS1_PS1_Lb0ELb0ELb1EEv18rocblas_operation_llT0_T1_lllT2_lllib
; %bb.0:
	s_load_dwordx16 s[12:27], s[4:5], 0x20
	s_load_dwordx4 s[28:31], s[4:5], 0x8
	s_load_dwordx2 s[10:11], s[4:5], 0x18
	v_and_b32_e32 v2, 0x3ff, v0
	v_bfe_u32 v8, v0, 10, 10
	s_waitcnt lgkmcnt(0)
	s_mul_i32 s0, s8, s19
	s_mul_hi_u32 s1, s8, s18
	s_add_i32 s1, s1, s0
	s_mul_i32 s0, s8, s18
	s_lshl_b64 s[0:1], s[0:1], 3
	s_add_u32 s2, s12, s0
	s_addc_u32 s3, s13, s1
	s_lshl_b64 s[0:1], s[14:15], 3
	s_add_u32 s2, s2, s0
	s_addc_u32 s3, s3, s1
	s_load_dword s0, s[4:5], 0x64
	s_load_dword s1, s[4:5], 0x74
	s_add_u32 s14, s4, 0x68
	s_addc_u32 s15, s5, 0
	s_mov_b64 s[12:13], 1
	s_waitcnt lgkmcnt(0)
	s_lshr_b32 s6, s1, 16
	s_bitcmp0_b32 s0, 0
	s_cbranch_scc1 .LBB181_6
; %bb.1:
	s_lshl_b32 s0, s6, 3
	s_add_i32 s18, s0, 0
	v_cmp_lt_i64_e64 s[0:1], s[28:29], 1
	s_mov_b64 s[34:35], 1
	s_and_b64 vcc, exec, s[0:1]
	s_cbranch_vccnz .LBB181_7
; %bb.2:
	v_mad_u64_u32 v[0:1], s[12:13], v2, s16, 0
	v_mov_b32_e32 v4, v1
	v_mad_u64_u32 v[4:5], s[12:13], v2, s17, v[4:5]
	v_mov_b32_e32 v1, v4
	v_mov_b32_e32 v3, 0
	v_lshlrev_b64 v[0:1], 3, v[0:1]
	v_cmp_gt_u64_e64 s[0:1], s[28:29], v[2:3]
	v_mov_b32_e32 v4, s3
	v_add_co_u32_e32 v3, vcc, s2, v0
	v_lshl_add_u32 v6, v2, 3, s18
	v_addc_co_u32_e32 v7, vcc, v4, v1, vcc
	s_mov_b32 s12, 0
	v_pk_mov_b32 v[0:1], s[28:29], s[28:29] op_sel:[0,1]
	s_branch .LBB181_4
.LBB181_3:                              ;   in Loop: Header=BB181_4 Depth=1
	s_or_b64 exec, exec, s[2:3]
	s_add_i32 s12, s12, s6
	s_ashr_i32 s13, s12, 31
	v_cmp_ge_i64_e32 vcc, s[12:13], v[0:1]
	s_cbranch_vccnz .LBB181_7
.LBB181_4:                              ; =>This Inner Loop Header: Depth=1
	v_add_u32_e32 v4, s12, v8
	v_ashrrev_i32_e32 v5, 31, v4
	v_cmp_gt_i64_e32 vcc, s[28:29], v[4:5]
	v_cmp_lt_i32_e64 s[2:3], v2, v4
	s_and_b64 s[2:3], s[2:3], vcc
	s_and_b64 s[16:17], s[0:1], s[2:3]
	s_and_saveexec_b64 s[2:3], s[16:17]
	s_cbranch_execz .LBB181_3
; %bb.5:                                ;   in Loop: Header=BB181_4 Depth=1
	v_lshlrev_b64 v[10:11], 3, v[4:5]
	v_add_co_u32_e32 v10, vcc, v3, v10
	v_addc_co_u32_e32 v11, vcc, v7, v11, vcc
	global_load_dwordx2 v[10:11], v[10:11], off
	s_load_dword s9, s[14:15], 0xc
	s_waitcnt lgkmcnt(0)
	s_and_b32 s9, s9, 0xffff
	v_mul_lo_u32 v4, v4, s9
	v_lshl_add_u32 v4, v4, 3, v6
	s_waitcnt vmcnt(0)
	ds_write_b64 v4, v[10:11]
	s_branch .LBB181_3
.LBB181_6:
	s_mov_b32 s34, s16
	s_mov_b32 s35, s17
	s_branch .LBB181_8
.LBB181_7:
	s_load_dword s2, s[14:15], 0xc
	s_mov_b64 s[0:1], src_shared_base
	s_mov_b32 s19, s1
	s_waitcnt lgkmcnt(0)
	s_and_b32 s12, s2, 0xffff
	s_mov_b64 s[2:3], s[18:19]
.LBB181_8:
	s_mul_i32 s7, s7, s6
	v_add_u32_e32 v0, s7, v8
	v_mov_b32_e32 v1, 0
	v_cmp_gt_i64_e32 vcc, s[30:31], v[0:1]
	s_and_saveexec_b64 s[0:1], vcc
	s_cbranch_execz .LBB181_24
; %bb.9:
	v_mov_b32_e32 v3, v1
	v_cmp_gt_i64_e32 vcc, s[28:29], v[2:3]
	s_and_b64 exec, exec, vcc
	s_cbranch_execz .LBB181_24
; %bb.10:
	s_mul_i32 s0, s8, s27
	s_mul_hi_u32 s1, s8, s26
	s_add_i32 s1, s1, s0
	s_mul_i32 s0, s8, s26
	s_lshl_b64 s[0:1], s[0:1], 3
	s_add_u32 s6, s20, s0
	s_addc_u32 s7, s21, s1
	s_lshl_b64 s[0:1], s[22:23], 3
	s_add_u32 s6, s6, s0
	s_addc_u32 s7, s7, s1
	v_mad_u64_u32 v[4:5], s[0:1], v2, s24, 0
	v_mov_b32_e32 v6, v5
	v_mad_u64_u32 v[6:7], s[0:1], v2, s25, v[6:7]
	v_mov_b32_e32 v5, v6
	v_lshlrev_b64 v[4:5], 3, v[4:5]
	v_mov_b32_e32 v6, s7
	v_add_co_u32_e32 v4, vcc, s6, v4
	v_addc_co_u32_e32 v5, vcc, v6, v5, vcc
	v_lshlrev_b64 v[0:1], 3, v[0:1]
	v_add_co_u32_e32 v0, vcc, v4, v0
	v_addc_co_u32_e32 v1, vcc, v5, v1, vcc
	global_load_dwordx2 v[6:7], v[0:1], off
	s_mov_b32 s0, s11
	v_cmp_lt_u64_e64 s[6:7], s[28:29], 2
	s_and_b64 vcc, exec, s[6:7]
	s_waitcnt vmcnt(0)
	v_pk_mul_f32 v[4:5], s[10:11], v[6:7]
	v_mov_b32_e32 v4, v7
	v_mov_b32_e32 v10, v5
	v_pk_mul_f32 v[12:13], s[10:11], v[4:5]
	v_pk_fma_f32 v[4:5], s[10:11], v[6:7], v[10:11] neg_lo:[0,0,1] neg_hi:[0,0,1]
	v_pk_fma_f32 v[6:7], s[0:1], v[6:7], v[12:13]
	s_cbranch_vccnz .LBB181_23
; %bb.11:
	s_load_dword s4, s[4:5], 0x0
	v_lshl_add_u32 v11, v8, 3, 0
	v_mad_u64_u32 v[8:9], s[0:1], s34, v2, 0
	v_mov_b32_e32 v10, v9
	s_waitcnt lgkmcnt(0)
	s_cmpk_lg_i32 s4, 0x71
	v_mad_u64_u32 v[12:13], s[4:5], s35, v2, v[10:11]
	s_cselect_b64 s[0:1], -1, 0
	s_add_u32 s4, s28, -1
	s_addc_u32 s5, s29, -1
	s_mul_i32 s6, s12, s5
	s_mul_hi_u32 s7, s12, s4
	s_add_i32 s7, s7, s6
	s_mul_i32 s6, s12, s4
	v_mov_b32_e32 v9, v12
	s_lshl_b64 s[6:7], s[6:7], 3
	v_mov_b32_e32 v5, v6
	v_lshlrev_b64 v[6:7], 3, v[8:9]
	s_add_u32 s2, s2, s6
	s_addc_u32 s3, s3, s7
	v_add_co_u32_e32 v6, vcc, s2, v6
	s_lshl_b32 s2, s12, 3
	v_mov_b32_e32 v8, s3
	s_sub_u32 s8, 0, s2
	v_addc_co_u32_e32 v7, vcc, v8, v7, vcc
	s_subb_u32 s9, 0, 0
.LBB181_12:                             ; =>This Inner Loop Header: Depth=1
	v_cmp_eq_u64_e32 vcc, s[4:5], v[2:3]
	s_barrier
	s_and_saveexec_b64 s[2:3], vcc
	s_cbranch_execz .LBB181_14
; %bb.13:                               ;   in Loop: Header=BB181_12 Depth=1
	ds_write_b64 v11, v[4:5]
.LBB181_14:                             ;   in Loop: Header=BB181_12 Depth=1
	s_or_b64 exec, exec, s[2:3]
	v_cmp_gt_i64_e32 vcc, s[4:5], v[2:3]
	s_waitcnt lgkmcnt(0)
	s_barrier
	s_and_saveexec_b64 s[2:3], vcc
	s_cbranch_execz .LBB181_20
; %bb.15:                               ;   in Loop: Header=BB181_12 Depth=1
	s_and_b64 vcc, exec, s[0:1]
	s_cbranch_vccz .LBB181_17
; %bb.16:                               ;   in Loop: Header=BB181_12 Depth=1
	flat_load_dwordx2 v[8:9], v[6:7]
	s_waitcnt vmcnt(0) lgkmcnt(0)
	v_mov_b32_e32 v10, v9
	s_cbranch_execz .LBB181_18
	s_branch .LBB181_19
.LBB181_17:                             ;   in Loop: Header=BB181_12 Depth=1
                                        ; implicit-def: $vgpr8
                                        ; implicit-def: $vgpr10
.LBB181_18:                             ;   in Loop: Header=BB181_12 Depth=1
	flat_load_dwordx2 v[8:9], v[6:7]
	s_waitcnt vmcnt(0) lgkmcnt(0)
	v_xor_b32_e32 v10, 0x80000000, v9
.LBB181_19:                             ;   in Loop: Header=BB181_12 Depth=1
	ds_read_b64 v[12:13], v11
	s_waitcnt lgkmcnt(0)
	v_pk_mul_f32 v[14:15], v[12:13], v[10:11] op_sel_hi:[1,0]
	v_pk_fma_f32 v[16:17], v[12:13], v[8:9], v[14:15] op_sel:[0,0,1] op_sel_hi:[1,1,0] neg_lo:[0,0,1] neg_hi:[0,0,1]
	v_pk_fma_f32 v[8:9], v[12:13], v[8:9], v[14:15] op_sel:[0,0,1] op_sel_hi:[1,0,0]
	v_mov_b32_e32 v17, v9
	v_pk_add_f32 v[4:5], v[4:5], v[16:17] neg_lo:[0,1] neg_hi:[0,1]
.LBB181_20:                             ;   in Loop: Header=BB181_12 Depth=1
	s_or_b64 exec, exec, s[2:3]
	s_add_u32 s2, s4, -1
	s_addc_u32 s3, s5, -1
	s_add_u32 s4, s4, 1
	s_addc_u32 s5, s5, 0
	v_mov_b32_e32 v8, s9
	v_add_co_u32_e32 v6, vcc, s8, v6
	v_addc_co_u32_e32 v7, vcc, v7, v8, vcc
	v_cmp_lt_u64_e64 s[4:5], s[4:5], 3
	s_and_b64 vcc, exec, s[4:5]
	s_cbranch_vccnz .LBB181_22
; %bb.21:                               ;   in Loop: Header=BB181_12 Depth=1
	s_mov_b64 s[4:5], s[2:3]
	s_branch .LBB181_12
.LBB181_22:
	v_mov_b32_e32 v6, v5
.LBB181_23:
	v_mov_b32_e32 v5, v6
	global_store_dwordx2 v[0:1], v[4:5], off
.LBB181_24:
	s_endpgm
	.section	.rodata,"a",@progbits
	.p2align	6, 0x0
	.amdhsa_kernel _ZL40rocblas_trsm_block_backward_substitutionI19rocblas_complex_numIfES1_PKS1_PS1_Lb0ELb0ELb1EEv18rocblas_operation_llT0_T1_lllT2_lllib
		.amdhsa_group_segment_fixed_size 0
		.amdhsa_private_segment_fixed_size 0
		.amdhsa_kernarg_size 360
		.amdhsa_user_sgpr_count 6
		.amdhsa_user_sgpr_private_segment_buffer 1
		.amdhsa_user_sgpr_dispatch_ptr 0
		.amdhsa_user_sgpr_queue_ptr 0
		.amdhsa_user_sgpr_kernarg_segment_ptr 1
		.amdhsa_user_sgpr_dispatch_id 0
		.amdhsa_user_sgpr_flat_scratch_init 0
		.amdhsa_user_sgpr_kernarg_preload_length 0
		.amdhsa_user_sgpr_kernarg_preload_offset 0
		.amdhsa_user_sgpr_private_segment_size 0
		.amdhsa_uses_dynamic_stack 0
		.amdhsa_system_sgpr_private_segment_wavefront_offset 0
		.amdhsa_system_sgpr_workgroup_id_x 1
		.amdhsa_system_sgpr_workgroup_id_y 1
		.amdhsa_system_sgpr_workgroup_id_z 1
		.amdhsa_system_sgpr_workgroup_info 0
		.amdhsa_system_vgpr_workitem_id 1
		.amdhsa_next_free_vgpr 18
		.amdhsa_next_free_sgpr 36
		.amdhsa_accum_offset 20
		.amdhsa_reserve_vcc 1
		.amdhsa_reserve_flat_scratch 0
		.amdhsa_float_round_mode_32 0
		.amdhsa_float_round_mode_16_64 0
		.amdhsa_float_denorm_mode_32 3
		.amdhsa_float_denorm_mode_16_64 3
		.amdhsa_dx10_clamp 1
		.amdhsa_ieee_mode 1
		.amdhsa_fp16_overflow 0
		.amdhsa_tg_split 0
		.amdhsa_exception_fp_ieee_invalid_op 0
		.amdhsa_exception_fp_denorm_src 0
		.amdhsa_exception_fp_ieee_div_zero 0
		.amdhsa_exception_fp_ieee_overflow 0
		.amdhsa_exception_fp_ieee_underflow 0
		.amdhsa_exception_fp_ieee_inexact 0
		.amdhsa_exception_int_div_zero 0
	.end_amdhsa_kernel
	.section	.text._ZL40rocblas_trsm_block_backward_substitutionI19rocblas_complex_numIfES1_PKS1_PS1_Lb0ELb0ELb1EEv18rocblas_operation_llT0_T1_lllT2_lllib,"axG",@progbits,_ZL40rocblas_trsm_block_backward_substitutionI19rocblas_complex_numIfES1_PKS1_PS1_Lb0ELb0ELb1EEv18rocblas_operation_llT0_T1_lllT2_lllib,comdat
.Lfunc_end181:
	.size	_ZL40rocblas_trsm_block_backward_substitutionI19rocblas_complex_numIfES1_PKS1_PS1_Lb0ELb0ELb1EEv18rocblas_operation_llT0_T1_lllT2_lllib, .Lfunc_end181-_ZL40rocblas_trsm_block_backward_substitutionI19rocblas_complex_numIfES1_PKS1_PS1_Lb0ELb0ELb1EEv18rocblas_operation_llT0_T1_lllT2_lllib
                                        ; -- End function
	.section	.AMDGPU.csdata,"",@progbits
; Kernel info:
; codeLenInByte = 976
; NumSgprs: 40
; NumVgprs: 18
; NumAgprs: 0
; TotalNumVgprs: 18
; ScratchSize: 0
; MemoryBound: 0
; FloatMode: 240
; IeeeMode: 1
; LDSByteSize: 0 bytes/workgroup (compile time only)
; SGPRBlocks: 4
; VGPRBlocks: 2
; NumSGPRsForWavesPerEU: 40
; NumVGPRsForWavesPerEU: 18
; AccumOffset: 20
; Occupancy: 8
; WaveLimiterHint : 1
; COMPUTE_PGM_RSRC2:SCRATCH_EN: 0
; COMPUTE_PGM_RSRC2:USER_SGPR: 6
; COMPUTE_PGM_RSRC2:TRAP_HANDLER: 0
; COMPUTE_PGM_RSRC2:TGID_X_EN: 1
; COMPUTE_PGM_RSRC2:TGID_Y_EN: 1
; COMPUTE_PGM_RSRC2:TGID_Z_EN: 1
; COMPUTE_PGM_RSRC2:TIDIG_COMP_CNT: 1
; COMPUTE_PGM_RSRC3_GFX90A:ACCUM_OFFSET: 4
; COMPUTE_PGM_RSRC3_GFX90A:TG_SPLIT: 0
	.section	.text._ZL39rocblas_trsm_block_forward_substitutionI19rocblas_complex_numIfES1_PKS1_PS1_Lb0ELb1ELb0EEv18rocblas_operation_llT0_T1_lllT2_lllib,"axG",@progbits,_ZL39rocblas_trsm_block_forward_substitutionI19rocblas_complex_numIfES1_PKS1_PS1_Lb0ELb1ELb0EEv18rocblas_operation_llT0_T1_lllT2_lllib,comdat
	.globl	_ZL39rocblas_trsm_block_forward_substitutionI19rocblas_complex_numIfES1_PKS1_PS1_Lb0ELb1ELb0EEv18rocblas_operation_llT0_T1_lllT2_lllib ; -- Begin function _ZL39rocblas_trsm_block_forward_substitutionI19rocblas_complex_numIfES1_PKS1_PS1_Lb0ELb1ELb0EEv18rocblas_operation_llT0_T1_lllT2_lllib
	.p2align	8
	.type	_ZL39rocblas_trsm_block_forward_substitutionI19rocblas_complex_numIfES1_PKS1_PS1_Lb0ELb1ELb0EEv18rocblas_operation_llT0_T1_lllT2_lllib,@function
_ZL39rocblas_trsm_block_forward_substitutionI19rocblas_complex_numIfES1_PKS1_PS1_Lb0ELb1ELb0EEv18rocblas_operation_llT0_T1_lllT2_lllib: ; @_ZL39rocblas_trsm_block_forward_substitutionI19rocblas_complex_numIfES1_PKS1_PS1_Lb0ELb1ELb0EEv18rocblas_operation_llT0_T1_lllT2_lllib
; %bb.0:
	s_load_dword s0, s[4:5], 0x64
	s_load_dwordx4 s[28:31], s[4:5], 0x8
	s_load_dwordx2 s[34:35], s[4:5], 0x18
	s_load_dwordx16 s[12:27], s[4:5], 0x20
	s_load_dword s6, s[4:5], 0x74
	s_waitcnt lgkmcnt(0)
	s_bitcmp1_b32 s0, 0
	s_cselect_b64 s[0:1], -1, 0
	s_xor_b64 s[2:3], s[0:1], -1
	s_mul_i32 s0, s8, s19
	s_mul_hi_u32 s1, s8, s18
	s_add_i32 s1, s1, s0
	s_mul_i32 s0, s8, s18
	s_lshl_b64 s[0:1], s[0:1], 3
	s_add_u32 s9, s12, s0
	s_addc_u32 s11, s13, s1
	s_lshl_b64 s[0:1], s[14:15], 3
	s_add_u32 s10, s9, s0
	s_addc_u32 s11, s11, s1
	s_add_u32 s12, s4, 0x68
	v_and_b32_e32 v2, 0x3ff, v0
	v_bfe_u32 v8, v0, 10, 10
	s_addc_u32 s13, s5, 0
	s_lshr_b32 s6, s6, 16
	s_and_b64 vcc, exec, s[2:3]
	s_cbranch_vccnz .LBB182_15
; %bb.1:
	s_lshl_b32 s0, s6, 3
	s_add_i32 s14, s0, 0
	v_cmp_lt_i64_e64 s[0:1], s[28:29], 1
	s_and_b64 vcc, exec, s[0:1]
	s_cbranch_vccnz .LBB182_14
; %bb.2:
	v_lshlrev_b32_e32 v0, 3, v2
	v_mov_b32_e32 v3, 0
	v_cmp_le_u64_e32 vcc, s[28:29], v[2:3]
	v_mov_b32_e32 v1, s11
	v_add_co_u32_e64 v3, s[0:1], s10, v0
	v_add_u32_e32 v9, s14, v0
	v_addc_co_u32_e64 v10, s[0:1], 0, v1, s[0:1]
	v_mad_u64_u32 v[0:1], s[0:1], v2, s16, 0
	v_mov_b32_e32 v4, v1
	v_mad_u64_u32 v[4:5], s[0:1], v2, s17, v[4:5]
	v_mov_b32_e32 v1, v4
	v_lshlrev_b64 v[0:1], 3, v[0:1]
	v_add_co_u32_e64 v0, s[0:1], v3, v0
	v_addc_co_u32_e64 v1, s[0:1], v10, v1, s[0:1]
	s_xor_b64 s[0:1], vcc, -1
	s_mov_b32 s10, s6
	v_mov_b32_e32 v11, v8
	s_branch .LBB182_6
.LBB182_3:                              ;   in Loop: Header=BB182_6 Depth=1
	s_or_b64 exec, exec, s[38:39]
	s_load_dword s9, s[12:13], 0xc
	s_waitcnt lgkmcnt(0)
	s_and_b32 s9, s9, 0xffff
	v_mul_u32_u24_e32 v4, s9, v2
	v_lshl_add_u32 v4, v4, 3, v9
	ds_write_b64 v4, v[6:7]
.LBB182_4:                              ;   in Loop: Header=BB182_6 Depth=1
	s_or_b64 exec, exec, s[36:37]
.LBB182_5:                              ;   in Loop: Header=BB182_6 Depth=1
	s_or_b64 exec, exec, s[18:19]
	s_ashr_i32 s11, s10, 31
	v_pk_mov_b32 v[4:5], s[28:29], s[28:29] op_sel:[0,1]
	v_cmp_ge_i64_e32 vcc, s[10:11], v[4:5]
	v_add_u32_e32 v11, s6, v11
	s_add_i32 s10, s10, s6
	s_cbranch_vccnz .LBB182_14
.LBB182_6:                              ; =>This Inner Loop Header: Depth=1
	v_cmp_gt_i32_e32 vcc, v2, v11
	s_and_b64 s[18:19], s[0:1], vcc
	s_and_saveexec_b64 s[36:37], s[18:19]
	s_xor_b64 s[18:19], exec, s[36:37]
	s_cbranch_execz .LBB182_8
; %bb.7:                                ;   in Loop: Header=BB182_6 Depth=1
	v_ashrrev_i32_e32 v4, 31, v11
	v_mul_lo_u32 v6, v11, s17
	v_mul_lo_u32 v7, v4, s16
	v_mad_u64_u32 v[4:5], s[36:37], v11, s16, 0
	v_add3_u32 v5, v5, v6, v7
	v_lshlrev_b64 v[4:5], 3, v[4:5]
	v_add_co_u32_e32 v4, vcc, v3, v4
	v_addc_co_u32_e32 v5, vcc, v10, v5, vcc
	global_load_dwordx2 v[4:5], v[4:5], off
	s_load_dword s9, s[12:13], 0xc
	s_waitcnt lgkmcnt(0)
	s_and_b32 s9, s9, 0xffff
	v_mul_lo_u32 v6, v11, s9
	v_lshl_add_u32 v6, v6, 3, v9
	s_waitcnt vmcnt(0)
	ds_write_b64 v6, v[4:5]
.LBB182_8:                              ;   in Loop: Header=BB182_6 Depth=1
	s_andn2_saveexec_b64 s[18:19], s[18:19]
	s_cbranch_execz .LBB182_5
; %bb.9:                                ;   in Loop: Header=BB182_6 Depth=1
	v_cmp_eq_u32_e32 vcc, v2, v11
	s_and_b64 s[38:39], s[0:1], vcc
	s_and_saveexec_b64 s[36:37], s[38:39]
	s_cbranch_execz .LBB182_4
; %bb.10:                               ;   in Loop: Header=BB182_6 Depth=1
	global_load_dwordx2 v[4:5], v[0:1], off
	s_waitcnt vmcnt(0)
	v_cmp_gt_f32_e32 vcc, 0, v5
	v_cndmask_b32_e64 v6, v5, -v5, vcc
	v_cmp_gt_f32_e32 vcc, 0, v4
	v_cndmask_b32_e64 v7, v4, -v4, vcc
	v_cmp_ngt_f32_e32 vcc, v7, v6
                                        ; implicit-def: $vgpr6_vgpr7
	s_and_saveexec_b64 s[38:39], vcc
	s_xor_b64 s[38:39], exec, s[38:39]
	s_cbranch_execz .LBB182_12
; %bb.11:                               ;   in Loop: Header=BB182_6 Depth=1
	v_div_scale_f32 v6, s[40:41], v5, v5, v4
	v_rcp_f32_e32 v7, v6
	v_div_scale_f32 v12, vcc, v4, v5, v4
	v_fma_f32 v13, -v6, v7, 1.0
	v_fmac_f32_e32 v7, v13, v7
	v_mul_f32_e32 v13, v12, v7
	v_fma_f32 v14, -v6, v13, v12
	v_fmac_f32_e32 v13, v14, v7
	v_fma_f32 v6, -v6, v13, v12
	v_div_fmas_f32 v6, v6, v7, v13
	v_div_fixup_f32 v6, v6, v5, v4
	v_fmac_f32_e32 v5, v4, v6
	v_div_scale_f32 v4, s[40:41], v5, v5, 1.0
	v_rcp_f32_e32 v7, v4
	v_fma_f32 v12, -v4, v7, 1.0
	v_fmac_f32_e32 v7, v12, v7
	v_div_scale_f32 v12, vcc, 1.0, v5, 1.0
	v_mul_f32_e32 v13, v12, v7
	v_fma_f32 v14, -v4, v13, v12
	v_fmac_f32_e32 v13, v14, v7
	v_fma_f32 v4, -v4, v13, v12
	v_div_fmas_f32 v4, v4, v7, v13
	v_div_fixup_f32 v4, v4, v5, 1.0
	v_mul_f32_e32 v6, v6, v4
	v_xor_b32_e32 v7, 0x80000000, v4
                                        ; implicit-def: $vgpr4_vgpr5
.LBB182_12:                             ;   in Loop: Header=BB182_6 Depth=1
	s_andn2_saveexec_b64 s[38:39], s[38:39]
	s_cbranch_execz .LBB182_3
; %bb.13:                               ;   in Loop: Header=BB182_6 Depth=1
	v_div_scale_f32 v6, s[40:41], v4, v4, v5
	v_rcp_f32_e32 v7, v6
	v_div_scale_f32 v12, vcc, v5, v4, v5
	v_fma_f32 v13, -v6, v7, 1.0
	v_fmac_f32_e32 v7, v13, v7
	v_mul_f32_e32 v13, v12, v7
	v_fma_f32 v14, -v6, v13, v12
	v_fmac_f32_e32 v13, v14, v7
	v_fma_f32 v6, -v6, v13, v12
	v_div_fmas_f32 v6, v6, v7, v13
	v_div_fixup_f32 v7, v6, v4, v5
	v_fmac_f32_e32 v4, v5, v7
	v_div_scale_f32 v5, s[40:41], v4, v4, 1.0
	v_rcp_f32_e32 v6, v5
	v_fma_f32 v12, -v5, v6, 1.0
	v_fmac_f32_e32 v6, v12, v6
	v_div_scale_f32 v12, vcc, 1.0, v4, 1.0
	v_mul_f32_e32 v13, v12, v6
	v_fma_f32 v14, -v5, v13, v12
	v_fmac_f32_e32 v13, v14, v6
	v_fma_f32 v5, -v5, v13, v12
	v_div_fmas_f32 v5, v5, v6, v13
	v_div_fixup_f32 v6, v5, v4, 1.0
	v_mul_f32_e64 v7, v7, -v6
	s_branch .LBB182_3
.LBB182_14:
	s_load_dword s9, s[12:13], 0xc
	s_mov_b64 s[0:1], src_shared_base
	s_mov_b32 s15, s1
	s_mov_b32 s17, 0
	s_mov_b64 s[10:11], s[14:15]
	s_waitcnt lgkmcnt(0)
	s_and_b32 s16, s9, 0xffff
.LBB182_15:
	s_mul_i32 s7, s7, s6
	v_add_u32_e32 v0, s7, v8
	v_mov_b32_e32 v1, 0
	v_cmp_gt_i64_e32 vcc, s[30:31], v[0:1]
	s_and_saveexec_b64 s[0:1], vcc
	s_cbranch_execz .LBB182_43
; %bb.16:
	v_mov_b32_e32 v3, v1
	v_cmp_gt_i64_e32 vcc, s[28:29], v[2:3]
	s_and_b64 exec, exec, vcc
	s_cbranch_execz .LBB182_43
; %bb.17:
	s_mul_i32 s0, s8, s27
	s_mul_hi_u32 s1, s8, s26
	s_add_i32 s1, s1, s0
	s_mul_i32 s0, s8, s26
	s_lshl_b64 s[0:1], s[0:1], 3
	s_add_u32 s6, s20, s0
	s_addc_u32 s7, s21, s1
	s_lshl_b64 s[0:1], s[22:23], 3
	s_add_u32 s6, s6, s0
	s_addc_u32 s7, s7, s1
	v_mad_u64_u32 v[4:5], s[0:1], v2, s24, 0
	v_mov_b32_e32 v6, v5
	v_mad_u64_u32 v[6:7], s[0:1], v2, s25, v[6:7]
	v_mov_b32_e32 v5, v6
	v_lshlrev_b64 v[4:5], 3, v[4:5]
	v_mov_b32_e32 v6, s7
	v_add_co_u32_e32 v4, vcc, s6, v4
	v_addc_co_u32_e32 v5, vcc, v6, v5, vcc
	v_lshlrev_b64 v[0:1], 3, v[0:1]
	v_add_co_u32_e32 v0, vcc, v4, v0
	v_addc_co_u32_e32 v1, vcc, v5, v1, vcc
	global_load_dwordx2 v[6:7], v[0:1], off
	v_cmp_lt_u64_e64 s[0:1], s[28:29], 2
	s_add_u32 s6, s28, -1
	s_addc_u32 s7, s29, -1
	s_and_b64 vcc, exec, s[0:1]
	s_waitcnt vmcnt(0)
	v_pk_mul_f32 v[10:11], s[34:35], v[6:7]
	v_mul_f32_e32 v5, s35, v6
	v_sub_f32_e32 v4, v10, v11
	v_fmac_f32_e32 v5, s34, v7
	s_cbranch_vccnz .LBB182_34
; %bb.18:
	v_mad_u64_u32 v[6:7], s[0:1], v2, s16, v[2:3]
	v_mov_b32_e32 v10, v7
	s_load_dword s4, s[4:5], 0x0
	v_mad_u64_u32 v[10:11], s[0:1], v2, s17, v[10:11]
	v_mov_b32_e32 v7, v10
	v_lshlrev_b64 v[6:7], 3, v[6:7]
	v_mov_b32_e32 v9, s11
	v_add_co_u32_e32 v6, vcc, s10, v6
	v_addc_co_u32_e32 v7, vcc, v9, v7, vcc
	v_lshl_add_u32 v12, v8, 3, 0
	v_lshlrev_b32_e32 v8, 3, v2
	s_waitcnt lgkmcnt(0)
	s_cmpk_lg_i32 s4, 0x71
	v_add_co_u32_e32 v8, vcc, s10, v8
	v_cndmask_b32_e64 v10, 0, 1, s[2:3]
	s_cselect_b64 s[4:5], -1, 0
	v_addc_co_u32_e32 v9, vcc, 0, v9, vcc
	s_lshl_b64 s[8:9], s[16:17], 3
	s_mov_b64 s[12:13], 0
	v_cmp_ne_u32_e64 s[0:1], 1, v10
	s_branch .LBB182_21
.LBB182_19:                             ;   in Loop: Header=BB182_21 Depth=1
	ds_read_b64 v[14:15], v12
	s_waitcnt vmcnt(0) lgkmcnt(0)
	v_mul_f32_e32 v13, v15, v11
	v_mul_f32_e32 v15, v15, v10
	v_fma_f32 v10, v14, v10, -v13
	v_fmac_f32_e32 v15, v14, v11
	v_sub_f32_e32 v4, v4, v10
	v_sub_f32_e32 v5, v5, v15
.LBB182_20:                             ;   in Loop: Header=BB182_21 Depth=1
	s_or_b64 exec, exec, s[14:15]
	s_add_u32 s12, s12, 1
	s_addc_u32 s13, s13, 0
	v_mov_b32_e32 v10, s9
	v_add_co_u32_e32 v8, vcc, s8, v8
	s_cmp_eq_u64 s[6:7], s[12:13]
	v_addc_co_u32_e32 v9, vcc, v9, v10, vcc
	s_cbranch_scc1 .LBB182_34
.LBB182_21:                             ; =>This Inner Loop Header: Depth=1
	v_cmp_eq_u64_e32 vcc, s[12:13], v[2:3]
	s_barrier
	s_and_saveexec_b64 s[14:15], vcc
	s_cbranch_execz .LBB182_29
; %bb.22:                               ;   in Loop: Header=BB182_21 Depth=1
	flat_load_dwordx2 v[10:11], v[6:7]
	s_and_b64 vcc, exec, s[0:1]
	s_cbranch_vccnz .LBB182_28
; %bb.23:                               ;   in Loop: Header=BB182_21 Depth=1
	s_waitcnt vmcnt(0) lgkmcnt(0)
	v_cmp_gt_f32_e32 vcc, 0, v10
	v_cndmask_b32_e64 v13, v10, -v10, vcc
	v_cmp_gt_f32_e32 vcc, 0, v11
	v_cndmask_b32_e64 v14, v11, -v11, vcc
	v_cmp_ngt_f32_e32 vcc, v13, v14
	s_and_saveexec_b64 s[18:19], vcc
	s_xor_b64 s[18:19], exec, s[18:19]
	s_cbranch_execz .LBB182_25
; %bb.24:                               ;   in Loop: Header=BB182_21 Depth=1
	v_div_scale_f32 v13, s[20:21], v11, v11, v10
	v_rcp_f32_e32 v14, v13
	v_div_scale_f32 v15, vcc, v10, v11, v10
	v_fma_f32 v16, -v13, v14, 1.0
	v_fmac_f32_e32 v14, v16, v14
	v_mul_f32_e32 v16, v15, v14
	v_fma_f32 v17, -v13, v16, v15
	v_fmac_f32_e32 v16, v17, v14
	v_fma_f32 v13, -v13, v16, v15
	v_div_fmas_f32 v13, v13, v14, v16
	v_div_fixup_f32 v13, v13, v11, v10
	v_fmac_f32_e32 v11, v10, v13
	v_div_scale_f32 v10, s[20:21], v11, v11, 1.0
	v_rcp_f32_e32 v14, v10
	v_fma_f32 v15, -v10, v14, 1.0
	v_fmac_f32_e32 v14, v15, v14
	v_div_scale_f32 v15, vcc, 1.0, v11, 1.0
	v_mul_f32_e32 v16, v15, v14
	v_fma_f32 v17, -v10, v16, v15
	v_fmac_f32_e32 v16, v17, v14
	v_fma_f32 v10, -v10, v16, v15
	v_div_fmas_f32 v10, v10, v14, v16
	v_div_fixup_f32 v11, v10, v11, 1.0
	v_mul_f32_e32 v10, v13, v11
	v_xor_b32_e32 v11, 0x80000000, v11
.LBB182_25:                             ;   in Loop: Header=BB182_21 Depth=1
	s_andn2_saveexec_b64 s[18:19], s[18:19]
	s_cbranch_execz .LBB182_27
; %bb.26:                               ;   in Loop: Header=BB182_21 Depth=1
	v_div_scale_f32 v13, s[20:21], v10, v10, v11
	v_rcp_f32_e32 v14, v13
	v_div_scale_f32 v15, vcc, v11, v10, v11
	v_fma_f32 v16, -v13, v14, 1.0
	v_fmac_f32_e32 v14, v16, v14
	v_mul_f32_e32 v16, v15, v14
	v_fma_f32 v17, -v13, v16, v15
	v_fmac_f32_e32 v16, v17, v14
	v_fma_f32 v13, -v13, v16, v15
	v_div_fmas_f32 v13, v13, v14, v16
	v_div_fixup_f32 v13, v13, v10, v11
	v_fmac_f32_e32 v10, v11, v13
	v_div_scale_f32 v11, s[20:21], v10, v10, 1.0
	v_rcp_f32_e32 v14, v11
	v_fma_f32 v15, -v11, v14, 1.0
	v_fmac_f32_e32 v14, v15, v14
	v_div_scale_f32 v15, vcc, 1.0, v10, 1.0
	v_mul_f32_e32 v16, v15, v14
	v_fma_f32 v17, -v11, v16, v15
	v_fmac_f32_e32 v16, v17, v14
	v_fma_f32 v11, -v11, v16, v15
	v_div_fmas_f32 v11, v11, v14, v16
	v_div_fixup_f32 v10, v11, v10, 1.0
	v_mul_f32_e64 v11, v13, -v10
.LBB182_27:                             ;   in Loop: Header=BB182_21 Depth=1
	s_or_b64 exec, exec, s[18:19]
.LBB182_28:                             ;   in Loop: Header=BB182_21 Depth=1
	s_waitcnt vmcnt(0) lgkmcnt(0)
	v_mul_f32_e32 v13, v5, v11
	v_mul_f32_e32 v15, v4, v11
	v_fma_f32 v14, v4, v10, -v13
	v_fmac_f32_e32 v15, v5, v10
	v_mov_b32_e32 v5, v15
	v_mov_b32_e32 v4, v14
	ds_write_b64 v12, v[14:15]
.LBB182_29:                             ;   in Loop: Header=BB182_21 Depth=1
	s_or_b64 exec, exec, s[14:15]
	v_cmp_lt_u64_e32 vcc, s[12:13], v[2:3]
	s_waitcnt lgkmcnt(0)
	s_barrier
	s_and_saveexec_b64 s[14:15], vcc
	s_cbranch_execz .LBB182_20
; %bb.30:                               ;   in Loop: Header=BB182_21 Depth=1
	s_and_b64 vcc, exec, s[4:5]
	s_cbranch_vccz .LBB182_32
; %bb.31:                               ;   in Loop: Header=BB182_21 Depth=1
	flat_load_dwordx2 v[10:11], v[8:9]
	s_cbranch_execnz .LBB182_19
	s_branch .LBB182_33
.LBB182_32:                             ;   in Loop: Header=BB182_21 Depth=1
                                        ; implicit-def: $vgpr10
.LBB182_33:                             ;   in Loop: Header=BB182_21 Depth=1
	s_waitcnt vmcnt(0) lgkmcnt(0)
	flat_load_dwordx2 v[10:11], v[8:9]
	s_waitcnt vmcnt(0) lgkmcnt(0)
	v_xor_b32_e32 v11, 0x80000000, v11
	s_branch .LBB182_19
.LBB182_34:
	v_cmp_eq_u64_e32 vcc, s[6:7], v[2:3]
	s_and_saveexec_b64 s[0:1], vcc
	s_cbranch_execz .LBB182_42
; %bb.35:
	v_mad_u64_u32 v[6:7], s[4:5], v2, s16, v[2:3]
	v_mov_b32_e32 v8, v7
	v_mad_u64_u32 v[2:3], s[4:5], v2, s17, v[8:9]
	v_mov_b32_e32 v7, v2
	v_lshlrev_b64 v[2:3], 3, v[6:7]
	v_mov_b32_e32 v6, s11
	v_add_co_u32_e32 v2, vcc, s10, v2
	v_addc_co_u32_e32 v3, vcc, v6, v3, vcc
	flat_load_dwordx2 v[2:3], v[2:3]
	s_andn2_b64 vcc, exec, s[2:3]
	s_cbranch_vccnz .LBB182_41
; %bb.36:
	s_waitcnt vmcnt(0) lgkmcnt(0)
	v_cmp_gt_f32_e32 vcc, 0, v2
	v_cndmask_b32_e64 v6, v2, -v2, vcc
	v_cmp_gt_f32_e32 vcc, 0, v3
	v_cndmask_b32_e64 v7, v3, -v3, vcc
	v_cmp_ngt_f32_e32 vcc, v6, v7
	s_and_saveexec_b64 s[2:3], vcc
	s_xor_b64 s[2:3], exec, s[2:3]
	s_cbranch_execz .LBB182_38
; %bb.37:
	v_div_scale_f32 v6, s[4:5], v3, v3, v2
	v_rcp_f32_e32 v7, v6
	v_div_scale_f32 v8, vcc, v2, v3, v2
	v_fma_f32 v9, -v6, v7, 1.0
	v_fmac_f32_e32 v7, v9, v7
	v_mul_f32_e32 v9, v8, v7
	v_fma_f32 v10, -v6, v9, v8
	v_fmac_f32_e32 v9, v10, v7
	v_fma_f32 v6, -v6, v9, v8
	v_div_fmas_f32 v6, v6, v7, v9
	v_div_fixup_f32 v6, v6, v3, v2
	v_fmac_f32_e32 v3, v2, v6
	v_div_scale_f32 v2, s[4:5], v3, v3, 1.0
	v_rcp_f32_e32 v7, v2
	v_fma_f32 v8, -v2, v7, 1.0
	v_fmac_f32_e32 v7, v8, v7
	v_div_scale_f32 v8, vcc, 1.0, v3, 1.0
	v_mul_f32_e32 v9, v8, v7
	v_fma_f32 v10, -v2, v9, v8
	v_fmac_f32_e32 v9, v10, v7
	v_fma_f32 v2, -v2, v9, v8
	v_div_fmas_f32 v2, v2, v7, v9
	v_div_fixup_f32 v3, v2, v3, 1.0
	v_mul_f32_e32 v2, v6, v3
	v_xor_b32_e32 v3, 0x80000000, v3
.LBB182_38:
	s_andn2_saveexec_b64 s[2:3], s[2:3]
	s_cbranch_execz .LBB182_40
; %bb.39:
	v_div_scale_f32 v6, s[4:5], v2, v2, v3
	v_rcp_f32_e32 v7, v6
	v_div_scale_f32 v8, vcc, v3, v2, v3
	v_fma_f32 v9, -v6, v7, 1.0
	v_fmac_f32_e32 v7, v9, v7
	v_mul_f32_e32 v9, v8, v7
	v_fma_f32 v10, -v6, v9, v8
	v_fmac_f32_e32 v9, v10, v7
	v_fma_f32 v6, -v6, v9, v8
	v_div_fmas_f32 v6, v6, v7, v9
	v_div_fixup_f32 v6, v6, v2, v3
	v_fmac_f32_e32 v2, v3, v6
	v_div_scale_f32 v3, s[4:5], v2, v2, 1.0
	v_rcp_f32_e32 v7, v3
	v_fma_f32 v8, -v3, v7, 1.0
	v_fmac_f32_e32 v7, v8, v7
	v_div_scale_f32 v8, vcc, 1.0, v2, 1.0
	v_mul_f32_e32 v9, v8, v7
	v_fma_f32 v10, -v3, v9, v8
	v_fmac_f32_e32 v9, v10, v7
	v_fma_f32 v3, -v3, v9, v8
	v_div_fmas_f32 v3, v3, v7, v9
	v_div_fixup_f32 v2, v3, v2, 1.0
	v_mul_f32_e64 v3, v6, -v2
.LBB182_40:
	s_or_b64 exec, exec, s[2:3]
.LBB182_41:
	s_waitcnt vmcnt(0) lgkmcnt(0)
	v_mul_f32_e32 v6, v5, v3
	v_fma_f32 v6, v4, v2, -v6
	v_mul_f32_e32 v5, v5, v2
	v_fmac_f32_e32 v5, v4, v3
	v_mov_b32_e32 v4, v6
.LBB182_42:
	s_or_b64 exec, exec, s[0:1]
	global_store_dwordx2 v[0:1], v[4:5], off
.LBB182_43:
	s_endpgm
	.section	.rodata,"a",@progbits
	.p2align	6, 0x0
	.amdhsa_kernel _ZL39rocblas_trsm_block_forward_substitutionI19rocblas_complex_numIfES1_PKS1_PS1_Lb0ELb1ELb0EEv18rocblas_operation_llT0_T1_lllT2_lllib
		.amdhsa_group_segment_fixed_size 0
		.amdhsa_private_segment_fixed_size 0
		.amdhsa_kernarg_size 360
		.amdhsa_user_sgpr_count 6
		.amdhsa_user_sgpr_private_segment_buffer 1
		.amdhsa_user_sgpr_dispatch_ptr 0
		.amdhsa_user_sgpr_queue_ptr 0
		.amdhsa_user_sgpr_kernarg_segment_ptr 1
		.amdhsa_user_sgpr_dispatch_id 0
		.amdhsa_user_sgpr_flat_scratch_init 0
		.amdhsa_user_sgpr_kernarg_preload_length 0
		.amdhsa_user_sgpr_kernarg_preload_offset 0
		.amdhsa_user_sgpr_private_segment_size 0
		.amdhsa_uses_dynamic_stack 0
		.amdhsa_system_sgpr_private_segment_wavefront_offset 0
		.amdhsa_system_sgpr_workgroup_id_x 1
		.amdhsa_system_sgpr_workgroup_id_y 1
		.amdhsa_system_sgpr_workgroup_id_z 1
		.amdhsa_system_sgpr_workgroup_info 0
		.amdhsa_system_vgpr_workitem_id 1
		.amdhsa_next_free_vgpr 18
		.amdhsa_next_free_sgpr 42
		.amdhsa_accum_offset 20
		.amdhsa_reserve_vcc 1
		.amdhsa_reserve_flat_scratch 0
		.amdhsa_float_round_mode_32 0
		.amdhsa_float_round_mode_16_64 0
		.amdhsa_float_denorm_mode_32 3
		.amdhsa_float_denorm_mode_16_64 3
		.amdhsa_dx10_clamp 1
		.amdhsa_ieee_mode 1
		.amdhsa_fp16_overflow 0
		.amdhsa_tg_split 0
		.amdhsa_exception_fp_ieee_invalid_op 0
		.amdhsa_exception_fp_denorm_src 0
		.amdhsa_exception_fp_ieee_div_zero 0
		.amdhsa_exception_fp_ieee_overflow 0
		.amdhsa_exception_fp_ieee_underflow 0
		.amdhsa_exception_fp_ieee_inexact 0
		.amdhsa_exception_int_div_zero 0
	.end_amdhsa_kernel
	.section	.text._ZL39rocblas_trsm_block_forward_substitutionI19rocblas_complex_numIfES1_PKS1_PS1_Lb0ELb1ELb0EEv18rocblas_operation_llT0_T1_lllT2_lllib,"axG",@progbits,_ZL39rocblas_trsm_block_forward_substitutionI19rocblas_complex_numIfES1_PKS1_PS1_Lb0ELb1ELb0EEv18rocblas_operation_llT0_T1_lllT2_lllib,comdat
.Lfunc_end182:
	.size	_ZL39rocblas_trsm_block_forward_substitutionI19rocblas_complex_numIfES1_PKS1_PS1_Lb0ELb1ELb0EEv18rocblas_operation_llT0_T1_lllT2_lllib, .Lfunc_end182-_ZL39rocblas_trsm_block_forward_substitutionI19rocblas_complex_numIfES1_PKS1_PS1_Lb0ELb1ELb0EEv18rocblas_operation_llT0_T1_lllT2_lllib
                                        ; -- End function
	.section	.AMDGPU.csdata,"",@progbits
; Kernel info:
; codeLenInByte = 2296
; NumSgprs: 46
; NumVgprs: 18
; NumAgprs: 0
; TotalNumVgprs: 18
; ScratchSize: 0
; MemoryBound: 0
; FloatMode: 240
; IeeeMode: 1
; LDSByteSize: 0 bytes/workgroup (compile time only)
; SGPRBlocks: 5
; VGPRBlocks: 2
; NumSGPRsForWavesPerEU: 46
; NumVGPRsForWavesPerEU: 18
; AccumOffset: 20
; Occupancy: 8
; WaveLimiterHint : 1
; COMPUTE_PGM_RSRC2:SCRATCH_EN: 0
; COMPUTE_PGM_RSRC2:USER_SGPR: 6
; COMPUTE_PGM_RSRC2:TRAP_HANDLER: 0
; COMPUTE_PGM_RSRC2:TGID_X_EN: 1
; COMPUTE_PGM_RSRC2:TGID_Y_EN: 1
; COMPUTE_PGM_RSRC2:TGID_Z_EN: 1
; COMPUTE_PGM_RSRC2:TIDIG_COMP_CNT: 1
; COMPUTE_PGM_RSRC3_GFX90A:ACCUM_OFFSET: 4
; COMPUTE_PGM_RSRC3_GFX90A:TG_SPLIT: 0
	.section	.text._ZL40rocblas_trsm_block_backward_substitutionI19rocblas_complex_numIfES1_PKS1_PS1_Lb0ELb1ELb0EEv18rocblas_operation_llT0_T1_lllT2_lllib,"axG",@progbits,_ZL40rocblas_trsm_block_backward_substitutionI19rocblas_complex_numIfES1_PKS1_PS1_Lb0ELb1ELb0EEv18rocblas_operation_llT0_T1_lllT2_lllib,comdat
	.globl	_ZL40rocblas_trsm_block_backward_substitutionI19rocblas_complex_numIfES1_PKS1_PS1_Lb0ELb1ELb0EEv18rocblas_operation_llT0_T1_lllT2_lllib ; -- Begin function _ZL40rocblas_trsm_block_backward_substitutionI19rocblas_complex_numIfES1_PKS1_PS1_Lb0ELb1ELb0EEv18rocblas_operation_llT0_T1_lllT2_lllib
	.p2align	8
	.type	_ZL40rocblas_trsm_block_backward_substitutionI19rocblas_complex_numIfES1_PKS1_PS1_Lb0ELb1ELb0EEv18rocblas_operation_llT0_T1_lllT2_lllib,@function
_ZL40rocblas_trsm_block_backward_substitutionI19rocblas_complex_numIfES1_PKS1_PS1_Lb0ELb1ELb0EEv18rocblas_operation_llT0_T1_lllT2_lllib: ; @_ZL40rocblas_trsm_block_backward_substitutionI19rocblas_complex_numIfES1_PKS1_PS1_Lb0ELb1ELb0EEv18rocblas_operation_llT0_T1_lllT2_lllib
; %bb.0:
	s_load_dwordx16 s[12:27], s[4:5], 0x20
	s_load_dword s0, s[4:5], 0x64
	s_load_dwordx4 s[28:31], s[4:5], 0x8
	s_load_dwordx2 s[36:37], s[4:5], 0x18
	s_load_dword s6, s[4:5], 0x74
	v_and_b32_e32 v2, 0x3ff, v0
	s_waitcnt lgkmcnt(0)
	s_bitcmp1_b32 s0, 0
	s_cselect_b64 s[0:1], -1, 0
	s_xor_b64 s[34:35], s[0:1], -1
	s_mul_i32 s0, s8, s19
	s_mul_hi_u32 s1, s8, s18
	s_add_i32 s1, s1, s0
	s_mul_i32 s0, s8, s18
	s_lshl_b64 s[0:1], s[0:1], 3
	s_add_u32 s2, s12, s0
	s_addc_u32 s3, s13, s1
	s_lshl_b64 s[0:1], s[14:15], 3
	s_add_u32 s2, s2, s0
	s_addc_u32 s3, s3, s1
	s_add_u32 s12, s4, 0x68
	v_bfe_u32 v10, v0, 10, 10
	s_addc_u32 s13, s5, 0
	s_lshr_b32 s6, s6, 16
	s_mov_b64 s[0:1], 1
	s_and_b64 vcc, exec, s[34:35]
	s_cbranch_vccnz .LBB183_15
; %bb.1:
	s_lshl_b32 s0, s6, 3
	s_add_i32 s14, s0, 0
	v_cmp_lt_i64_e64 s[0:1], s[28:29], 1
	s_mov_b64 s[10:11], 1
	s_and_b64 vcc, exec, s[0:1]
	s_cbranch_vccnz .LBB183_16
; %bb.2:
	v_mad_u64_u32 v[0:1], s[38:39], v2, s16, 0
	v_mov_b32_e32 v4, v1
	v_mad_u64_u32 v[4:5], s[16:17], v2, s17, v[4:5]
	v_mov_b32_e32 v1, v4
	v_mov_b32_e32 v3, 0
	v_lshlrev_b64 v[0:1], 3, v[0:1]
	v_cmp_le_u64_e64 s[18:19], s[28:29], v[2:3]
	v_cmp_gt_u64_e64 s[0:1], s[28:29], v[2:3]
	v_mov_b32_e32 v4, s3
	v_add_co_u32_e32 v3, vcc, s2, v0
	v_lshlrev_b32_e32 v6, 3, v2
	v_addc_co_u32_e32 v12, vcc, v4, v1, vcc
	v_add_co_u32_e32 v0, vcc, v3, v6
	v_add_u32_e32 v11, s14, v6
	v_addc_co_u32_e32 v1, vcc, 0, v12, vcc
	s_xor_b64 s[16:17], s[18:19], -1
	s_mov_b32 s38, s6
	v_mov_b32_e32 v4, v10
	s_branch .LBB183_5
.LBB183_3:                              ;   in Loop: Header=BB183_5 Depth=1
	s_or_b64 exec, exec, s[40:41]
	s_load_dword s9, s[12:13], 0xc
	s_waitcnt lgkmcnt(0)
	s_and_b32 s9, s9, 0xffff
	v_mul_u32_u24_e32 v5, s9, v2
	v_lshl_add_u32 v5, v5, 3, v11
	ds_write_b64 v5, v[8:9]
.LBB183_4:                              ;   in Loop: Header=BB183_5 Depth=1
	s_or_b64 exec, exec, s[2:3]
	s_ashr_i32 s39, s38, 31
	v_pk_mov_b32 v[6:7], s[28:29], s[28:29] op_sel:[0,1]
	v_cmp_ge_i64_e32 vcc, s[38:39], v[6:7]
	v_add_u32_e32 v4, s6, v4
	s_add_i32 s38, s38, s6
	s_cbranch_vccnz .LBB183_16
.LBB183_5:                              ; =>This Inner Loop Header: Depth=1
	s_mov_b64 s[42:43], s[18:19]
	s_and_saveexec_b64 s[40:41], s[0:1]
	s_cbranch_execz .LBB183_9
; %bb.6:                                ;   in Loop: Header=BB183_5 Depth=1
	v_ashrrev_i32_e32 v5, 31, v4
	v_cmp_gt_i64_e32 vcc, s[28:29], v[4:5]
	v_cmp_lt_i32_e64 s[2:3], v2, v4
	s_and_b64 s[44:45], s[2:3], vcc
	s_mov_b64 s[42:43], -1
	s_and_saveexec_b64 s[2:3], s[44:45]
	s_cbranch_execz .LBB183_8
; %bb.7:                                ;   in Loop: Header=BB183_5 Depth=1
	v_lshlrev_b64 v[6:7], 3, v[4:5]
	v_add_co_u32_e32 v6, vcc, v3, v6
	v_addc_co_u32_e32 v7, vcc, v12, v7, vcc
	global_load_dwordx2 v[6:7], v[6:7], off
	s_load_dword s9, s[12:13], 0xc
	s_xor_b64 s[42:43], exec, -1
	s_waitcnt lgkmcnt(0)
	s_and_b32 s9, s9, 0xffff
	v_mul_lo_u32 v5, v4, s9
	v_lshl_add_u32 v5, v5, 3, v11
	s_waitcnt vmcnt(0)
	ds_write_b64 v5, v[6:7]
.LBB183_8:                              ;   in Loop: Header=BB183_5 Depth=1
	s_or_b64 exec, exec, s[2:3]
	s_andn2_b64 s[2:3], s[18:19], exec
	s_and_b64 s[42:43], s[42:43], exec
	s_or_b64 s[42:43], s[2:3], s[42:43]
.LBB183_9:                              ;   in Loop: Header=BB183_5 Depth=1
	s_or_b64 exec, exec, s[40:41]
	s_and_saveexec_b64 s[2:3], s[42:43]
	s_cbranch_execz .LBB183_4
; %bb.10:                               ;   in Loop: Header=BB183_5 Depth=1
	v_cmp_eq_u32_e32 vcc, v2, v4
	s_and_b64 s[40:41], s[16:17], vcc
	s_and_b64 exec, exec, s[40:41]
	s_cbranch_execz .LBB183_4
; %bb.11:                               ;   in Loop: Header=BB183_5 Depth=1
	global_load_dwordx2 v[6:7], v[0:1], off
	s_waitcnt vmcnt(0)
	v_cmp_gt_f32_e32 vcc, 0, v7
	v_cndmask_b32_e64 v5, v7, -v7, vcc
	v_cmp_gt_f32_e32 vcc, 0, v6
	v_cndmask_b32_e64 v8, v6, -v6, vcc
	v_cmp_ngt_f32_e32 vcc, v8, v5
                                        ; implicit-def: $vgpr8_vgpr9
	s_and_saveexec_b64 s[40:41], vcc
	s_xor_b64 s[40:41], exec, s[40:41]
	s_cbranch_execz .LBB183_13
; %bb.12:                               ;   in Loop: Header=BB183_5 Depth=1
	v_div_scale_f32 v5, s[42:43], v7, v7, v6
	v_rcp_f32_e32 v8, v5
	v_div_scale_f32 v9, vcc, v6, v7, v6
	v_fma_f32 v13, -v5, v8, 1.0
	v_fmac_f32_e32 v8, v13, v8
	v_mul_f32_e32 v13, v9, v8
	v_fma_f32 v14, -v5, v13, v9
	v_fmac_f32_e32 v13, v14, v8
	v_fma_f32 v5, -v5, v13, v9
	v_div_fmas_f32 v5, v5, v8, v13
	v_div_fixup_f32 v5, v5, v7, v6
	v_fmac_f32_e32 v7, v6, v5
	v_div_scale_f32 v6, s[42:43], v7, v7, 1.0
	v_rcp_f32_e32 v8, v6
	v_fma_f32 v9, -v6, v8, 1.0
	v_fmac_f32_e32 v8, v9, v8
	v_div_scale_f32 v9, vcc, 1.0, v7, 1.0
	v_mul_f32_e32 v13, v9, v8
	v_fma_f32 v14, -v6, v13, v9
	v_fmac_f32_e32 v13, v14, v8
	v_fma_f32 v6, -v6, v13, v9
	v_div_fmas_f32 v6, v6, v8, v13
	v_div_fixup_f32 v6, v6, v7, 1.0
	v_mul_f32_e32 v8, v5, v6
	v_xor_b32_e32 v9, 0x80000000, v6
                                        ; implicit-def: $vgpr6_vgpr7
.LBB183_13:                             ;   in Loop: Header=BB183_5 Depth=1
	s_andn2_saveexec_b64 s[40:41], s[40:41]
	s_cbranch_execz .LBB183_3
; %bb.14:                               ;   in Loop: Header=BB183_5 Depth=1
	v_div_scale_f32 v5, s[42:43], v6, v6, v7
	v_rcp_f32_e32 v8, v5
	v_div_scale_f32 v9, vcc, v7, v6, v7
	v_fma_f32 v13, -v5, v8, 1.0
	v_fmac_f32_e32 v8, v13, v8
	v_mul_f32_e32 v13, v9, v8
	v_fma_f32 v14, -v5, v13, v9
	v_fmac_f32_e32 v13, v14, v8
	v_fma_f32 v5, -v5, v13, v9
	v_div_fmas_f32 v5, v5, v8, v13
	v_div_fixup_f32 v5, v5, v6, v7
	v_fmac_f32_e32 v6, v7, v5
	v_div_scale_f32 v7, s[42:43], v6, v6, 1.0
	v_rcp_f32_e32 v8, v7
	v_fma_f32 v9, -v7, v8, 1.0
	v_fmac_f32_e32 v8, v9, v8
	v_div_scale_f32 v9, vcc, 1.0, v6, 1.0
	v_mul_f32_e32 v13, v9, v8
	v_fma_f32 v14, -v7, v13, v9
	v_fmac_f32_e32 v13, v14, v8
	v_fma_f32 v7, -v7, v13, v9
	v_div_fmas_f32 v7, v7, v8, v13
	v_div_fixup_f32 v8, v7, v6, 1.0
	v_mul_f32_e64 v9, v5, -v8
	s_branch .LBB183_3
.LBB183_15:
	s_mov_b32 s10, s16
	s_mov_b32 s11, s17
	s_branch .LBB183_17
.LBB183_16:
	s_load_dword s0, s[12:13], 0xc
	s_mov_b64 s[2:3], src_shared_base
	s_mov_b32 s15, s3
	s_mov_b32 s1, 0
	s_mov_b64 s[2:3], s[14:15]
	s_waitcnt lgkmcnt(0)
	s_and_b32 s0, s0, 0xffff
.LBB183_17:
	s_mul_i32 s7, s7, s6
	v_add_u32_e32 v0, s7, v10
	v_mov_b32_e32 v1, 0
	v_cmp_gt_i64_e32 vcc, s[30:31], v[0:1]
	s_and_saveexec_b64 s[6:7], vcc
	s_cbranch_execz .LBB183_46
; %bb.18:
	v_mov_b32_e32 v3, v1
	v_cmp_gt_i64_e32 vcc, s[28:29], v[2:3]
	s_and_b64 exec, exec, vcc
	s_cbranch_execz .LBB183_46
; %bb.19:
	s_mul_i32 s6, s8, s27
	s_mul_hi_u32 s7, s8, s26
	s_add_i32 s7, s7, s6
	s_mul_i32 s6, s8, s26
	s_lshl_b64 s[6:7], s[6:7], 3
	s_add_u32 s8, s20, s6
	s_addc_u32 s9, s21, s7
	s_lshl_b64 s[6:7], s[22:23], 3
	s_add_u32 s8, s8, s6
	s_addc_u32 s9, s9, s7
	v_mad_u64_u32 v[4:5], s[6:7], v0, s24, 0
	v_mov_b32_e32 v6, v5
	v_mad_u64_u32 v[0:1], s[6:7], v0, s25, v[6:7]
	v_mov_b32_e32 v5, v0
	v_lshlrev_b64 v[0:1], 3, v[4:5]
	v_mov_b32_e32 v4, s9
	v_add_co_u32_e32 v0, vcc, s8, v0
	v_addc_co_u32_e32 v1, vcc, v4, v1, vcc
	v_lshlrev_b32_e32 v4, 3, v2
	v_add_co_u32_e32 v0, vcc, v0, v4
	v_addc_co_u32_e32 v1, vcc, 0, v1, vcc
	global_load_dwordx2 v[6:7], v[0:1], off
	v_cmp_lt_u64_e64 s[6:7], s[28:29], 2
	s_and_b64 vcc, exec, s[6:7]
	s_waitcnt vmcnt(0)
	v_pk_mul_f32 v[8:9], s[36:37], v[6:7]
	v_mul_f32_e32 v5, s37, v6
	v_sub_f32_e32 v4, v8, v9
	v_fmac_f32_e32 v5, s36, v7
	s_cbranch_vccnz .LBB183_37
; %bb.20:
	s_load_dword s4, s[4:5], 0x0
	v_lshl_add_u32 v12, v10, 3, 0
	s_waitcnt lgkmcnt(0)
	s_cmpk_lg_i32 s4, 0x71
	s_cselect_b64 s[4:5], -1, 0
	s_add_u32 s6, s0, s10
	v_mad_u64_u32 v[6:7], s[6:7], s6, v2, 0
	s_addc_u32 s8, s1, s11
	v_mov_b32_e32 v8, v7
	v_mad_u64_u32 v[8:9], s[6:7], s8, v2, v[8:9]
	v_mov_b32_e32 v7, v8
	v_lshlrev_b64 v[6:7], 3, v[6:7]
	v_mov_b32_e32 v8, s3
	v_add_co_u32_e32 v6, vcc, s2, v6
	v_addc_co_u32_e32 v7, vcc, v8, v7, vcc
	v_mad_u64_u32 v[8:9], s[6:7], s10, v2, 0
	v_mov_b32_e32 v10, v9
	v_mad_u64_u32 v[10:11], s[6:7], s11, v2, v[10:11]
	s_add_u32 s6, s28, -1
	s_addc_u32 s7, s29, -1
	s_mul_i32 s8, s0, s7
	s_mul_hi_u32 s9, s0, s6
	s_add_i32 s9, s9, s8
	s_mul_i32 s8, s0, s6
	v_mov_b32_e32 v9, v10
	s_lshl_b64 s[8:9], s[8:9], 3
	v_lshlrev_b64 v[8:9], 3, v[8:9]
	s_add_u32 s8, s2, s8
	s_addc_u32 s9, s3, s9
	v_add_co_u32_e32 v8, vcc, s8, v8
	s_lshl_b32 s8, s0, 3
	v_mov_b32_e32 v10, s9
	s_sub_u32 s14, 0, s8
	v_addc_co_u32_e32 v9, vcc, v10, v9, vcc
	s_subb_u32 s15, 0, 0
.LBB183_21:                             ; =>This Inner Loop Header: Depth=1
	v_cmp_eq_u64_e32 vcc, s[6:7], v[2:3]
	s_barrier
	s_and_saveexec_b64 s[8:9], vcc
	s_cbranch_execz .LBB183_29
; %bb.22:                               ;   in Loop: Header=BB183_21 Depth=1
	flat_load_dwordx2 v[10:11], v[6:7]
	s_andn2_b64 vcc, exec, s[34:35]
	s_cbranch_vccnz .LBB183_28
; %bb.23:                               ;   in Loop: Header=BB183_21 Depth=1
	s_waitcnt vmcnt(0) lgkmcnt(0)
	v_cmp_gt_f32_e32 vcc, 0, v10
	v_cndmask_b32_e64 v13, v10, -v10, vcc
	v_cmp_gt_f32_e32 vcc, 0, v11
	v_cndmask_b32_e64 v14, v11, -v11, vcc
	v_cmp_ngt_f32_e32 vcc, v13, v14
	s_and_saveexec_b64 s[12:13], vcc
	s_xor_b64 s[12:13], exec, s[12:13]
	s_cbranch_execz .LBB183_25
; %bb.24:                               ;   in Loop: Header=BB183_21 Depth=1
	v_div_scale_f32 v13, s[16:17], v11, v11, v10
	v_rcp_f32_e32 v14, v13
	v_div_scale_f32 v15, vcc, v10, v11, v10
	v_fma_f32 v16, -v13, v14, 1.0
	v_fmac_f32_e32 v14, v16, v14
	v_mul_f32_e32 v16, v15, v14
	v_fma_f32 v17, -v13, v16, v15
	v_fmac_f32_e32 v16, v17, v14
	v_fma_f32 v13, -v13, v16, v15
	v_div_fmas_f32 v13, v13, v14, v16
	v_div_fixup_f32 v13, v13, v11, v10
	v_fmac_f32_e32 v11, v10, v13
	v_div_scale_f32 v10, s[16:17], v11, v11, 1.0
	v_rcp_f32_e32 v14, v10
	v_fma_f32 v15, -v10, v14, 1.0
	v_fmac_f32_e32 v14, v15, v14
	v_div_scale_f32 v15, vcc, 1.0, v11, 1.0
	v_mul_f32_e32 v16, v15, v14
	v_fma_f32 v17, -v10, v16, v15
	v_fmac_f32_e32 v16, v17, v14
	v_fma_f32 v10, -v10, v16, v15
	v_div_fmas_f32 v10, v10, v14, v16
	v_div_fixup_f32 v11, v10, v11, 1.0
	v_mul_f32_e32 v10, v13, v11
	v_xor_b32_e32 v11, 0x80000000, v11
.LBB183_25:                             ;   in Loop: Header=BB183_21 Depth=1
	s_andn2_saveexec_b64 s[12:13], s[12:13]
	s_cbranch_execz .LBB183_27
; %bb.26:                               ;   in Loop: Header=BB183_21 Depth=1
	v_div_scale_f32 v13, s[16:17], v10, v10, v11
	v_rcp_f32_e32 v14, v13
	v_div_scale_f32 v15, vcc, v11, v10, v11
	v_fma_f32 v16, -v13, v14, 1.0
	v_fmac_f32_e32 v14, v16, v14
	v_mul_f32_e32 v16, v15, v14
	v_fma_f32 v17, -v13, v16, v15
	v_fmac_f32_e32 v16, v17, v14
	v_fma_f32 v13, -v13, v16, v15
	v_div_fmas_f32 v13, v13, v14, v16
	v_div_fixup_f32 v13, v13, v10, v11
	v_fmac_f32_e32 v10, v11, v13
	v_div_scale_f32 v11, s[16:17], v10, v10, 1.0
	v_rcp_f32_e32 v14, v11
	v_fma_f32 v15, -v11, v14, 1.0
	v_fmac_f32_e32 v14, v15, v14
	v_div_scale_f32 v15, vcc, 1.0, v10, 1.0
	v_mul_f32_e32 v16, v15, v14
	v_fma_f32 v17, -v11, v16, v15
	v_fmac_f32_e32 v16, v17, v14
	v_fma_f32 v11, -v11, v16, v15
	v_div_fmas_f32 v11, v11, v14, v16
	v_div_fixup_f32 v10, v11, v10, 1.0
	v_mul_f32_e64 v11, v13, -v10
.LBB183_27:                             ;   in Loop: Header=BB183_21 Depth=1
	s_or_b64 exec, exec, s[12:13]
.LBB183_28:                             ;   in Loop: Header=BB183_21 Depth=1
	s_waitcnt vmcnt(0) lgkmcnt(0)
	v_mul_f32_e32 v13, v5, v11
	v_mul_f32_e32 v15, v4, v11
	v_fma_f32 v14, v4, v10, -v13
	v_fmac_f32_e32 v15, v5, v10
	v_mov_b32_e32 v5, v15
	v_mov_b32_e32 v4, v14
	ds_write_b64 v12, v[14:15]
.LBB183_29:                             ;   in Loop: Header=BB183_21 Depth=1
	s_or_b64 exec, exec, s[8:9]
	v_cmp_gt_i64_e32 vcc, s[6:7], v[2:3]
	s_waitcnt lgkmcnt(0)
	s_barrier
	s_and_saveexec_b64 s[8:9], vcc
	s_cbranch_execz .LBB183_35
; %bb.30:                               ;   in Loop: Header=BB183_21 Depth=1
	s_and_b64 vcc, exec, s[4:5]
	s_cbranch_vccz .LBB183_32
; %bb.31:                               ;   in Loop: Header=BB183_21 Depth=1
	flat_load_dwordx2 v[10:11], v[8:9]
	s_cbranch_execz .LBB183_33
	s_branch .LBB183_34
.LBB183_32:                             ;   in Loop: Header=BB183_21 Depth=1
                                        ; implicit-def: $vgpr10
.LBB183_33:                             ;   in Loop: Header=BB183_21 Depth=1
	s_waitcnt vmcnt(0) lgkmcnt(0)
	flat_load_dwordx2 v[10:11], v[8:9]
	s_waitcnt vmcnt(0) lgkmcnt(0)
	v_xor_b32_e32 v11, 0x80000000, v11
.LBB183_34:                             ;   in Loop: Header=BB183_21 Depth=1
	ds_read_b64 v[14:15], v12
	s_waitcnt vmcnt(0) lgkmcnt(0)
	v_mul_f32_e32 v13, v15, v11
	v_mul_f32_e32 v15, v15, v10
	v_fma_f32 v10, v14, v10, -v13
	v_fmac_f32_e32 v15, v14, v11
	v_sub_f32_e32 v4, v4, v10
	v_sub_f32_e32 v5, v5, v15
.LBB183_35:                             ;   in Loop: Header=BB183_21 Depth=1
	s_or_b64 exec, exec, s[8:9]
	s_add_u32 s8, s6, -1
	s_addc_u32 s9, s7, -1
	s_add_u32 s6, s6, 1
	s_addc_u32 s7, s7, 0
	v_mov_b32_e32 v10, s15
	v_add_co_u32_e32 v8, vcc, s14, v8
	v_addc_co_u32_e32 v9, vcc, v9, v10, vcc
	v_cmp_lt_u64_e64 s[6:7], s[6:7], 3
	s_and_b64 vcc, exec, s[6:7]
	s_cbranch_vccnz .LBB183_37
; %bb.36:                               ;   in Loop: Header=BB183_21 Depth=1
	s_mov_b64 s[6:7], s[8:9]
	s_branch .LBB183_21
.LBB183_37:
	v_cmp_eq_u32_e32 vcc, 0, v2
	s_and_saveexec_b64 s[4:5], vcc
	s_cbranch_execz .LBB183_45
; %bb.38:
	s_add_u32 s0, s0, s10
	s_addc_u32 s6, s1, s11
	v_mad_u64_u32 v[6:7], s[0:1], s0, v2, 0
	v_mov_b32_e32 v8, v7
	v_mad_u64_u32 v[2:3], s[0:1], s6, v2, v[8:9]
	v_mov_b32_e32 v7, v2
	v_lshlrev_b64 v[2:3], 3, v[6:7]
	v_mov_b32_e32 v6, s3
	v_add_co_u32_e32 v2, vcc, s2, v2
	v_addc_co_u32_e32 v3, vcc, v6, v3, vcc
	flat_load_dwordx2 v[2:3], v[2:3]
	s_andn2_b64 vcc, exec, s[34:35]
	s_cbranch_vccnz .LBB183_44
; %bb.39:
	s_waitcnt vmcnt(0) lgkmcnt(0)
	v_cmp_gt_f32_e32 vcc, 0, v2
	v_cndmask_b32_e64 v6, v2, -v2, vcc
	v_cmp_gt_f32_e32 vcc, 0, v3
	v_cndmask_b32_e64 v7, v3, -v3, vcc
	v_cmp_ngt_f32_e32 vcc, v6, v7
	s_and_saveexec_b64 s[0:1], vcc
	s_xor_b64 s[0:1], exec, s[0:1]
	s_cbranch_execz .LBB183_41
; %bb.40:
	v_div_scale_f32 v6, s[2:3], v3, v3, v2
	v_rcp_f32_e32 v7, v6
	v_div_scale_f32 v8, vcc, v2, v3, v2
	v_fma_f32 v9, -v6, v7, 1.0
	v_fmac_f32_e32 v7, v9, v7
	v_mul_f32_e32 v9, v8, v7
	v_fma_f32 v10, -v6, v9, v8
	v_fmac_f32_e32 v9, v10, v7
	v_fma_f32 v6, -v6, v9, v8
	v_div_fmas_f32 v6, v6, v7, v9
	v_div_fixup_f32 v6, v6, v3, v2
	v_fmac_f32_e32 v3, v2, v6
	v_div_scale_f32 v2, s[2:3], v3, v3, 1.0
	v_rcp_f32_e32 v7, v2
	v_fma_f32 v8, -v2, v7, 1.0
	v_fmac_f32_e32 v7, v8, v7
	v_div_scale_f32 v8, vcc, 1.0, v3, 1.0
	v_mul_f32_e32 v9, v8, v7
	v_fma_f32 v10, -v2, v9, v8
	v_fmac_f32_e32 v9, v10, v7
	v_fma_f32 v2, -v2, v9, v8
	v_div_fmas_f32 v2, v2, v7, v9
	v_div_fixup_f32 v3, v2, v3, 1.0
	v_mul_f32_e32 v2, v6, v3
	v_xor_b32_e32 v3, 0x80000000, v3
.LBB183_41:
	s_andn2_saveexec_b64 s[0:1], s[0:1]
	s_cbranch_execz .LBB183_43
; %bb.42:
	v_div_scale_f32 v6, s[2:3], v2, v2, v3
	v_rcp_f32_e32 v7, v6
	v_div_scale_f32 v8, vcc, v3, v2, v3
	v_fma_f32 v9, -v6, v7, 1.0
	v_fmac_f32_e32 v7, v9, v7
	v_mul_f32_e32 v9, v8, v7
	v_fma_f32 v10, -v6, v9, v8
	v_fmac_f32_e32 v9, v10, v7
	v_fma_f32 v6, -v6, v9, v8
	v_div_fmas_f32 v6, v6, v7, v9
	v_div_fixup_f32 v6, v6, v2, v3
	v_fmac_f32_e32 v2, v3, v6
	v_div_scale_f32 v3, s[2:3], v2, v2, 1.0
	v_rcp_f32_e32 v7, v3
	v_fma_f32 v8, -v3, v7, 1.0
	v_fmac_f32_e32 v7, v8, v7
	v_div_scale_f32 v8, vcc, 1.0, v2, 1.0
	v_mul_f32_e32 v9, v8, v7
	v_fma_f32 v10, -v3, v9, v8
	v_fmac_f32_e32 v9, v10, v7
	v_fma_f32 v3, -v3, v9, v8
	v_div_fmas_f32 v3, v3, v7, v9
	v_div_fixup_f32 v2, v3, v2, 1.0
	v_mul_f32_e64 v3, v6, -v2
.LBB183_43:
	s_or_b64 exec, exec, s[0:1]
.LBB183_44:
	s_waitcnt vmcnt(0) lgkmcnt(0)
	v_mul_f32_e32 v6, v5, v3
	v_fma_f32 v6, v4, v2, -v6
	v_mul_f32_e32 v5, v5, v2
	v_fmac_f32_e32 v5, v4, v3
	v_mov_b32_e32 v4, v6
.LBB183_45:
	s_or_b64 exec, exec, s[4:5]
	global_store_dwordx2 v[0:1], v[4:5], off
.LBB183_46:
	s_endpgm
	.section	.rodata,"a",@progbits
	.p2align	6, 0x0
	.amdhsa_kernel _ZL40rocblas_trsm_block_backward_substitutionI19rocblas_complex_numIfES1_PKS1_PS1_Lb0ELb1ELb0EEv18rocblas_operation_llT0_T1_lllT2_lllib
		.amdhsa_group_segment_fixed_size 0
		.amdhsa_private_segment_fixed_size 0
		.amdhsa_kernarg_size 360
		.amdhsa_user_sgpr_count 6
		.amdhsa_user_sgpr_private_segment_buffer 1
		.amdhsa_user_sgpr_dispatch_ptr 0
		.amdhsa_user_sgpr_queue_ptr 0
		.amdhsa_user_sgpr_kernarg_segment_ptr 1
		.amdhsa_user_sgpr_dispatch_id 0
		.amdhsa_user_sgpr_flat_scratch_init 0
		.amdhsa_user_sgpr_kernarg_preload_length 0
		.amdhsa_user_sgpr_kernarg_preload_offset 0
		.amdhsa_user_sgpr_private_segment_size 0
		.amdhsa_uses_dynamic_stack 0
		.amdhsa_system_sgpr_private_segment_wavefront_offset 0
		.amdhsa_system_sgpr_workgroup_id_x 1
		.amdhsa_system_sgpr_workgroup_id_y 1
		.amdhsa_system_sgpr_workgroup_id_z 1
		.amdhsa_system_sgpr_workgroup_info 0
		.amdhsa_system_vgpr_workitem_id 1
		.amdhsa_next_free_vgpr 18
		.amdhsa_next_free_sgpr 46
		.amdhsa_accum_offset 20
		.amdhsa_reserve_vcc 1
		.amdhsa_reserve_flat_scratch 0
		.amdhsa_float_round_mode_32 0
		.amdhsa_float_round_mode_16_64 0
		.amdhsa_float_denorm_mode_32 3
		.amdhsa_float_denorm_mode_16_64 3
		.amdhsa_dx10_clamp 1
		.amdhsa_ieee_mode 1
		.amdhsa_fp16_overflow 0
		.amdhsa_tg_split 0
		.amdhsa_exception_fp_ieee_invalid_op 0
		.amdhsa_exception_fp_denorm_src 0
		.amdhsa_exception_fp_ieee_div_zero 0
		.amdhsa_exception_fp_ieee_overflow 0
		.amdhsa_exception_fp_ieee_underflow 0
		.amdhsa_exception_fp_ieee_inexact 0
		.amdhsa_exception_int_div_zero 0
	.end_amdhsa_kernel
	.section	.text._ZL40rocblas_trsm_block_backward_substitutionI19rocblas_complex_numIfES1_PKS1_PS1_Lb0ELb1ELb0EEv18rocblas_operation_llT0_T1_lllT2_lllib,"axG",@progbits,_ZL40rocblas_trsm_block_backward_substitutionI19rocblas_complex_numIfES1_PKS1_PS1_Lb0ELb1ELb0EEv18rocblas_operation_llT0_T1_lllT2_lllib,comdat
.Lfunc_end183:
	.size	_ZL40rocblas_trsm_block_backward_substitutionI19rocblas_complex_numIfES1_PKS1_PS1_Lb0ELb1ELb0EEv18rocblas_operation_llT0_T1_lllT2_lllib, .Lfunc_end183-_ZL40rocblas_trsm_block_backward_substitutionI19rocblas_complex_numIfES1_PKS1_PS1_Lb0ELb1ELb0EEv18rocblas_operation_llT0_T1_lllT2_lllib
                                        ; -- End function
	.section	.AMDGPU.csdata,"",@progbits
; Kernel info:
; codeLenInByte = 2396
; NumSgprs: 50
; NumVgprs: 18
; NumAgprs: 0
; TotalNumVgprs: 18
; ScratchSize: 0
; MemoryBound: 0
; FloatMode: 240
; IeeeMode: 1
; LDSByteSize: 0 bytes/workgroup (compile time only)
; SGPRBlocks: 6
; VGPRBlocks: 2
; NumSGPRsForWavesPerEU: 50
; NumVGPRsForWavesPerEU: 18
; AccumOffset: 20
; Occupancy: 8
; WaveLimiterHint : 1
; COMPUTE_PGM_RSRC2:SCRATCH_EN: 0
; COMPUTE_PGM_RSRC2:USER_SGPR: 6
; COMPUTE_PGM_RSRC2:TRAP_HANDLER: 0
; COMPUTE_PGM_RSRC2:TGID_X_EN: 1
; COMPUTE_PGM_RSRC2:TGID_Y_EN: 1
; COMPUTE_PGM_RSRC2:TGID_Z_EN: 1
; COMPUTE_PGM_RSRC2:TIDIG_COMP_CNT: 1
; COMPUTE_PGM_RSRC3_GFX90A:ACCUM_OFFSET: 4
; COMPUTE_PGM_RSRC3_GFX90A:TG_SPLIT: 0
	.section	.text._ZL39rocblas_trsm_block_forward_substitutionI19rocblas_complex_numIfES1_PKS1_PS1_Lb0ELb1ELb1EEv18rocblas_operation_llT0_T1_lllT2_lllib,"axG",@progbits,_ZL39rocblas_trsm_block_forward_substitutionI19rocblas_complex_numIfES1_PKS1_PS1_Lb0ELb1ELb1EEv18rocblas_operation_llT0_T1_lllT2_lllib,comdat
	.globl	_ZL39rocblas_trsm_block_forward_substitutionI19rocblas_complex_numIfES1_PKS1_PS1_Lb0ELb1ELb1EEv18rocblas_operation_llT0_T1_lllT2_lllib ; -- Begin function _ZL39rocblas_trsm_block_forward_substitutionI19rocblas_complex_numIfES1_PKS1_PS1_Lb0ELb1ELb1EEv18rocblas_operation_llT0_T1_lllT2_lllib
	.p2align	8
	.type	_ZL39rocblas_trsm_block_forward_substitutionI19rocblas_complex_numIfES1_PKS1_PS1_Lb0ELb1ELb1EEv18rocblas_operation_llT0_T1_lllT2_lllib,@function
_ZL39rocblas_trsm_block_forward_substitutionI19rocblas_complex_numIfES1_PKS1_PS1_Lb0ELb1ELb1EEv18rocblas_operation_llT0_T1_lllT2_lllib: ; @_ZL39rocblas_trsm_block_forward_substitutionI19rocblas_complex_numIfES1_PKS1_PS1_Lb0ELb1ELb1EEv18rocblas_operation_llT0_T1_lllT2_lllib
; %bb.0:
	s_load_dwordx16 s[12:27], s[4:5], 0x20
	s_load_dwordx4 s[28:31], s[4:5], 0x8
	s_load_dwordx2 s[2:3], s[4:5], 0x18
	v_and_b32_e32 v2, 0x3ff, v0
	v_bfe_u32 v8, v0, 10, 10
	s_waitcnt lgkmcnt(0)
	s_mul_i32 s0, s8, s19
	s_mul_hi_u32 s1, s8, s18
	s_add_i32 s1, s1, s0
	s_mul_i32 s0, s8, s18
	s_lshl_b64 s[0:1], s[0:1], 3
	s_add_u32 s6, s12, s0
	s_addc_u32 s9, s13, s1
	s_lshl_b64 s[0:1], s[14:15], 3
	s_add_u32 s10, s6, s0
	s_load_dword s0, s[4:5], 0x64
	s_load_dword s6, s[4:5], 0x74
	s_addc_u32 s11, s9, s1
	s_add_u32 s12, s4, 0x68
	s_addc_u32 s13, s5, 0
	s_waitcnt lgkmcnt(0)
	s_lshr_b32 s6, s6, 16
	s_bitcmp0_b32 s0, 0
	s_cbranch_scc1 .LBB184_7
; %bb.1:
	s_lshl_b32 s0, s6, 3
	s_add_i32 s14, s0, 0
	v_cmp_lt_i64_e64 s[0:1], s[28:29], 1
	s_and_b64 vcc, exec, s[0:1]
	s_cbranch_vccnz .LBB184_6
; %bb.2:
	v_lshlrev_b32_e32 v0, 3, v2
	v_mov_b32_e32 v3, 0
	v_cmp_gt_u64_e64 s[0:1], s[28:29], v[2:3]
	v_mov_b32_e32 v1, s11
	v_add_co_u32_e32 v3, vcc, s10, v0
	v_add_u32_e32 v4, s14, v0
	s_mov_b32 s18, 0
	v_addc_co_u32_e32 v5, vcc, 0, v1, vcc
	v_pk_mov_b32 v[0:1], s[28:29], s[28:29] op_sel:[0,1]
	s_branch .LBB184_4
.LBB184_3:                              ;   in Loop: Header=BB184_4 Depth=1
	s_or_b64 exec, exec, s[10:11]
	s_add_i32 s18, s18, s6
	s_ashr_i32 s19, s18, 31
	v_cmp_ge_i64_e32 vcc, s[18:19], v[0:1]
	s_cbranch_vccnz .LBB184_6
.LBB184_4:                              ; =>This Inner Loop Header: Depth=1
	v_add_u32_e32 v6, s18, v8
	v_cmp_gt_i32_e32 vcc, v2, v6
	s_and_b64 s[34:35], s[0:1], vcc
	s_and_saveexec_b64 s[10:11], s[34:35]
	s_cbranch_execz .LBB184_3
; %bb.5:                                ;   in Loop: Header=BB184_4 Depth=1
	v_ashrrev_i32_e32 v7, 31, v6
	v_mul_lo_u32 v9, v6, s17
	v_mul_lo_u32 v7, v7, s16
	v_mad_u64_u32 v[10:11], s[34:35], v6, s16, 0
	v_add3_u32 v11, v11, v9, v7
	v_lshlrev_b64 v[10:11], 3, v[10:11]
	v_add_co_u32_e32 v10, vcc, v3, v10
	v_addc_co_u32_e32 v11, vcc, v5, v11, vcc
	global_load_dwordx2 v[10:11], v[10:11], off
	s_load_dword s9, s[12:13], 0xc
	s_waitcnt lgkmcnt(0)
	s_and_b32 s9, s9, 0xffff
	v_mul_lo_u32 v6, v6, s9
	v_lshl_add_u32 v6, v6, 3, v4
	s_waitcnt vmcnt(0)
	ds_write_b64 v6, v[10:11]
	s_branch .LBB184_3
.LBB184_6:
	s_load_dword s9, s[12:13], 0xc
	s_mov_b64 s[0:1], src_shared_base
	s_mov_b32 s15, s1
	s_mov_b32 s17, 0
	s_mov_b64 s[10:11], s[14:15]
	s_waitcnt lgkmcnt(0)
	s_and_b32 s16, s9, 0xffff
.LBB184_7:
	s_mul_i32 s7, s7, s6
	v_add_u32_e32 v0, s7, v8
	v_mov_b32_e32 v1, 0
	v_cmp_gt_i64_e32 vcc, s[30:31], v[0:1]
	s_and_saveexec_b64 s[0:1], vcc
	s_cbranch_execz .LBB184_22
; %bb.8:
	v_mov_b32_e32 v3, v1
	v_cmp_gt_i64_e32 vcc, s[28:29], v[2:3]
	s_and_b64 exec, exec, vcc
	s_cbranch_execz .LBB184_22
; %bb.9:
	s_mul_i32 s0, s8, s27
	s_mul_hi_u32 s1, s8, s26
	s_add_i32 s1, s1, s0
	s_mul_i32 s0, s8, s26
	s_lshl_b64 s[0:1], s[0:1], 3
	s_add_u32 s6, s20, s0
	s_addc_u32 s7, s21, s1
	s_lshl_b64 s[0:1], s[22:23], 3
	s_add_u32 s6, s6, s0
	s_addc_u32 s7, s7, s1
	v_mad_u64_u32 v[4:5], s[0:1], v2, s24, 0
	v_mov_b32_e32 v6, v5
	v_mad_u64_u32 v[6:7], s[0:1], v2, s25, v[6:7]
	v_mov_b32_e32 v5, v6
	v_lshlrev_b64 v[4:5], 3, v[4:5]
	v_mov_b32_e32 v6, s7
	v_add_co_u32_e32 v4, vcc, s6, v4
	v_addc_co_u32_e32 v5, vcc, v6, v5, vcc
	v_lshlrev_b64 v[0:1], 3, v[0:1]
	v_add_co_u32_e32 v0, vcc, v4, v0
	v_addc_co_u32_e32 v1, vcc, v5, v1, vcc
	global_load_dwordx2 v[6:7], v[0:1], off
	s_mov_b32 s0, s3
	v_cmp_lt_u64_e64 s[6:7], s[28:29], 2
	s_and_b64 vcc, exec, s[6:7]
	s_waitcnt vmcnt(0)
	v_pk_mul_f32 v[4:5], s[2:3], v[6:7]
	v_mov_b32_e32 v4, v7
	v_mov_b32_e32 v10, v5
	v_pk_mul_f32 v[12:13], s[2:3], v[4:5]
	v_pk_fma_f32 v[4:5], s[2:3], v[6:7], v[10:11] neg_lo:[0,0,1] neg_hi:[0,0,1]
	v_pk_fma_f32 v[6:7], s[0:1], v[6:7], v[12:13]
	s_cbranch_vccnz .LBB184_21
; %bb.10:
	s_load_dword s0, s[4:5], 0x0
	v_mov_b32_e32 v5, v6
	v_lshlrev_b32_e32 v6, 3, v2
	v_mov_b32_e32 v7, s11
	v_add_co_u32_e32 v6, vcc, s10, v6
	s_waitcnt lgkmcnt(0)
	s_cmpk_lg_i32 s0, 0x71
	s_cselect_b64 s[0:1], -1, 0
	s_add_u32 s2, s28, -1
	s_addc_u32 s3, s29, -1
	s_lshl_b64 s[4:5], s[16:17], 3
	v_lshl_add_u32 v11, v8, 3, 0
	v_addc_co_u32_e32 v7, vcc, 0, v7, vcc
	s_mov_b64 s[6:7], 0
	v_mov_b32_e32 v12, s5
	s_branch .LBB184_13
.LBB184_11:                             ;   in Loop: Header=BB184_13 Depth=1
	ds_read_b64 v[14:15], v11
	s_waitcnt lgkmcnt(0)
	v_pk_mul_f32 v[16:17], v[14:15], v[10:11] op_sel_hi:[1,0]
	v_pk_fma_f32 v[18:19], v[14:15], v[8:9], v[16:17] op_sel:[0,0,1] op_sel_hi:[1,1,0] neg_lo:[0,0,1] neg_hi:[0,0,1]
	v_pk_fma_f32 v[8:9], v[14:15], v[8:9], v[16:17] op_sel:[0,0,1] op_sel_hi:[1,0,0]
	v_mov_b32_e32 v19, v9
	v_pk_add_f32 v[4:5], v[4:5], v[18:19] neg_lo:[0,1] neg_hi:[0,1]
.LBB184_12:                             ;   in Loop: Header=BB184_13 Depth=1
	s_or_b64 exec, exec, s[8:9]
	s_add_u32 s6, s6, 1
	s_addc_u32 s7, s7, 0
	v_add_co_u32_e32 v6, vcc, s4, v6
	s_cmp_eq_u64 s[2:3], s[6:7]
	v_addc_co_u32_e32 v7, vcc, v7, v12, vcc
	s_cbranch_scc1 .LBB184_20
.LBB184_13:                             ; =>This Inner Loop Header: Depth=1
	v_cmp_eq_u64_e32 vcc, s[6:7], v[2:3]
	s_barrier
	s_and_saveexec_b64 s[8:9], vcc
	s_cbranch_execz .LBB184_15
; %bb.14:                               ;   in Loop: Header=BB184_13 Depth=1
	ds_write_b64 v11, v[4:5]
.LBB184_15:                             ;   in Loop: Header=BB184_13 Depth=1
	s_or_b64 exec, exec, s[8:9]
	v_cmp_lt_u64_e32 vcc, s[6:7], v[2:3]
	s_waitcnt lgkmcnt(0)
	s_barrier
	s_and_saveexec_b64 s[8:9], vcc
	s_cbranch_execz .LBB184_12
; %bb.16:                               ;   in Loop: Header=BB184_13 Depth=1
	s_and_b64 vcc, exec, s[0:1]
	s_cbranch_vccz .LBB184_18
; %bb.17:                               ;   in Loop: Header=BB184_13 Depth=1
	flat_load_dwordx2 v[8:9], v[6:7]
	s_waitcnt vmcnt(0) lgkmcnt(0)
	v_mov_b32_e32 v10, v9
	s_cbranch_execnz .LBB184_11
	s_branch .LBB184_19
.LBB184_18:                             ;   in Loop: Header=BB184_13 Depth=1
                                        ; implicit-def: $vgpr8
                                        ; implicit-def: $vgpr10
.LBB184_19:                             ;   in Loop: Header=BB184_13 Depth=1
	flat_load_dwordx2 v[8:9], v[6:7]
	s_waitcnt vmcnt(0) lgkmcnt(0)
	v_xor_b32_e32 v10, 0x80000000, v9
	s_branch .LBB184_11
.LBB184_20:
	v_mov_b32_e32 v6, v5
.LBB184_21:
	v_mov_b32_e32 v5, v6
	global_store_dwordx2 v[0:1], v[4:5], off
.LBB184_22:
	s_endpgm
	.section	.rodata,"a",@progbits
	.p2align	6, 0x0
	.amdhsa_kernel _ZL39rocblas_trsm_block_forward_substitutionI19rocblas_complex_numIfES1_PKS1_PS1_Lb0ELb1ELb1EEv18rocblas_operation_llT0_T1_lllT2_lllib
		.amdhsa_group_segment_fixed_size 0
		.amdhsa_private_segment_fixed_size 0
		.amdhsa_kernarg_size 360
		.amdhsa_user_sgpr_count 6
		.amdhsa_user_sgpr_private_segment_buffer 1
		.amdhsa_user_sgpr_dispatch_ptr 0
		.amdhsa_user_sgpr_queue_ptr 0
		.amdhsa_user_sgpr_kernarg_segment_ptr 1
		.amdhsa_user_sgpr_dispatch_id 0
		.amdhsa_user_sgpr_flat_scratch_init 0
		.amdhsa_user_sgpr_kernarg_preload_length 0
		.amdhsa_user_sgpr_kernarg_preload_offset 0
		.amdhsa_user_sgpr_private_segment_size 0
		.amdhsa_uses_dynamic_stack 0
		.amdhsa_system_sgpr_private_segment_wavefront_offset 0
		.amdhsa_system_sgpr_workgroup_id_x 1
		.amdhsa_system_sgpr_workgroup_id_y 1
		.amdhsa_system_sgpr_workgroup_id_z 1
		.amdhsa_system_sgpr_workgroup_info 0
		.amdhsa_system_vgpr_workitem_id 1
		.amdhsa_next_free_vgpr 20
		.amdhsa_next_free_sgpr 36
		.amdhsa_accum_offset 20
		.amdhsa_reserve_vcc 1
		.amdhsa_reserve_flat_scratch 0
		.amdhsa_float_round_mode_32 0
		.amdhsa_float_round_mode_16_64 0
		.amdhsa_float_denorm_mode_32 3
		.amdhsa_float_denorm_mode_16_64 3
		.amdhsa_dx10_clamp 1
		.amdhsa_ieee_mode 1
		.amdhsa_fp16_overflow 0
		.amdhsa_tg_split 0
		.amdhsa_exception_fp_ieee_invalid_op 0
		.amdhsa_exception_fp_denorm_src 0
		.amdhsa_exception_fp_ieee_div_zero 0
		.amdhsa_exception_fp_ieee_overflow 0
		.amdhsa_exception_fp_ieee_underflow 0
		.amdhsa_exception_fp_ieee_inexact 0
		.amdhsa_exception_int_div_zero 0
	.end_amdhsa_kernel
	.section	.text._ZL39rocblas_trsm_block_forward_substitutionI19rocblas_complex_numIfES1_PKS1_PS1_Lb0ELb1ELb1EEv18rocblas_operation_llT0_T1_lllT2_lllib,"axG",@progbits,_ZL39rocblas_trsm_block_forward_substitutionI19rocblas_complex_numIfES1_PKS1_PS1_Lb0ELb1ELb1EEv18rocblas_operation_llT0_T1_lllT2_lllib,comdat
.Lfunc_end184:
	.size	_ZL39rocblas_trsm_block_forward_substitutionI19rocblas_complex_numIfES1_PKS1_PS1_Lb0ELb1ELb1EEv18rocblas_operation_llT0_T1_lllT2_lllib, .Lfunc_end184-_ZL39rocblas_trsm_block_forward_substitutionI19rocblas_complex_numIfES1_PKS1_PS1_Lb0ELb1ELb1EEv18rocblas_operation_llT0_T1_lllT2_lllib
                                        ; -- End function
	.section	.AMDGPU.csdata,"",@progbits
; Kernel info:
; codeLenInByte = 872
; NumSgprs: 40
; NumVgprs: 20
; NumAgprs: 0
; TotalNumVgprs: 20
; ScratchSize: 0
; MemoryBound: 0
; FloatMode: 240
; IeeeMode: 1
; LDSByteSize: 0 bytes/workgroup (compile time only)
; SGPRBlocks: 4
; VGPRBlocks: 2
; NumSGPRsForWavesPerEU: 40
; NumVGPRsForWavesPerEU: 20
; AccumOffset: 20
; Occupancy: 8
; WaveLimiterHint : 1
; COMPUTE_PGM_RSRC2:SCRATCH_EN: 0
; COMPUTE_PGM_RSRC2:USER_SGPR: 6
; COMPUTE_PGM_RSRC2:TRAP_HANDLER: 0
; COMPUTE_PGM_RSRC2:TGID_X_EN: 1
; COMPUTE_PGM_RSRC2:TGID_Y_EN: 1
; COMPUTE_PGM_RSRC2:TGID_Z_EN: 1
; COMPUTE_PGM_RSRC2:TIDIG_COMP_CNT: 1
; COMPUTE_PGM_RSRC3_GFX90A:ACCUM_OFFSET: 4
; COMPUTE_PGM_RSRC3_GFX90A:TG_SPLIT: 0
	.section	.text._ZL40rocblas_trsm_block_backward_substitutionI19rocblas_complex_numIfES1_PKS1_PS1_Lb0ELb1ELb1EEv18rocblas_operation_llT0_T1_lllT2_lllib,"axG",@progbits,_ZL40rocblas_trsm_block_backward_substitutionI19rocblas_complex_numIfES1_PKS1_PS1_Lb0ELb1ELb1EEv18rocblas_operation_llT0_T1_lllT2_lllib,comdat
	.globl	_ZL40rocblas_trsm_block_backward_substitutionI19rocblas_complex_numIfES1_PKS1_PS1_Lb0ELb1ELb1EEv18rocblas_operation_llT0_T1_lllT2_lllib ; -- Begin function _ZL40rocblas_trsm_block_backward_substitutionI19rocblas_complex_numIfES1_PKS1_PS1_Lb0ELb1ELb1EEv18rocblas_operation_llT0_T1_lllT2_lllib
	.p2align	8
	.type	_ZL40rocblas_trsm_block_backward_substitutionI19rocblas_complex_numIfES1_PKS1_PS1_Lb0ELb1ELb1EEv18rocblas_operation_llT0_T1_lllT2_lllib,@function
_ZL40rocblas_trsm_block_backward_substitutionI19rocblas_complex_numIfES1_PKS1_PS1_Lb0ELb1ELb1EEv18rocblas_operation_llT0_T1_lllT2_lllib: ; @_ZL40rocblas_trsm_block_backward_substitutionI19rocblas_complex_numIfES1_PKS1_PS1_Lb0ELb1ELb1EEv18rocblas_operation_llT0_T1_lllT2_lllib
; %bb.0:
	s_load_dwordx16 s[12:27], s[4:5], 0x20
	s_load_dwordx4 s[28:31], s[4:5], 0x8
	s_load_dwordx2 s[10:11], s[4:5], 0x18
	v_and_b32_e32 v2, 0x3ff, v0
	v_bfe_u32 v8, v0, 10, 10
	s_waitcnt lgkmcnt(0)
	s_mul_i32 s0, s8, s19
	s_mul_hi_u32 s1, s8, s18
	s_add_i32 s1, s1, s0
	s_mul_i32 s0, s8, s18
	s_lshl_b64 s[0:1], s[0:1], 3
	s_add_u32 s2, s12, s0
	s_addc_u32 s3, s13, s1
	s_lshl_b64 s[0:1], s[14:15], 3
	s_add_u32 s2, s2, s0
	s_addc_u32 s3, s3, s1
	s_load_dword s0, s[4:5], 0x64
	s_load_dword s1, s[4:5], 0x74
	s_add_u32 s14, s4, 0x68
	s_addc_u32 s15, s5, 0
	s_mov_b64 s[12:13], 1
	s_waitcnt lgkmcnt(0)
	s_lshr_b32 s6, s1, 16
	s_bitcmp0_b32 s0, 0
	s_cbranch_scc1 .LBB185_6
; %bb.1:
	s_lshl_b32 s0, s6, 3
	s_add_i32 s18, s0, 0
	v_cmp_lt_i64_e64 s[0:1], s[28:29], 1
	s_mov_b64 s[34:35], 1
	s_and_b64 vcc, exec, s[0:1]
	s_cbranch_vccnz .LBB185_7
; %bb.2:
	v_mad_u64_u32 v[0:1], s[12:13], v2, s16, 0
	v_mov_b32_e32 v4, v1
	v_mad_u64_u32 v[4:5], s[12:13], v2, s17, v[4:5]
	v_mov_b32_e32 v1, v4
	v_mov_b32_e32 v3, 0
	v_lshlrev_b64 v[0:1], 3, v[0:1]
	v_cmp_gt_u64_e64 s[0:1], s[28:29], v[2:3]
	v_mov_b32_e32 v4, s3
	v_add_co_u32_e32 v3, vcc, s2, v0
	v_lshl_add_u32 v6, v2, 3, s18
	v_addc_co_u32_e32 v7, vcc, v4, v1, vcc
	s_mov_b32 s12, 0
	v_pk_mov_b32 v[0:1], s[28:29], s[28:29] op_sel:[0,1]
	s_branch .LBB185_4
.LBB185_3:                              ;   in Loop: Header=BB185_4 Depth=1
	s_or_b64 exec, exec, s[2:3]
	s_add_i32 s12, s12, s6
	s_ashr_i32 s13, s12, 31
	v_cmp_ge_i64_e32 vcc, s[12:13], v[0:1]
	s_cbranch_vccnz .LBB185_7
.LBB185_4:                              ; =>This Inner Loop Header: Depth=1
	v_add_u32_e32 v4, s12, v8
	v_ashrrev_i32_e32 v5, 31, v4
	v_cmp_gt_i64_e32 vcc, s[28:29], v[4:5]
	v_cmp_lt_i32_e64 s[2:3], v2, v4
	s_and_b64 s[2:3], s[2:3], vcc
	s_and_b64 s[16:17], s[0:1], s[2:3]
	s_and_saveexec_b64 s[2:3], s[16:17]
	s_cbranch_execz .LBB185_3
; %bb.5:                                ;   in Loop: Header=BB185_4 Depth=1
	v_lshlrev_b64 v[10:11], 3, v[4:5]
	v_add_co_u32_e32 v10, vcc, v3, v10
	v_addc_co_u32_e32 v11, vcc, v7, v11, vcc
	global_load_dwordx2 v[10:11], v[10:11], off
	s_load_dword s9, s[14:15], 0xc
	s_waitcnt lgkmcnt(0)
	s_and_b32 s9, s9, 0xffff
	v_mul_lo_u32 v4, v4, s9
	v_lshl_add_u32 v4, v4, 3, v6
	s_waitcnt vmcnt(0)
	ds_write_b64 v4, v[10:11]
	s_branch .LBB185_3
.LBB185_6:
	s_mov_b32 s34, s16
	s_mov_b32 s35, s17
	s_branch .LBB185_8
.LBB185_7:
	s_load_dword s2, s[14:15], 0xc
	s_mov_b64 s[0:1], src_shared_base
	s_mov_b32 s19, s1
	s_waitcnt lgkmcnt(0)
	s_and_b32 s12, s2, 0xffff
	s_mov_b64 s[2:3], s[18:19]
.LBB185_8:
	s_mul_i32 s7, s7, s6
	v_add_u32_e32 v0, s7, v8
	v_mov_b32_e32 v1, 0
	v_cmp_gt_i64_e32 vcc, s[30:31], v[0:1]
	s_and_saveexec_b64 s[0:1], vcc
	s_cbranch_execz .LBB185_24
; %bb.9:
	v_mov_b32_e32 v3, v1
	v_cmp_gt_i64_e32 vcc, s[28:29], v[2:3]
	s_and_b64 exec, exec, vcc
	s_cbranch_execz .LBB185_24
; %bb.10:
	s_mul_i32 s0, s8, s27
	s_mul_hi_u32 s1, s8, s26
	s_add_i32 s1, s1, s0
	s_mul_i32 s0, s8, s26
	s_lshl_b64 s[0:1], s[0:1], 3
	s_add_u32 s6, s20, s0
	s_addc_u32 s7, s21, s1
	s_lshl_b64 s[0:1], s[22:23], 3
	s_add_u32 s6, s6, s0
	s_addc_u32 s7, s7, s1
	v_mad_u64_u32 v[4:5], s[0:1], v0, s24, 0
	v_mov_b32_e32 v6, v5
	v_mad_u64_u32 v[0:1], s[0:1], v0, s25, v[6:7]
	v_mov_b32_e32 v5, v0
	v_lshlrev_b64 v[0:1], 3, v[4:5]
	v_mov_b32_e32 v4, s7
	v_add_co_u32_e32 v0, vcc, s6, v0
	v_addc_co_u32_e32 v1, vcc, v4, v1, vcc
	v_lshlrev_b32_e32 v4, 3, v2
	v_add_co_u32_e32 v0, vcc, v0, v4
	v_addc_co_u32_e32 v1, vcc, 0, v1, vcc
	global_load_dwordx2 v[6:7], v[0:1], off
	s_mov_b32 s0, s11
	v_cmp_lt_u64_e64 s[6:7], s[28:29], 2
	s_and_b64 vcc, exec, s[6:7]
	s_waitcnt vmcnt(0)
	v_pk_mul_f32 v[4:5], s[10:11], v[6:7]
	v_mov_b32_e32 v4, v7
	v_mov_b32_e32 v10, v5
	v_pk_mul_f32 v[12:13], s[10:11], v[4:5]
	v_pk_fma_f32 v[4:5], s[10:11], v[6:7], v[10:11] neg_lo:[0,0,1] neg_hi:[0,0,1]
	v_pk_fma_f32 v[6:7], s[0:1], v[6:7], v[12:13]
	s_cbranch_vccnz .LBB185_23
; %bb.11:
	s_load_dword s4, s[4:5], 0x0
	v_lshl_add_u32 v11, v8, 3, 0
	v_mad_u64_u32 v[8:9], s[0:1], s34, v2, 0
	v_mov_b32_e32 v10, v9
	s_waitcnt lgkmcnt(0)
	s_cmpk_lg_i32 s4, 0x71
	v_mad_u64_u32 v[12:13], s[4:5], s35, v2, v[10:11]
	s_cselect_b64 s[0:1], -1, 0
	s_add_u32 s4, s28, -1
	s_addc_u32 s5, s29, -1
	s_mul_i32 s6, s12, s5
	s_mul_hi_u32 s7, s12, s4
	s_add_i32 s7, s7, s6
	s_mul_i32 s6, s12, s4
	v_mov_b32_e32 v9, v12
	s_lshl_b64 s[6:7], s[6:7], 3
	v_mov_b32_e32 v5, v6
	v_lshlrev_b64 v[6:7], 3, v[8:9]
	s_add_u32 s2, s2, s6
	s_addc_u32 s3, s3, s7
	v_add_co_u32_e32 v6, vcc, s2, v6
	s_lshl_b32 s2, s12, 3
	v_mov_b32_e32 v8, s3
	s_sub_u32 s8, 0, s2
	v_addc_co_u32_e32 v7, vcc, v8, v7, vcc
	s_subb_u32 s9, 0, 0
.LBB185_12:                             ; =>This Inner Loop Header: Depth=1
	v_cmp_eq_u64_e32 vcc, s[4:5], v[2:3]
	s_barrier
	s_and_saveexec_b64 s[2:3], vcc
	s_cbranch_execz .LBB185_14
; %bb.13:                               ;   in Loop: Header=BB185_12 Depth=1
	ds_write_b64 v11, v[4:5]
.LBB185_14:                             ;   in Loop: Header=BB185_12 Depth=1
	s_or_b64 exec, exec, s[2:3]
	v_cmp_gt_i64_e32 vcc, s[4:5], v[2:3]
	s_waitcnt lgkmcnt(0)
	s_barrier
	s_and_saveexec_b64 s[2:3], vcc
	s_cbranch_execz .LBB185_20
; %bb.15:                               ;   in Loop: Header=BB185_12 Depth=1
	s_and_b64 vcc, exec, s[0:1]
	s_cbranch_vccz .LBB185_17
; %bb.16:                               ;   in Loop: Header=BB185_12 Depth=1
	flat_load_dwordx2 v[8:9], v[6:7]
	s_waitcnt vmcnt(0) lgkmcnt(0)
	v_mov_b32_e32 v10, v9
	s_cbranch_execz .LBB185_18
	s_branch .LBB185_19
.LBB185_17:                             ;   in Loop: Header=BB185_12 Depth=1
                                        ; implicit-def: $vgpr8
                                        ; implicit-def: $vgpr10
.LBB185_18:                             ;   in Loop: Header=BB185_12 Depth=1
	flat_load_dwordx2 v[8:9], v[6:7]
	s_waitcnt vmcnt(0) lgkmcnt(0)
	v_xor_b32_e32 v10, 0x80000000, v9
.LBB185_19:                             ;   in Loop: Header=BB185_12 Depth=1
	ds_read_b64 v[12:13], v11
	s_waitcnt lgkmcnt(0)
	v_pk_mul_f32 v[14:15], v[12:13], v[10:11] op_sel_hi:[1,0]
	v_pk_fma_f32 v[16:17], v[12:13], v[8:9], v[14:15] op_sel:[0,0,1] op_sel_hi:[1,1,0] neg_lo:[0,0,1] neg_hi:[0,0,1]
	v_pk_fma_f32 v[8:9], v[12:13], v[8:9], v[14:15] op_sel:[0,0,1] op_sel_hi:[1,0,0]
	v_mov_b32_e32 v17, v9
	v_pk_add_f32 v[4:5], v[4:5], v[16:17] neg_lo:[0,1] neg_hi:[0,1]
.LBB185_20:                             ;   in Loop: Header=BB185_12 Depth=1
	s_or_b64 exec, exec, s[2:3]
	s_add_u32 s2, s4, -1
	s_addc_u32 s3, s5, -1
	s_add_u32 s4, s4, 1
	s_addc_u32 s5, s5, 0
	v_mov_b32_e32 v8, s9
	v_add_co_u32_e32 v6, vcc, s8, v6
	v_addc_co_u32_e32 v7, vcc, v7, v8, vcc
	v_cmp_lt_u64_e64 s[4:5], s[4:5], 3
	s_and_b64 vcc, exec, s[4:5]
	s_cbranch_vccnz .LBB185_22
; %bb.21:                               ;   in Loop: Header=BB185_12 Depth=1
	s_mov_b64 s[4:5], s[2:3]
	s_branch .LBB185_12
.LBB185_22:
	v_mov_b32_e32 v6, v5
.LBB185_23:
	v_mov_b32_e32 v5, v6
	global_store_dwordx2 v[0:1], v[4:5], off
.LBB185_24:
	s_endpgm
	.section	.rodata,"a",@progbits
	.p2align	6, 0x0
	.amdhsa_kernel _ZL40rocblas_trsm_block_backward_substitutionI19rocblas_complex_numIfES1_PKS1_PS1_Lb0ELb1ELb1EEv18rocblas_operation_llT0_T1_lllT2_lllib
		.amdhsa_group_segment_fixed_size 0
		.amdhsa_private_segment_fixed_size 0
		.amdhsa_kernarg_size 360
		.amdhsa_user_sgpr_count 6
		.amdhsa_user_sgpr_private_segment_buffer 1
		.amdhsa_user_sgpr_dispatch_ptr 0
		.amdhsa_user_sgpr_queue_ptr 0
		.amdhsa_user_sgpr_kernarg_segment_ptr 1
		.amdhsa_user_sgpr_dispatch_id 0
		.amdhsa_user_sgpr_flat_scratch_init 0
		.amdhsa_user_sgpr_kernarg_preload_length 0
		.amdhsa_user_sgpr_kernarg_preload_offset 0
		.amdhsa_user_sgpr_private_segment_size 0
		.amdhsa_uses_dynamic_stack 0
		.amdhsa_system_sgpr_private_segment_wavefront_offset 0
		.amdhsa_system_sgpr_workgroup_id_x 1
		.amdhsa_system_sgpr_workgroup_id_y 1
		.amdhsa_system_sgpr_workgroup_id_z 1
		.amdhsa_system_sgpr_workgroup_info 0
		.amdhsa_system_vgpr_workitem_id 1
		.amdhsa_next_free_vgpr 18
		.amdhsa_next_free_sgpr 36
		.amdhsa_accum_offset 20
		.amdhsa_reserve_vcc 1
		.amdhsa_reserve_flat_scratch 0
		.amdhsa_float_round_mode_32 0
		.amdhsa_float_round_mode_16_64 0
		.amdhsa_float_denorm_mode_32 3
		.amdhsa_float_denorm_mode_16_64 3
		.amdhsa_dx10_clamp 1
		.amdhsa_ieee_mode 1
		.amdhsa_fp16_overflow 0
		.amdhsa_tg_split 0
		.amdhsa_exception_fp_ieee_invalid_op 0
		.amdhsa_exception_fp_denorm_src 0
		.amdhsa_exception_fp_ieee_div_zero 0
		.amdhsa_exception_fp_ieee_overflow 0
		.amdhsa_exception_fp_ieee_underflow 0
		.amdhsa_exception_fp_ieee_inexact 0
		.amdhsa_exception_int_div_zero 0
	.end_amdhsa_kernel
	.section	.text._ZL40rocblas_trsm_block_backward_substitutionI19rocblas_complex_numIfES1_PKS1_PS1_Lb0ELb1ELb1EEv18rocblas_operation_llT0_T1_lllT2_lllib,"axG",@progbits,_ZL40rocblas_trsm_block_backward_substitutionI19rocblas_complex_numIfES1_PKS1_PS1_Lb0ELb1ELb1EEv18rocblas_operation_llT0_T1_lllT2_lllib,comdat
.Lfunc_end185:
	.size	_ZL40rocblas_trsm_block_backward_substitutionI19rocblas_complex_numIfES1_PKS1_PS1_Lb0ELb1ELb1EEv18rocblas_operation_llT0_T1_lllT2_lllib, .Lfunc_end185-_ZL40rocblas_trsm_block_backward_substitutionI19rocblas_complex_numIfES1_PKS1_PS1_Lb0ELb1ELb1EEv18rocblas_operation_llT0_T1_lllT2_lllib
                                        ; -- End function
	.section	.AMDGPU.csdata,"",@progbits
; Kernel info:
; codeLenInByte = 972
; NumSgprs: 40
; NumVgprs: 18
; NumAgprs: 0
; TotalNumVgprs: 18
; ScratchSize: 0
; MemoryBound: 0
; FloatMode: 240
; IeeeMode: 1
; LDSByteSize: 0 bytes/workgroup (compile time only)
; SGPRBlocks: 4
; VGPRBlocks: 2
; NumSGPRsForWavesPerEU: 40
; NumVGPRsForWavesPerEU: 18
; AccumOffset: 20
; Occupancy: 8
; WaveLimiterHint : 1
; COMPUTE_PGM_RSRC2:SCRATCH_EN: 0
; COMPUTE_PGM_RSRC2:USER_SGPR: 6
; COMPUTE_PGM_RSRC2:TRAP_HANDLER: 0
; COMPUTE_PGM_RSRC2:TGID_X_EN: 1
; COMPUTE_PGM_RSRC2:TGID_Y_EN: 1
; COMPUTE_PGM_RSRC2:TGID_Z_EN: 1
; COMPUTE_PGM_RSRC2:TIDIG_COMP_CNT: 1
; COMPUTE_PGM_RSRC3_GFX90A:ACCUM_OFFSET: 4
; COMPUTE_PGM_RSRC3_GFX90A:TG_SPLIT: 0
	.section	.text._ZL39rocblas_trsm_block_forward_substitutionI19rocblas_complex_numIfES1_PKS1_PS1_Lb1ELb1ELb0EEv18rocblas_operation_llT0_T1_lllT2_lllib,"axG",@progbits,_ZL39rocblas_trsm_block_forward_substitutionI19rocblas_complex_numIfES1_PKS1_PS1_Lb1ELb1ELb0EEv18rocblas_operation_llT0_T1_lllT2_lllib,comdat
	.globl	_ZL39rocblas_trsm_block_forward_substitutionI19rocblas_complex_numIfES1_PKS1_PS1_Lb1ELb1ELb0EEv18rocblas_operation_llT0_T1_lllT2_lllib ; -- Begin function _ZL39rocblas_trsm_block_forward_substitutionI19rocblas_complex_numIfES1_PKS1_PS1_Lb1ELb1ELb0EEv18rocblas_operation_llT0_T1_lllT2_lllib
	.p2align	8
	.type	_ZL39rocblas_trsm_block_forward_substitutionI19rocblas_complex_numIfES1_PKS1_PS1_Lb1ELb1ELb0EEv18rocblas_operation_llT0_T1_lllT2_lllib,@function
_ZL39rocblas_trsm_block_forward_substitutionI19rocblas_complex_numIfES1_PKS1_PS1_Lb1ELb1ELb0EEv18rocblas_operation_llT0_T1_lllT2_lllib: ; @_ZL39rocblas_trsm_block_forward_substitutionI19rocblas_complex_numIfES1_PKS1_PS1_Lb1ELb1ELb0EEv18rocblas_operation_llT0_T1_lllT2_lllib
; %bb.0:
	s_load_dwordx16 s[12:27], s[4:5], 0x20
	s_load_dword s0, s[4:5], 0x64
	s_load_dwordx4 s[28:31], s[4:5], 0x8
	s_load_dwordx2 s[34:35], s[4:5], 0x18
	s_load_dword s6, s[4:5], 0x74
	v_and_b32_e32 v2, 0x3ff, v0
	s_waitcnt lgkmcnt(0)
	s_bitcmp1_b32 s0, 0
	s_cselect_b64 s[0:1], -1, 0
	s_xor_b64 s[10:11], s[0:1], -1
	s_mul_i32 s0, s8, s19
	s_mul_hi_u32 s1, s8, s18
	s_add_i32 s1, s1, s0
	s_mul_i32 s0, s8, s18
	s_lshl_b64 s[0:1], s[0:1], 3
	s_add_u32 s9, s12, s0
	s_addc_u32 s13, s13, s1
	s_lshl_b64 s[0:1], s[14:15], 3
	s_add_u32 s12, s9, s0
	s_addc_u32 s13, s13, s1
	s_add_u32 s18, s4, 0x68
	v_bfe_u32 v12, v0, 10, 10
	s_addc_u32 s19, s5, 0
	s_lshr_b32 s6, s6, 16
	s_mov_b64 s[14:15], 1
	s_and_b64 vcc, exec, s[10:11]
	s_cbranch_vccnz .LBB186_14
; %bb.1:
	s_lshl_b32 s0, s6, 3
	s_add_i32 s36, s0, 0
	v_cmp_lt_i64_e64 s[0:1], s[28:29], 1
	s_mov_b64 s[2:3], 1
	s_and_b64 vcc, exec, s[0:1]
	s_cbranch_vccnz .LBB186_15
; %bb.2:
	v_mad_u64_u32 v[0:1], s[0:1], v2, s16, 0
	v_mov_b32_e32 v4, v1
	v_mad_u64_u32 v[4:5], s[0:1], v2, s17, v[4:5]
	v_mov_b32_e32 v1, v4
	v_mov_b32_e32 v3, 0
	v_lshlrev_b64 v[0:1], 3, v[0:1]
	v_cmp_le_u64_e32 vcc, s[28:29], v[2:3]
	v_mov_b32_e32 v4, s13
	v_add_co_u32_e64 v3, s[0:1], s12, v0
	v_lshlrev_b32_e32 v6, 3, v2
	v_addc_co_u32_e64 v14, s[0:1], v4, v1, s[0:1]
	v_add_co_u32_e64 v0, s[0:1], v3, v6
	v_addc_co_u32_e64 v1, s[0:1], 0, v14, s[0:1]
	v_add_u32_e32 v13, s36, v6
	s_xor_b64 s[0:1], vcc, -1
	v_pk_mov_b32 v[4:5], s[28:29], s[28:29] op_sel:[0,1]
	s_mov_b32 s12, s6
	v_mov_b32_e32 v6, v12
	s_branch .LBB186_6
.LBB186_3:                              ;   in Loop: Header=BB186_6 Depth=1
	s_or_b64 exec, exec, s[38:39]
	s_load_dword s9, s[18:19], 0xc
	s_waitcnt lgkmcnt(0)
	s_and_b32 s9, s9, 0xffff
	v_mul_u32_u24_e32 v7, s9, v2
	v_lshl_add_u32 v7, v7, 3, v13
	ds_write_b64 v7, v[10:11]
.LBB186_4:                              ;   in Loop: Header=BB186_6 Depth=1
	s_or_b64 exec, exec, s[16:17]
.LBB186_5:                              ;   in Loop: Header=BB186_6 Depth=1
	s_or_b64 exec, exec, s[14:15]
	s_ashr_i32 s13, s12, 31
	v_cmp_ge_i64_e32 vcc, s[12:13], v[4:5]
	v_add_u32_e32 v6, s6, v6
	s_add_i32 s12, s12, s6
	s_cbranch_vccnz .LBB186_15
.LBB186_6:                              ; =>This Inner Loop Header: Depth=1
	v_cmp_gt_i32_e32 vcc, v2, v6
	s_and_b64 s[14:15], s[0:1], vcc
	s_and_saveexec_b64 s[16:17], s[14:15]
	s_xor_b64 s[14:15], exec, s[16:17]
	s_cbranch_execz .LBB186_8
; %bb.7:                                ;   in Loop: Header=BB186_6 Depth=1
	v_ashrrev_i32_e32 v7, 31, v6
	v_lshlrev_b64 v[8:9], 3, v[6:7]
	v_add_co_u32_e32 v8, vcc, v3, v8
	v_addc_co_u32_e32 v9, vcc, v14, v9, vcc
	global_load_dwordx2 v[8:9], v[8:9], off
	s_load_dword s9, s[18:19], 0xc
	s_waitcnt lgkmcnt(0)
	s_and_b32 s9, s9, 0xffff
	v_mul_lo_u32 v7, v6, s9
	v_lshl_add_u32 v7, v7, 3, v13
	s_waitcnt vmcnt(0)
	ds_write_b64 v7, v[8:9]
.LBB186_8:                              ;   in Loop: Header=BB186_6 Depth=1
	s_andn2_saveexec_b64 s[14:15], s[14:15]
	s_cbranch_execz .LBB186_5
; %bb.9:                                ;   in Loop: Header=BB186_6 Depth=1
	v_cmp_eq_u32_e32 vcc, v2, v6
	s_and_b64 s[38:39], s[0:1], vcc
	s_and_saveexec_b64 s[16:17], s[38:39]
	s_cbranch_execz .LBB186_4
; %bb.10:                               ;   in Loop: Header=BB186_6 Depth=1
	global_load_dwordx2 v[8:9], v[0:1], off
	s_waitcnt vmcnt(0)
	v_cmp_gt_f32_e32 vcc, 0, v9
	v_cndmask_b32_e64 v7, v9, -v9, vcc
	v_cmp_gt_f32_e32 vcc, 0, v8
	v_cndmask_b32_e64 v10, v8, -v8, vcc
	v_cmp_ngt_f32_e32 vcc, v10, v7
                                        ; implicit-def: $vgpr10_vgpr11
	s_and_saveexec_b64 s[38:39], vcc
	s_xor_b64 s[38:39], exec, s[38:39]
	s_cbranch_execz .LBB186_12
; %bb.11:                               ;   in Loop: Header=BB186_6 Depth=1
	v_div_scale_f32 v7, s[40:41], v9, v9, v8
	v_rcp_f32_e32 v10, v7
	v_div_scale_f32 v11, vcc, v8, v9, v8
	v_fma_f32 v15, -v7, v10, 1.0
	v_fmac_f32_e32 v10, v15, v10
	v_mul_f32_e32 v15, v11, v10
	v_fma_f32 v16, -v7, v15, v11
	v_fmac_f32_e32 v15, v16, v10
	v_fma_f32 v7, -v7, v15, v11
	v_div_fmas_f32 v7, v7, v10, v15
	v_div_fixup_f32 v7, v7, v9, v8
	v_fmac_f32_e32 v9, v8, v7
	v_div_scale_f32 v8, s[40:41], v9, v9, 1.0
	v_rcp_f32_e32 v10, v8
	v_fma_f32 v11, -v8, v10, 1.0
	v_fmac_f32_e32 v10, v11, v10
	v_div_scale_f32 v11, vcc, 1.0, v9, 1.0
	v_mul_f32_e32 v15, v11, v10
	v_fma_f32 v16, -v8, v15, v11
	v_fmac_f32_e32 v15, v16, v10
	v_fma_f32 v8, -v8, v15, v11
	v_div_fmas_f32 v8, v8, v10, v15
	v_div_fixup_f32 v8, v8, v9, 1.0
	v_mul_f32_e32 v10, v7, v8
	v_xor_b32_e32 v11, 0x80000000, v8
                                        ; implicit-def: $vgpr8_vgpr9
.LBB186_12:                             ;   in Loop: Header=BB186_6 Depth=1
	s_andn2_saveexec_b64 s[38:39], s[38:39]
	s_cbranch_execz .LBB186_3
; %bb.13:                               ;   in Loop: Header=BB186_6 Depth=1
	v_div_scale_f32 v7, s[40:41], v8, v8, v9
	v_rcp_f32_e32 v10, v7
	v_div_scale_f32 v11, vcc, v9, v8, v9
	v_fma_f32 v15, -v7, v10, 1.0
	v_fmac_f32_e32 v10, v15, v10
	v_mul_f32_e32 v15, v11, v10
	v_fma_f32 v16, -v7, v15, v11
	v_fmac_f32_e32 v15, v16, v10
	v_fma_f32 v7, -v7, v15, v11
	v_div_fmas_f32 v7, v7, v10, v15
	v_div_fixup_f32 v7, v7, v8, v9
	v_fmac_f32_e32 v8, v9, v7
	v_div_scale_f32 v9, s[40:41], v8, v8, 1.0
	v_rcp_f32_e32 v10, v9
	v_fma_f32 v11, -v9, v10, 1.0
	v_fmac_f32_e32 v10, v11, v10
	v_div_scale_f32 v11, vcc, 1.0, v8, 1.0
	v_mul_f32_e32 v15, v11, v10
	v_fma_f32 v16, -v9, v15, v11
	v_fmac_f32_e32 v15, v16, v10
	v_fma_f32 v9, -v9, v15, v11
	v_div_fmas_f32 v9, v9, v10, v15
	v_div_fixup_f32 v10, v9, v8, 1.0
	v_mul_f32_e64 v11, v7, -v10
	s_branch .LBB186_3
.LBB186_14:
	s_mov_b32 s2, s16
	s_mov_b32 s3, s17
	s_branch .LBB186_16
.LBB186_15:
	s_load_dword s9, s[18:19], 0xc
	s_mov_b64 s[0:1], src_shared_base
	s_mov_b32 s37, s1
	s_mov_b32 s15, 0
	s_mov_b64 s[12:13], s[36:37]
	s_waitcnt lgkmcnt(0)
	s_and_b32 s14, s9, 0xffff
.LBB186_16:
	s_mul_i32 s7, s7, s6
	v_add_u32_e32 v0, s7, v12
	v_mov_b32_e32 v1, 0
	v_cmp_gt_i64_e32 vcc, s[30:31], v[0:1]
	s_and_saveexec_b64 s[0:1], vcc
	s_cbranch_execz .LBB186_44
; %bb.17:
	v_mov_b32_e32 v3, v1
	v_cmp_gt_i64_e32 vcc, s[28:29], v[2:3]
	s_and_b64 exec, exec, vcc
	s_cbranch_execz .LBB186_44
; %bb.18:
	s_mul_i32 s0, s8, s27
	s_mul_hi_u32 s1, s8, s26
	s_add_i32 s1, s1, s0
	s_mul_i32 s0, s8, s26
	s_lshl_b64 s[0:1], s[0:1], 3
	s_add_u32 s6, s20, s0
	s_addc_u32 s7, s21, s1
	s_lshl_b64 s[0:1], s[22:23], 3
	s_add_u32 s6, s6, s0
	s_addc_u32 s7, s7, s1
	v_mad_u64_u32 v[4:5], s[0:1], v2, s24, 0
	v_mov_b32_e32 v6, v5
	v_mad_u64_u32 v[6:7], s[0:1], v2, s25, v[6:7]
	v_mov_b32_e32 v5, v6
	v_lshlrev_b64 v[4:5], 3, v[4:5]
	v_mov_b32_e32 v6, s7
	v_add_co_u32_e32 v4, vcc, s6, v4
	v_addc_co_u32_e32 v5, vcc, v6, v5, vcc
	v_lshlrev_b64 v[0:1], 3, v[0:1]
	v_add_co_u32_e32 v0, vcc, v4, v0
	v_addc_co_u32_e32 v1, vcc, v5, v1, vcc
	global_load_dwordx2 v[6:7], v[0:1], off
	v_cmp_lt_u64_e64 s[0:1], s[28:29], 2
	s_add_u32 s6, s28, -1
	s_addc_u32 s7, s29, -1
	s_and_b64 vcc, exec, s[0:1]
	s_waitcnt vmcnt(0)
	v_pk_mul_f32 v[8:9], s[34:35], v[6:7]
	v_mul_f32_e32 v5, s35, v6
	v_sub_f32_e32 v4, v8, v9
	v_fmac_f32_e32 v5, s34, v7
	s_cbranch_vccnz .LBB186_35
; %bb.19:
	s_load_dword s0, s[4:5], 0x0
	v_mov_b32_e32 v13, s13
	s_mov_b32 s20, 0
	v_lshl_add_u32 v12, v12, 3, 0
	s_waitcnt lgkmcnt(0)
	s_cmpk_lg_i32 s0, 0x71
	s_cselect_b64 s[4:5], -1, 0
	s_add_u32 s0, s14, s2
	v_mad_u64_u32 v[6:7], s[0:1], s0, v2, 0
	s_addc_u32 s8, s15, s3
	v_mov_b32_e32 v8, v7
	v_mad_u64_u32 v[8:9], s[0:1], s8, v2, v[8:9]
	v_mov_b32_e32 v7, v8
	v_mad_u64_u32 v[8:9], s[0:1], s2, v2, 0
	v_mov_b32_e32 v10, v9
	v_lshlrev_b64 v[6:7], 3, v[6:7]
	v_mad_u64_u32 v[10:11], s[0:1], s3, v2, v[10:11]
	v_add_co_u32_e32 v6, vcc, s12, v6
	v_mov_b32_e32 v9, v10
	v_addc_co_u32_e32 v7, vcc, v13, v7, vcc
	v_lshlrev_b64 v[8:9], 3, v[8:9]
	v_add_co_u32_e32 v8, vcc, s12, v8
	v_cndmask_b32_e64 v10, 0, 1, s[10:11]
	v_addc_co_u32_e32 v9, vcc, v13, v9, vcc
	s_lshl_b32 s21, s14, 3
	s_mov_b64 s[8:9], 0
	v_cmp_ne_u32_e64 s[0:1], 1, v10
	s_branch .LBB186_22
.LBB186_20:                             ;   in Loop: Header=BB186_22 Depth=1
	ds_read_b64 v[14:15], v12
	s_waitcnt vmcnt(0) lgkmcnt(0)
	v_mul_f32_e32 v13, v15, v11
	v_mul_f32_e32 v15, v15, v10
	v_fma_f32 v10, v14, v10, -v13
	v_fmac_f32_e32 v15, v14, v11
	v_sub_f32_e32 v4, v4, v10
	v_sub_f32_e32 v5, v5, v15
.LBB186_21:                             ;   in Loop: Header=BB186_22 Depth=1
	s_or_b64 exec, exec, s[16:17]
	s_add_u32 s8, s8, 1
	s_addc_u32 s9, s9, 0
	v_mov_b32_e32 v10, s20
	v_add_co_u32_e32 v8, vcc, s21, v8
	s_cmp_eq_u64 s[6:7], s[8:9]
	v_addc_co_u32_e32 v9, vcc, v9, v10, vcc
	s_cbranch_scc1 .LBB186_35
.LBB186_22:                             ; =>This Inner Loop Header: Depth=1
	v_cmp_eq_u64_e32 vcc, s[8:9], v[2:3]
	s_barrier
	s_and_saveexec_b64 s[16:17], vcc
	s_cbranch_execz .LBB186_30
; %bb.23:                               ;   in Loop: Header=BB186_22 Depth=1
	flat_load_dwordx2 v[10:11], v[6:7]
	s_and_b64 vcc, exec, s[0:1]
	s_cbranch_vccnz .LBB186_29
; %bb.24:                               ;   in Loop: Header=BB186_22 Depth=1
	s_waitcnt vmcnt(0) lgkmcnt(0)
	v_cmp_gt_f32_e32 vcc, 0, v10
	v_cndmask_b32_e64 v13, v10, -v10, vcc
	v_cmp_gt_f32_e32 vcc, 0, v11
	v_cndmask_b32_e64 v14, v11, -v11, vcc
	v_cmp_ngt_f32_e32 vcc, v13, v14
	s_and_saveexec_b64 s[18:19], vcc
	s_xor_b64 s[18:19], exec, s[18:19]
	s_cbranch_execz .LBB186_26
; %bb.25:                               ;   in Loop: Header=BB186_22 Depth=1
	v_div_scale_f32 v13, s[22:23], v11, v11, v10
	v_rcp_f32_e32 v14, v13
	v_div_scale_f32 v15, vcc, v10, v11, v10
	v_fma_f32 v16, -v13, v14, 1.0
	v_fmac_f32_e32 v14, v16, v14
	v_mul_f32_e32 v16, v15, v14
	v_fma_f32 v17, -v13, v16, v15
	v_fmac_f32_e32 v16, v17, v14
	v_fma_f32 v13, -v13, v16, v15
	v_div_fmas_f32 v13, v13, v14, v16
	v_div_fixup_f32 v13, v13, v11, v10
	v_fmac_f32_e32 v11, v10, v13
	v_div_scale_f32 v10, s[22:23], v11, v11, 1.0
	v_rcp_f32_e32 v14, v10
	v_fma_f32 v15, -v10, v14, 1.0
	v_fmac_f32_e32 v14, v15, v14
	v_div_scale_f32 v15, vcc, 1.0, v11, 1.0
	v_mul_f32_e32 v16, v15, v14
	v_fma_f32 v17, -v10, v16, v15
	v_fmac_f32_e32 v16, v17, v14
	v_fma_f32 v10, -v10, v16, v15
	v_div_fmas_f32 v10, v10, v14, v16
	v_div_fixup_f32 v11, v10, v11, 1.0
	v_mul_f32_e32 v10, v13, v11
	v_xor_b32_e32 v11, 0x80000000, v11
.LBB186_26:                             ;   in Loop: Header=BB186_22 Depth=1
	s_andn2_saveexec_b64 s[18:19], s[18:19]
	s_cbranch_execz .LBB186_28
; %bb.27:                               ;   in Loop: Header=BB186_22 Depth=1
	v_div_scale_f32 v13, s[22:23], v10, v10, v11
	v_rcp_f32_e32 v14, v13
	v_div_scale_f32 v15, vcc, v11, v10, v11
	v_fma_f32 v16, -v13, v14, 1.0
	v_fmac_f32_e32 v14, v16, v14
	v_mul_f32_e32 v16, v15, v14
	v_fma_f32 v17, -v13, v16, v15
	v_fmac_f32_e32 v16, v17, v14
	v_fma_f32 v13, -v13, v16, v15
	v_div_fmas_f32 v13, v13, v14, v16
	v_div_fixup_f32 v13, v13, v10, v11
	v_fmac_f32_e32 v10, v11, v13
	v_div_scale_f32 v11, s[22:23], v10, v10, 1.0
	v_rcp_f32_e32 v14, v11
	v_fma_f32 v15, -v11, v14, 1.0
	v_fmac_f32_e32 v14, v15, v14
	v_div_scale_f32 v15, vcc, 1.0, v10, 1.0
	v_mul_f32_e32 v16, v15, v14
	v_fma_f32 v17, -v11, v16, v15
	v_fmac_f32_e32 v16, v17, v14
	v_fma_f32 v11, -v11, v16, v15
	v_div_fmas_f32 v11, v11, v14, v16
	v_div_fixup_f32 v10, v11, v10, 1.0
	v_mul_f32_e64 v11, v13, -v10
.LBB186_28:                             ;   in Loop: Header=BB186_22 Depth=1
	s_or_b64 exec, exec, s[18:19]
.LBB186_29:                             ;   in Loop: Header=BB186_22 Depth=1
	s_waitcnt vmcnt(0) lgkmcnt(0)
	v_mul_f32_e32 v13, v5, v11
	v_mul_f32_e32 v15, v4, v11
	v_fma_f32 v14, v4, v10, -v13
	v_fmac_f32_e32 v15, v5, v10
	v_mov_b32_e32 v5, v15
	v_mov_b32_e32 v4, v14
	ds_write_b64 v12, v[14:15]
.LBB186_30:                             ;   in Loop: Header=BB186_22 Depth=1
	s_or_b64 exec, exec, s[16:17]
	v_cmp_lt_u64_e32 vcc, s[8:9], v[2:3]
	s_waitcnt lgkmcnt(0)
	s_barrier
	s_and_saveexec_b64 s[16:17], vcc
	s_cbranch_execz .LBB186_21
; %bb.31:                               ;   in Loop: Header=BB186_22 Depth=1
	s_and_b64 vcc, exec, s[4:5]
	s_cbranch_vccz .LBB186_33
; %bb.32:                               ;   in Loop: Header=BB186_22 Depth=1
	flat_load_dwordx2 v[10:11], v[8:9]
	s_cbranch_execnz .LBB186_20
	s_branch .LBB186_34
.LBB186_33:                             ;   in Loop: Header=BB186_22 Depth=1
                                        ; implicit-def: $vgpr10
.LBB186_34:                             ;   in Loop: Header=BB186_22 Depth=1
	s_waitcnt vmcnt(0) lgkmcnt(0)
	flat_load_dwordx2 v[10:11], v[8:9]
	s_waitcnt vmcnt(0) lgkmcnt(0)
	v_xor_b32_e32 v11, 0x80000000, v11
	s_branch .LBB186_20
.LBB186_35:
	v_cmp_eq_u64_e32 vcc, s[6:7], v[2:3]
	s_and_saveexec_b64 s[0:1], vcc
	s_cbranch_execz .LBB186_43
; %bb.36:
	s_add_u32 s2, s14, s2
	s_addc_u32 s4, s15, s3
	v_mad_u64_u32 v[6:7], s[2:3], s2, v2, 0
	v_mov_b32_e32 v8, v7
	v_mad_u64_u32 v[2:3], s[2:3], s4, v2, v[8:9]
	v_mov_b32_e32 v7, v2
	v_lshlrev_b64 v[2:3], 3, v[6:7]
	v_mov_b32_e32 v6, s13
	v_add_co_u32_e32 v2, vcc, s12, v2
	v_addc_co_u32_e32 v3, vcc, v6, v3, vcc
	flat_load_dwordx2 v[2:3], v[2:3]
	s_andn2_b64 vcc, exec, s[10:11]
	s_cbranch_vccnz .LBB186_42
; %bb.37:
	s_waitcnt vmcnt(0) lgkmcnt(0)
	v_cmp_gt_f32_e32 vcc, 0, v2
	v_cndmask_b32_e64 v6, v2, -v2, vcc
	v_cmp_gt_f32_e32 vcc, 0, v3
	v_cndmask_b32_e64 v7, v3, -v3, vcc
	v_cmp_ngt_f32_e32 vcc, v6, v7
	s_and_saveexec_b64 s[2:3], vcc
	s_xor_b64 s[2:3], exec, s[2:3]
	s_cbranch_execz .LBB186_39
; %bb.38:
	v_div_scale_f32 v6, s[4:5], v3, v3, v2
	v_rcp_f32_e32 v7, v6
	v_div_scale_f32 v8, vcc, v2, v3, v2
	v_fma_f32 v9, -v6, v7, 1.0
	v_fmac_f32_e32 v7, v9, v7
	v_mul_f32_e32 v9, v8, v7
	v_fma_f32 v10, -v6, v9, v8
	v_fmac_f32_e32 v9, v10, v7
	v_fma_f32 v6, -v6, v9, v8
	v_div_fmas_f32 v6, v6, v7, v9
	v_div_fixup_f32 v6, v6, v3, v2
	v_fmac_f32_e32 v3, v2, v6
	v_div_scale_f32 v2, s[4:5], v3, v3, 1.0
	v_rcp_f32_e32 v7, v2
	v_fma_f32 v8, -v2, v7, 1.0
	v_fmac_f32_e32 v7, v8, v7
	v_div_scale_f32 v8, vcc, 1.0, v3, 1.0
	v_mul_f32_e32 v9, v8, v7
	v_fma_f32 v10, -v2, v9, v8
	v_fmac_f32_e32 v9, v10, v7
	v_fma_f32 v2, -v2, v9, v8
	v_div_fmas_f32 v2, v2, v7, v9
	v_div_fixup_f32 v3, v2, v3, 1.0
	v_mul_f32_e32 v2, v6, v3
	v_xor_b32_e32 v3, 0x80000000, v3
.LBB186_39:
	s_andn2_saveexec_b64 s[2:3], s[2:3]
	s_cbranch_execz .LBB186_41
; %bb.40:
	v_div_scale_f32 v6, s[4:5], v2, v2, v3
	v_rcp_f32_e32 v7, v6
	v_div_scale_f32 v8, vcc, v3, v2, v3
	v_fma_f32 v9, -v6, v7, 1.0
	v_fmac_f32_e32 v7, v9, v7
	v_mul_f32_e32 v9, v8, v7
	v_fma_f32 v10, -v6, v9, v8
	v_fmac_f32_e32 v9, v10, v7
	v_fma_f32 v6, -v6, v9, v8
	v_div_fmas_f32 v6, v6, v7, v9
	v_div_fixup_f32 v6, v6, v2, v3
	v_fmac_f32_e32 v2, v3, v6
	v_div_scale_f32 v3, s[4:5], v2, v2, 1.0
	v_rcp_f32_e32 v7, v3
	v_fma_f32 v8, -v3, v7, 1.0
	v_fmac_f32_e32 v7, v8, v7
	v_div_scale_f32 v8, vcc, 1.0, v2, 1.0
	v_mul_f32_e32 v9, v8, v7
	v_fma_f32 v10, -v3, v9, v8
	v_fmac_f32_e32 v9, v10, v7
	v_fma_f32 v3, -v3, v9, v8
	v_div_fmas_f32 v3, v3, v7, v9
	v_div_fixup_f32 v2, v3, v2, 1.0
	v_mul_f32_e64 v3, v6, -v2
.LBB186_41:
	s_or_b64 exec, exec, s[2:3]
.LBB186_42:
	s_waitcnt vmcnt(0) lgkmcnt(0)
	v_mul_f32_e32 v6, v5, v3
	v_fma_f32 v6, v4, v2, -v6
	v_mul_f32_e32 v5, v5, v2
	v_fmac_f32_e32 v5, v4, v3
	v_mov_b32_e32 v4, v6
.LBB186_43:
	s_or_b64 exec, exec, s[0:1]
	global_store_dwordx2 v[0:1], v[4:5], off
.LBB186_44:
	s_endpgm
	.section	.rodata,"a",@progbits
	.p2align	6, 0x0
	.amdhsa_kernel _ZL39rocblas_trsm_block_forward_substitutionI19rocblas_complex_numIfES1_PKS1_PS1_Lb1ELb1ELb0EEv18rocblas_operation_llT0_T1_lllT2_lllib
		.amdhsa_group_segment_fixed_size 0
		.amdhsa_private_segment_fixed_size 0
		.amdhsa_kernarg_size 360
		.amdhsa_user_sgpr_count 6
		.amdhsa_user_sgpr_private_segment_buffer 1
		.amdhsa_user_sgpr_dispatch_ptr 0
		.amdhsa_user_sgpr_queue_ptr 0
		.amdhsa_user_sgpr_kernarg_segment_ptr 1
		.amdhsa_user_sgpr_dispatch_id 0
		.amdhsa_user_sgpr_flat_scratch_init 0
		.amdhsa_user_sgpr_kernarg_preload_length 0
		.amdhsa_user_sgpr_kernarg_preload_offset 0
		.amdhsa_user_sgpr_private_segment_size 0
		.amdhsa_uses_dynamic_stack 0
		.amdhsa_system_sgpr_private_segment_wavefront_offset 0
		.amdhsa_system_sgpr_workgroup_id_x 1
		.amdhsa_system_sgpr_workgroup_id_y 1
		.amdhsa_system_sgpr_workgroup_id_z 1
		.amdhsa_system_sgpr_workgroup_info 0
		.amdhsa_system_vgpr_workitem_id 1
		.amdhsa_next_free_vgpr 18
		.amdhsa_next_free_sgpr 42
		.amdhsa_accum_offset 20
		.amdhsa_reserve_vcc 1
		.amdhsa_reserve_flat_scratch 0
		.amdhsa_float_round_mode_32 0
		.amdhsa_float_round_mode_16_64 0
		.amdhsa_float_denorm_mode_32 3
		.amdhsa_float_denorm_mode_16_64 3
		.amdhsa_dx10_clamp 1
		.amdhsa_ieee_mode 1
		.amdhsa_fp16_overflow 0
		.amdhsa_tg_split 0
		.amdhsa_exception_fp_ieee_invalid_op 0
		.amdhsa_exception_fp_denorm_src 0
		.amdhsa_exception_fp_ieee_div_zero 0
		.amdhsa_exception_fp_ieee_overflow 0
		.amdhsa_exception_fp_ieee_underflow 0
		.amdhsa_exception_fp_ieee_inexact 0
		.amdhsa_exception_int_div_zero 0
	.end_amdhsa_kernel
	.section	.text._ZL39rocblas_trsm_block_forward_substitutionI19rocblas_complex_numIfES1_PKS1_PS1_Lb1ELb1ELb0EEv18rocblas_operation_llT0_T1_lllT2_lllib,"axG",@progbits,_ZL39rocblas_trsm_block_forward_substitutionI19rocblas_complex_numIfES1_PKS1_PS1_Lb1ELb1ELb0EEv18rocblas_operation_llT0_T1_lllT2_lllib,comdat
.Lfunc_end186:
	.size	_ZL39rocblas_trsm_block_forward_substitutionI19rocblas_complex_numIfES1_PKS1_PS1_Lb1ELb1ELb0EEv18rocblas_operation_llT0_T1_lllT2_lllib, .Lfunc_end186-_ZL39rocblas_trsm_block_forward_substitutionI19rocblas_complex_numIfES1_PKS1_PS1_Lb1ELb1ELb0EEv18rocblas_operation_llT0_T1_lllT2_lllib
                                        ; -- End function
	.section	.AMDGPU.csdata,"",@progbits
; Kernel info:
; codeLenInByte = 2332
; NumSgprs: 46
; NumVgprs: 18
; NumAgprs: 0
; TotalNumVgprs: 18
; ScratchSize: 0
; MemoryBound: 0
; FloatMode: 240
; IeeeMode: 1
; LDSByteSize: 0 bytes/workgroup (compile time only)
; SGPRBlocks: 5
; VGPRBlocks: 2
; NumSGPRsForWavesPerEU: 46
; NumVGPRsForWavesPerEU: 18
; AccumOffset: 20
; Occupancy: 8
; WaveLimiterHint : 1
; COMPUTE_PGM_RSRC2:SCRATCH_EN: 0
; COMPUTE_PGM_RSRC2:USER_SGPR: 6
; COMPUTE_PGM_RSRC2:TRAP_HANDLER: 0
; COMPUTE_PGM_RSRC2:TGID_X_EN: 1
; COMPUTE_PGM_RSRC2:TGID_Y_EN: 1
; COMPUTE_PGM_RSRC2:TGID_Z_EN: 1
; COMPUTE_PGM_RSRC2:TIDIG_COMP_CNT: 1
; COMPUTE_PGM_RSRC3_GFX90A:ACCUM_OFFSET: 4
; COMPUTE_PGM_RSRC3_GFX90A:TG_SPLIT: 0
	.section	.text._ZL40rocblas_trsm_block_backward_substitutionI19rocblas_complex_numIfES1_PKS1_PS1_Lb1ELb1ELb0EEv18rocblas_operation_llT0_T1_lllT2_lllib,"axG",@progbits,_ZL40rocblas_trsm_block_backward_substitutionI19rocblas_complex_numIfES1_PKS1_PS1_Lb1ELb1ELb0EEv18rocblas_operation_llT0_T1_lllT2_lllib,comdat
	.globl	_ZL40rocblas_trsm_block_backward_substitutionI19rocblas_complex_numIfES1_PKS1_PS1_Lb1ELb1ELb0EEv18rocblas_operation_llT0_T1_lllT2_lllib ; -- Begin function _ZL40rocblas_trsm_block_backward_substitutionI19rocblas_complex_numIfES1_PKS1_PS1_Lb1ELb1ELb0EEv18rocblas_operation_llT0_T1_lllT2_lllib
	.p2align	8
	.type	_ZL40rocblas_trsm_block_backward_substitutionI19rocblas_complex_numIfES1_PKS1_PS1_Lb1ELb1ELb0EEv18rocblas_operation_llT0_T1_lllT2_lllib,@function
_ZL40rocblas_trsm_block_backward_substitutionI19rocblas_complex_numIfES1_PKS1_PS1_Lb1ELb1ELb0EEv18rocblas_operation_llT0_T1_lllT2_lllib: ; @_ZL40rocblas_trsm_block_backward_substitutionI19rocblas_complex_numIfES1_PKS1_PS1_Lb1ELb1ELb0EEv18rocblas_operation_llT0_T1_lllT2_lllib
; %bb.0:
	s_load_dword s0, s[4:5], 0x64
	s_load_dwordx4 s[28:31], s[4:5], 0x8
	s_load_dwordx2 s[34:35], s[4:5], 0x18
	s_load_dwordx16 s[12:27], s[4:5], 0x20
	s_load_dword s6, s[4:5], 0x74
	s_waitcnt lgkmcnt(0)
	s_bitcmp1_b32 s0, 0
	s_cselect_b64 s[0:1], -1, 0
	s_xor_b64 s[10:11], s[0:1], -1
	s_mul_i32 s0, s8, s19
	s_mul_hi_u32 s1, s8, s18
	s_add_i32 s1, s1, s0
	s_mul_i32 s0, s8, s18
	s_lshl_b64 s[0:1], s[0:1], 3
	s_add_u32 s2, s12, s0
	s_addc_u32 s3, s13, s1
	s_lshl_b64 s[0:1], s[14:15], 3
	s_add_u32 s2, s2, s0
	s_addc_u32 s3, s3, s1
	s_add_u32 s12, s4, 0x68
	v_and_b32_e32 v2, 0x3ff, v0
	v_bfe_u32 v10, v0, 10, 10
	s_addc_u32 s13, s5, 0
	s_lshr_b32 s6, s6, 16
	s_and_b64 vcc, exec, s[10:11]
	s_cbranch_vccnz .LBB187_16
; %bb.1:
	s_lshl_b32 s0, s6, 3
	s_add_i32 s14, s0, 0
	v_cmp_lt_i64_e64 s[0:1], s[28:29], 1
	s_and_b64 vcc, exec, s[0:1]
	s_cbranch_vccnz .LBB187_15
; %bb.2:
	v_lshlrev_b32_e32 v0, 3, v2
	v_mov_b32_e32 v3, 0
	v_cmp_le_u64_e64 s[18:19], s[28:29], v[2:3]
	v_cmp_gt_u64_e64 s[0:1], s[28:29], v[2:3]
	v_mov_b32_e32 v1, s3
	v_add_co_u32_e32 v3, vcc, s2, v0
	v_add_u32_e32 v11, s14, v0
	v_addc_co_u32_e32 v12, vcc, 0, v1, vcc
	v_mad_u64_u32 v[0:1], s[2:3], v2, s16, 0
	v_mov_b32_e32 v4, v1
	v_mad_u64_u32 v[4:5], s[2:3], v2, s17, v[4:5]
	v_mov_b32_e32 v1, v4
	v_lshlrev_b64 v[0:1], 3, v[0:1]
	v_add_co_u32_e32 v0, vcc, v3, v0
	v_addc_co_u32_e32 v1, vcc, v12, v1, vcc
	s_xor_b64 s[36:37], s[18:19], -1
	s_mov_b32 s38, s6
	v_mov_b32_e32 v4, v10
	s_branch .LBB187_5
.LBB187_3:                              ;   in Loop: Header=BB187_5 Depth=1
	s_or_b64 exec, exec, s[40:41]
	s_load_dword s9, s[12:13], 0xc
	s_waitcnt lgkmcnt(0)
	s_and_b32 s9, s9, 0xffff
	v_mul_u32_u24_e32 v5, s9, v2
	v_lshl_add_u32 v5, v5, 3, v11
	ds_write_b64 v5, v[8:9]
.LBB187_4:                              ;   in Loop: Header=BB187_5 Depth=1
	s_or_b64 exec, exec, s[2:3]
	s_ashr_i32 s39, s38, 31
	v_pk_mov_b32 v[6:7], s[28:29], s[28:29] op_sel:[0,1]
	v_cmp_ge_i64_e32 vcc, s[38:39], v[6:7]
	v_add_u32_e32 v4, s6, v4
	s_add_i32 s38, s38, s6
	s_cbranch_vccnz .LBB187_15
.LBB187_5:                              ; =>This Inner Loop Header: Depth=1
	s_mov_b64 s[42:43], s[18:19]
	s_and_saveexec_b64 s[40:41], s[0:1]
	s_cbranch_execz .LBB187_9
; %bb.6:                                ;   in Loop: Header=BB187_5 Depth=1
	v_ashrrev_i32_e32 v5, 31, v4
	v_cmp_gt_i64_e32 vcc, s[28:29], v[4:5]
	v_cmp_lt_i32_e64 s[2:3], v2, v4
	s_and_b64 s[44:45], s[2:3], vcc
	s_mov_b64 s[42:43], -1
	s_and_saveexec_b64 s[2:3], s[44:45]
	s_cbranch_execz .LBB187_8
; %bb.7:                                ;   in Loop: Header=BB187_5 Depth=1
	v_mul_lo_u32 v5, v5, s16
	v_mul_lo_u32 v8, v4, s17
	v_mad_u64_u32 v[6:7], s[42:43], v4, s16, 0
	v_add3_u32 v7, v7, v8, v5
	v_lshlrev_b64 v[6:7], 3, v[6:7]
	v_add_co_u32_e32 v6, vcc, v3, v6
	v_addc_co_u32_e32 v7, vcc, v12, v7, vcc
	global_load_dwordx2 v[6:7], v[6:7], off
	s_load_dword s9, s[12:13], 0xc
	s_xor_b64 s[42:43], exec, -1
	s_waitcnt lgkmcnt(0)
	s_and_b32 s9, s9, 0xffff
	v_mul_lo_u32 v5, v4, s9
	v_lshl_add_u32 v5, v5, 3, v11
	s_waitcnt vmcnt(0)
	ds_write_b64 v5, v[6:7]
.LBB187_8:                              ;   in Loop: Header=BB187_5 Depth=1
	s_or_b64 exec, exec, s[2:3]
	s_andn2_b64 s[2:3], s[18:19], exec
	s_and_b64 s[42:43], s[42:43], exec
	s_or_b64 s[42:43], s[2:3], s[42:43]
.LBB187_9:                              ;   in Loop: Header=BB187_5 Depth=1
	s_or_b64 exec, exec, s[40:41]
	s_and_saveexec_b64 s[2:3], s[42:43]
	s_cbranch_execz .LBB187_4
; %bb.10:                               ;   in Loop: Header=BB187_5 Depth=1
	v_cmp_eq_u32_e32 vcc, v2, v4
	s_and_b64 s[40:41], s[36:37], vcc
	s_and_b64 exec, exec, s[40:41]
	s_cbranch_execz .LBB187_4
; %bb.11:                               ;   in Loop: Header=BB187_5 Depth=1
	global_load_dwordx2 v[6:7], v[0:1], off
	s_waitcnt vmcnt(0)
	v_cmp_gt_f32_e32 vcc, 0, v7
	v_cndmask_b32_e64 v5, v7, -v7, vcc
	v_cmp_gt_f32_e32 vcc, 0, v6
	v_cndmask_b32_e64 v8, v6, -v6, vcc
	v_cmp_ngt_f32_e32 vcc, v8, v5
                                        ; implicit-def: $vgpr8_vgpr9
	s_and_saveexec_b64 s[40:41], vcc
	s_xor_b64 s[40:41], exec, s[40:41]
	s_cbranch_execz .LBB187_13
; %bb.12:                               ;   in Loop: Header=BB187_5 Depth=1
	v_div_scale_f32 v5, s[42:43], v7, v7, v6
	v_rcp_f32_e32 v8, v5
	v_div_scale_f32 v9, vcc, v6, v7, v6
	v_fma_f32 v13, -v5, v8, 1.0
	v_fmac_f32_e32 v8, v13, v8
	v_mul_f32_e32 v13, v9, v8
	v_fma_f32 v14, -v5, v13, v9
	v_fmac_f32_e32 v13, v14, v8
	v_fma_f32 v5, -v5, v13, v9
	v_div_fmas_f32 v5, v5, v8, v13
	v_div_fixup_f32 v5, v5, v7, v6
	v_fmac_f32_e32 v7, v6, v5
	v_div_scale_f32 v6, s[42:43], v7, v7, 1.0
	v_rcp_f32_e32 v8, v6
	v_fma_f32 v9, -v6, v8, 1.0
	v_fmac_f32_e32 v8, v9, v8
	v_div_scale_f32 v9, vcc, 1.0, v7, 1.0
	v_mul_f32_e32 v13, v9, v8
	v_fma_f32 v14, -v6, v13, v9
	v_fmac_f32_e32 v13, v14, v8
	v_fma_f32 v6, -v6, v13, v9
	v_div_fmas_f32 v6, v6, v8, v13
	v_div_fixup_f32 v6, v6, v7, 1.0
	v_mul_f32_e32 v8, v5, v6
	v_xor_b32_e32 v9, 0x80000000, v6
                                        ; implicit-def: $vgpr6_vgpr7
.LBB187_13:                             ;   in Loop: Header=BB187_5 Depth=1
	s_andn2_saveexec_b64 s[40:41], s[40:41]
	s_cbranch_execz .LBB187_3
; %bb.14:                               ;   in Loop: Header=BB187_5 Depth=1
	v_div_scale_f32 v5, s[42:43], v6, v6, v7
	v_rcp_f32_e32 v8, v5
	v_div_scale_f32 v9, vcc, v7, v6, v7
	v_fma_f32 v13, -v5, v8, 1.0
	v_fmac_f32_e32 v8, v13, v8
	v_mul_f32_e32 v13, v9, v8
	v_fma_f32 v14, -v5, v13, v9
	v_fmac_f32_e32 v13, v14, v8
	v_fma_f32 v5, -v5, v13, v9
	v_div_fmas_f32 v5, v5, v8, v13
	v_div_fixup_f32 v5, v5, v6, v7
	v_fmac_f32_e32 v6, v7, v5
	v_div_scale_f32 v7, s[42:43], v6, v6, 1.0
	v_rcp_f32_e32 v8, v7
	v_fma_f32 v9, -v7, v8, 1.0
	v_fmac_f32_e32 v8, v9, v8
	v_div_scale_f32 v9, vcc, 1.0, v6, 1.0
	v_mul_f32_e32 v13, v9, v8
	v_fma_f32 v14, -v7, v13, v9
	v_fmac_f32_e32 v13, v14, v8
	v_fma_f32 v7, -v7, v13, v9
	v_div_fmas_f32 v7, v7, v8, v13
	v_div_fixup_f32 v8, v7, v6, 1.0
	v_mul_f32_e64 v9, v5, -v8
	s_branch .LBB187_3
.LBB187_15:
	s_load_dword s2, s[12:13], 0xc
	s_mov_b64 s[0:1], src_shared_base
	s_mov_b32 s15, s1
	s_mov_b32 s17, 0
	s_waitcnt lgkmcnt(0)
	s_and_b32 s16, s2, 0xffff
	s_mov_b64 s[2:3], s[14:15]
.LBB187_16:
	s_mul_i32 s7, s7, s6
	v_add_u32_e32 v0, s7, v10
	v_mov_b32_e32 v1, 0
	v_cmp_gt_i64_e32 vcc, s[30:31], v[0:1]
	s_and_saveexec_b64 s[0:1], vcc
	s_cbranch_execz .LBB187_45
; %bb.17:
	v_mov_b32_e32 v3, v1
	v_cmp_gt_i64_e32 vcc, s[28:29], v[2:3]
	s_and_b64 exec, exec, vcc
	s_cbranch_execz .LBB187_45
; %bb.18:
	s_mul_i32 s0, s8, s27
	s_mul_hi_u32 s1, s8, s26
	s_add_i32 s1, s1, s0
	s_mul_i32 s0, s8, s26
	s_lshl_b64 s[0:1], s[0:1], 3
	s_add_u32 s6, s20, s0
	s_addc_u32 s7, s21, s1
	s_lshl_b64 s[0:1], s[22:23], 3
	s_add_u32 s6, s6, s0
	s_addc_u32 s7, s7, s1
	v_mad_u64_u32 v[4:5], s[0:1], v0, s24, 0
	v_mov_b32_e32 v6, v5
	v_mad_u64_u32 v[0:1], s[0:1], v0, s25, v[6:7]
	v_mov_b32_e32 v5, v0
	v_lshlrev_b64 v[0:1], 3, v[4:5]
	v_mov_b32_e32 v4, s7
	v_add_co_u32_e32 v0, vcc, s6, v0
	v_addc_co_u32_e32 v1, vcc, v4, v1, vcc
	v_lshlrev_b32_e32 v8, 3, v2
	v_add_co_u32_e32 v0, vcc, v0, v8
	v_addc_co_u32_e32 v1, vcc, 0, v1, vcc
	global_load_dwordx2 v[6:7], v[0:1], off
	v_cmp_lt_u64_e64 s[0:1], s[28:29], 2
	s_and_b64 vcc, exec, s[0:1]
	s_waitcnt vmcnt(0)
	v_pk_mul_f32 v[12:13], s[34:35], v[6:7]
	v_mul_f32_e32 v5, s35, v6
	v_sub_f32_e32 v4, v12, v13
	v_fmac_f32_e32 v5, s34, v7
	s_cbranch_vccnz .LBB187_36
; %bb.19:
	s_load_dword s4, s[4:5], 0x0
	v_mad_u64_u32 v[6:7], s[0:1], v2, s16, v[2:3]
	v_mov_b32_e32 v12, v7
	v_mad_u64_u32 v[12:13], s[0:1], v2, s17, v[12:13]
	s_waitcnt lgkmcnt(0)
	s_cmpk_lg_i32 s4, 0x71
	s_cselect_b64 s[4:5], -1, 0
	s_add_u32 s6, s28, -1
	s_addc_u32 s7, s29, -1
	s_mul_i32 s0, s16, s7
	s_mul_hi_u32 s1, s16, s6
	s_add_i32 s0, s1, s0
	s_mul_i32 s1, s17, s6
	v_mov_b32_e32 v7, v12
	s_add_i32 s1, s0, s1
	s_mul_i32 s0, s16, s6
	v_lshlrev_b64 v[6:7], 3, v[6:7]
	s_lshl_b64 s[0:1], s[0:1], 3
	v_mov_b32_e32 v9, s3
	v_add_co_u32_e32 v6, vcc, s2, v6
	s_add_u32 s0, s2, s0
	v_addc_co_u32_e32 v7, vcc, v9, v7, vcc
	s_addc_u32 s1, s3, s1
	v_mov_b32_e32 v9, s1
	v_add_co_u32_e32 v8, vcc, s0, v8
	s_lshl_b64 s[0:1], s[16:17], 3
	v_lshl_add_u32 v12, v10, 3, 0
	s_sub_u32 s14, 0, s0
	v_cndmask_b32_e64 v10, 0, 1, s[10:11]
	v_addc_co_u32_e32 v9, vcc, 0, v9, vcc
	s_subb_u32 s15, 0, s1
	v_cmp_ne_u32_e64 s[0:1], 1, v10
.LBB187_20:                             ; =>This Inner Loop Header: Depth=1
	v_cmp_eq_u64_e32 vcc, s[6:7], v[2:3]
	s_barrier
	s_and_saveexec_b64 s[8:9], vcc
	s_cbranch_execz .LBB187_28
; %bb.21:                               ;   in Loop: Header=BB187_20 Depth=1
	flat_load_dwordx2 v[10:11], v[6:7]
	s_and_b64 vcc, exec, s[0:1]
	s_cbranch_vccnz .LBB187_27
; %bb.22:                               ;   in Loop: Header=BB187_20 Depth=1
	s_waitcnt vmcnt(0) lgkmcnt(0)
	v_cmp_gt_f32_e32 vcc, 0, v10
	v_cndmask_b32_e64 v13, v10, -v10, vcc
	v_cmp_gt_f32_e32 vcc, 0, v11
	v_cndmask_b32_e64 v14, v11, -v11, vcc
	v_cmp_ngt_f32_e32 vcc, v13, v14
	s_and_saveexec_b64 s[12:13], vcc
	s_xor_b64 s[12:13], exec, s[12:13]
	s_cbranch_execz .LBB187_24
; %bb.23:                               ;   in Loop: Header=BB187_20 Depth=1
	v_div_scale_f32 v13, s[18:19], v11, v11, v10
	v_rcp_f32_e32 v14, v13
	v_div_scale_f32 v15, vcc, v10, v11, v10
	v_fma_f32 v16, -v13, v14, 1.0
	v_fmac_f32_e32 v14, v16, v14
	v_mul_f32_e32 v16, v15, v14
	v_fma_f32 v17, -v13, v16, v15
	v_fmac_f32_e32 v16, v17, v14
	v_fma_f32 v13, -v13, v16, v15
	v_div_fmas_f32 v13, v13, v14, v16
	v_div_fixup_f32 v13, v13, v11, v10
	v_fmac_f32_e32 v11, v10, v13
	v_div_scale_f32 v10, s[18:19], v11, v11, 1.0
	v_rcp_f32_e32 v14, v10
	v_fma_f32 v15, -v10, v14, 1.0
	v_fmac_f32_e32 v14, v15, v14
	v_div_scale_f32 v15, vcc, 1.0, v11, 1.0
	v_mul_f32_e32 v16, v15, v14
	v_fma_f32 v17, -v10, v16, v15
	v_fmac_f32_e32 v16, v17, v14
	v_fma_f32 v10, -v10, v16, v15
	v_div_fmas_f32 v10, v10, v14, v16
	v_div_fixup_f32 v11, v10, v11, 1.0
	v_mul_f32_e32 v10, v13, v11
	v_xor_b32_e32 v11, 0x80000000, v11
.LBB187_24:                             ;   in Loop: Header=BB187_20 Depth=1
	s_andn2_saveexec_b64 s[12:13], s[12:13]
	s_cbranch_execz .LBB187_26
; %bb.25:                               ;   in Loop: Header=BB187_20 Depth=1
	v_div_scale_f32 v13, s[18:19], v10, v10, v11
	v_rcp_f32_e32 v14, v13
	v_div_scale_f32 v15, vcc, v11, v10, v11
	v_fma_f32 v16, -v13, v14, 1.0
	v_fmac_f32_e32 v14, v16, v14
	v_mul_f32_e32 v16, v15, v14
	v_fma_f32 v17, -v13, v16, v15
	v_fmac_f32_e32 v16, v17, v14
	v_fma_f32 v13, -v13, v16, v15
	v_div_fmas_f32 v13, v13, v14, v16
	v_div_fixup_f32 v13, v13, v10, v11
	v_fmac_f32_e32 v10, v11, v13
	v_div_scale_f32 v11, s[18:19], v10, v10, 1.0
	v_rcp_f32_e32 v14, v11
	v_fma_f32 v15, -v11, v14, 1.0
	v_fmac_f32_e32 v14, v15, v14
	v_div_scale_f32 v15, vcc, 1.0, v10, 1.0
	v_mul_f32_e32 v16, v15, v14
	v_fma_f32 v17, -v11, v16, v15
	v_fmac_f32_e32 v16, v17, v14
	v_fma_f32 v11, -v11, v16, v15
	v_div_fmas_f32 v11, v11, v14, v16
	v_div_fixup_f32 v10, v11, v10, 1.0
	v_mul_f32_e64 v11, v13, -v10
.LBB187_26:                             ;   in Loop: Header=BB187_20 Depth=1
	s_or_b64 exec, exec, s[12:13]
.LBB187_27:                             ;   in Loop: Header=BB187_20 Depth=1
	s_waitcnt vmcnt(0) lgkmcnt(0)
	v_mul_f32_e32 v13, v5, v11
	v_mul_f32_e32 v15, v4, v11
	v_fma_f32 v14, v4, v10, -v13
	v_fmac_f32_e32 v15, v5, v10
	v_mov_b32_e32 v5, v15
	v_mov_b32_e32 v4, v14
	ds_write_b64 v12, v[14:15]
.LBB187_28:                             ;   in Loop: Header=BB187_20 Depth=1
	s_or_b64 exec, exec, s[8:9]
	v_cmp_gt_i64_e32 vcc, s[6:7], v[2:3]
	s_waitcnt lgkmcnt(0)
	s_barrier
	s_and_saveexec_b64 s[8:9], vcc
	s_cbranch_execz .LBB187_34
; %bb.29:                               ;   in Loop: Header=BB187_20 Depth=1
	s_and_b64 vcc, exec, s[4:5]
	s_cbranch_vccz .LBB187_31
; %bb.30:                               ;   in Loop: Header=BB187_20 Depth=1
	flat_load_dwordx2 v[10:11], v[8:9]
	s_cbranch_execz .LBB187_32
	s_branch .LBB187_33
.LBB187_31:                             ;   in Loop: Header=BB187_20 Depth=1
                                        ; implicit-def: $vgpr10
.LBB187_32:                             ;   in Loop: Header=BB187_20 Depth=1
	s_waitcnt vmcnt(0) lgkmcnt(0)
	flat_load_dwordx2 v[10:11], v[8:9]
	s_waitcnt vmcnt(0) lgkmcnt(0)
	v_xor_b32_e32 v11, 0x80000000, v11
.LBB187_33:                             ;   in Loop: Header=BB187_20 Depth=1
	ds_read_b64 v[14:15], v12
	s_waitcnt vmcnt(0) lgkmcnt(0)
	v_mul_f32_e32 v13, v15, v11
	v_mul_f32_e32 v15, v15, v10
	v_fma_f32 v10, v14, v10, -v13
	v_fmac_f32_e32 v15, v14, v11
	v_sub_f32_e32 v4, v4, v10
	v_sub_f32_e32 v5, v5, v15
.LBB187_34:                             ;   in Loop: Header=BB187_20 Depth=1
	s_or_b64 exec, exec, s[8:9]
	s_add_u32 s8, s6, -1
	s_addc_u32 s9, s7, -1
	s_add_u32 s6, s6, 1
	s_addc_u32 s7, s7, 0
	v_mov_b32_e32 v10, s15
	v_add_co_u32_e32 v8, vcc, s14, v8
	v_addc_co_u32_e32 v9, vcc, v9, v10, vcc
	v_cmp_lt_u64_e64 s[6:7], s[6:7], 3
	s_and_b64 vcc, exec, s[6:7]
	s_cbranch_vccnz .LBB187_36
; %bb.35:                               ;   in Loop: Header=BB187_20 Depth=1
	s_mov_b64 s[6:7], s[8:9]
	s_branch .LBB187_20
.LBB187_36:
	v_cmp_eq_u32_e32 vcc, 0, v2
	s_and_saveexec_b64 s[0:1], vcc
	s_cbranch_execz .LBB187_44
; %bb.37:
	v_mad_u64_u32 v[6:7], s[4:5], v2, s16, v[2:3]
	v_mov_b32_e32 v8, v7
	v_mad_u64_u32 v[2:3], s[4:5], v2, s17, v[8:9]
	v_mov_b32_e32 v7, v2
	v_lshlrev_b64 v[2:3], 3, v[6:7]
	v_mov_b32_e32 v6, s3
	v_add_co_u32_e32 v2, vcc, s2, v2
	v_addc_co_u32_e32 v3, vcc, v6, v3, vcc
	flat_load_dwordx2 v[2:3], v[2:3]
	s_andn2_b64 vcc, exec, s[10:11]
	s_cbranch_vccnz .LBB187_43
; %bb.38:
	s_waitcnt vmcnt(0) lgkmcnt(0)
	v_cmp_gt_f32_e32 vcc, 0, v2
	v_cndmask_b32_e64 v6, v2, -v2, vcc
	v_cmp_gt_f32_e32 vcc, 0, v3
	v_cndmask_b32_e64 v7, v3, -v3, vcc
	v_cmp_ngt_f32_e32 vcc, v6, v7
	s_and_saveexec_b64 s[2:3], vcc
	s_xor_b64 s[2:3], exec, s[2:3]
	s_cbranch_execz .LBB187_40
; %bb.39:
	v_div_scale_f32 v6, s[4:5], v3, v3, v2
	v_rcp_f32_e32 v7, v6
	v_div_scale_f32 v8, vcc, v2, v3, v2
	v_fma_f32 v9, -v6, v7, 1.0
	v_fmac_f32_e32 v7, v9, v7
	v_mul_f32_e32 v9, v8, v7
	v_fma_f32 v10, -v6, v9, v8
	v_fmac_f32_e32 v9, v10, v7
	v_fma_f32 v6, -v6, v9, v8
	v_div_fmas_f32 v6, v6, v7, v9
	v_div_fixup_f32 v6, v6, v3, v2
	v_fmac_f32_e32 v3, v2, v6
	v_div_scale_f32 v2, s[4:5], v3, v3, 1.0
	v_rcp_f32_e32 v7, v2
	v_fma_f32 v8, -v2, v7, 1.0
	v_fmac_f32_e32 v7, v8, v7
	v_div_scale_f32 v8, vcc, 1.0, v3, 1.0
	v_mul_f32_e32 v9, v8, v7
	v_fma_f32 v10, -v2, v9, v8
	v_fmac_f32_e32 v9, v10, v7
	v_fma_f32 v2, -v2, v9, v8
	v_div_fmas_f32 v2, v2, v7, v9
	v_div_fixup_f32 v3, v2, v3, 1.0
	v_mul_f32_e32 v2, v6, v3
	v_xor_b32_e32 v3, 0x80000000, v3
.LBB187_40:
	s_andn2_saveexec_b64 s[2:3], s[2:3]
	s_cbranch_execz .LBB187_42
; %bb.41:
	v_div_scale_f32 v6, s[4:5], v2, v2, v3
	v_rcp_f32_e32 v7, v6
	v_div_scale_f32 v8, vcc, v3, v2, v3
	v_fma_f32 v9, -v6, v7, 1.0
	v_fmac_f32_e32 v7, v9, v7
	v_mul_f32_e32 v9, v8, v7
	v_fma_f32 v10, -v6, v9, v8
	v_fmac_f32_e32 v9, v10, v7
	v_fma_f32 v6, -v6, v9, v8
	v_div_fmas_f32 v6, v6, v7, v9
	v_div_fixup_f32 v6, v6, v2, v3
	v_fmac_f32_e32 v2, v3, v6
	v_div_scale_f32 v3, s[4:5], v2, v2, 1.0
	v_rcp_f32_e32 v7, v3
	v_fma_f32 v8, -v3, v7, 1.0
	v_fmac_f32_e32 v7, v8, v7
	v_div_scale_f32 v8, vcc, 1.0, v2, 1.0
	v_mul_f32_e32 v9, v8, v7
	v_fma_f32 v10, -v3, v9, v8
	v_fmac_f32_e32 v9, v10, v7
	v_fma_f32 v3, -v3, v9, v8
	v_div_fmas_f32 v3, v3, v7, v9
	v_div_fixup_f32 v2, v3, v2, 1.0
	v_mul_f32_e64 v3, v6, -v2
.LBB187_42:
	s_or_b64 exec, exec, s[2:3]
.LBB187_43:
	s_waitcnt vmcnt(0) lgkmcnt(0)
	v_mul_f32_e32 v6, v5, v3
	v_fma_f32 v6, v4, v2, -v6
	v_mul_f32_e32 v5, v5, v2
	v_fmac_f32_e32 v5, v4, v3
	v_mov_b32_e32 v4, v6
.LBB187_44:
	s_or_b64 exec, exec, s[0:1]
	global_store_dwordx2 v[0:1], v[4:5], off
.LBB187_45:
	s_endpgm
	.section	.rodata,"a",@progbits
	.p2align	6, 0x0
	.amdhsa_kernel _ZL40rocblas_trsm_block_backward_substitutionI19rocblas_complex_numIfES1_PKS1_PS1_Lb1ELb1ELb0EEv18rocblas_operation_llT0_T1_lllT2_lllib
		.amdhsa_group_segment_fixed_size 0
		.amdhsa_private_segment_fixed_size 0
		.amdhsa_kernarg_size 360
		.amdhsa_user_sgpr_count 6
		.amdhsa_user_sgpr_private_segment_buffer 1
		.amdhsa_user_sgpr_dispatch_ptr 0
		.amdhsa_user_sgpr_queue_ptr 0
		.amdhsa_user_sgpr_kernarg_segment_ptr 1
		.amdhsa_user_sgpr_dispatch_id 0
		.amdhsa_user_sgpr_flat_scratch_init 0
		.amdhsa_user_sgpr_kernarg_preload_length 0
		.amdhsa_user_sgpr_kernarg_preload_offset 0
		.amdhsa_user_sgpr_private_segment_size 0
		.amdhsa_uses_dynamic_stack 0
		.amdhsa_system_sgpr_private_segment_wavefront_offset 0
		.amdhsa_system_sgpr_workgroup_id_x 1
		.amdhsa_system_sgpr_workgroup_id_y 1
		.amdhsa_system_sgpr_workgroup_id_z 1
		.amdhsa_system_sgpr_workgroup_info 0
		.amdhsa_system_vgpr_workitem_id 1
		.amdhsa_next_free_vgpr 18
		.amdhsa_next_free_sgpr 46
		.amdhsa_accum_offset 20
		.amdhsa_reserve_vcc 1
		.amdhsa_reserve_flat_scratch 0
		.amdhsa_float_round_mode_32 0
		.amdhsa_float_round_mode_16_64 0
		.amdhsa_float_denorm_mode_32 3
		.amdhsa_float_denorm_mode_16_64 3
		.amdhsa_dx10_clamp 1
		.amdhsa_ieee_mode 1
		.amdhsa_fp16_overflow 0
		.amdhsa_tg_split 0
		.amdhsa_exception_fp_ieee_invalid_op 0
		.amdhsa_exception_fp_denorm_src 0
		.amdhsa_exception_fp_ieee_div_zero 0
		.amdhsa_exception_fp_ieee_overflow 0
		.amdhsa_exception_fp_ieee_underflow 0
		.amdhsa_exception_fp_ieee_inexact 0
		.amdhsa_exception_int_div_zero 0
	.end_amdhsa_kernel
	.section	.text._ZL40rocblas_trsm_block_backward_substitutionI19rocblas_complex_numIfES1_PKS1_PS1_Lb1ELb1ELb0EEv18rocblas_operation_llT0_T1_lllT2_lllib,"axG",@progbits,_ZL40rocblas_trsm_block_backward_substitutionI19rocblas_complex_numIfES1_PKS1_PS1_Lb1ELb1ELb0EEv18rocblas_operation_llT0_T1_lllT2_lllib,comdat
.Lfunc_end187:
	.size	_ZL40rocblas_trsm_block_backward_substitutionI19rocblas_complex_numIfES1_PKS1_PS1_Lb1ELb1ELb0EEv18rocblas_operation_llT0_T1_lllT2_lllib, .Lfunc_end187-_ZL40rocblas_trsm_block_backward_substitutionI19rocblas_complex_numIfES1_PKS1_PS1_Lb1ELb1ELb0EEv18rocblas_operation_llT0_T1_lllT2_lllib
                                        ; -- End function
	.section	.AMDGPU.csdata,"",@progbits
; Kernel info:
; codeLenInByte = 2384
; NumSgprs: 50
; NumVgprs: 18
; NumAgprs: 0
; TotalNumVgprs: 18
; ScratchSize: 0
; MemoryBound: 0
; FloatMode: 240
; IeeeMode: 1
; LDSByteSize: 0 bytes/workgroup (compile time only)
; SGPRBlocks: 6
; VGPRBlocks: 2
; NumSGPRsForWavesPerEU: 50
; NumVGPRsForWavesPerEU: 18
; AccumOffset: 20
; Occupancy: 8
; WaveLimiterHint : 1
; COMPUTE_PGM_RSRC2:SCRATCH_EN: 0
; COMPUTE_PGM_RSRC2:USER_SGPR: 6
; COMPUTE_PGM_RSRC2:TRAP_HANDLER: 0
; COMPUTE_PGM_RSRC2:TGID_X_EN: 1
; COMPUTE_PGM_RSRC2:TGID_Y_EN: 1
; COMPUTE_PGM_RSRC2:TGID_Z_EN: 1
; COMPUTE_PGM_RSRC2:TIDIG_COMP_CNT: 1
; COMPUTE_PGM_RSRC3_GFX90A:ACCUM_OFFSET: 4
; COMPUTE_PGM_RSRC3_GFX90A:TG_SPLIT: 0
	.section	.text._ZL39rocblas_trsm_block_forward_substitutionI19rocblas_complex_numIfES1_PKS1_PS1_Lb1ELb1ELb1EEv18rocblas_operation_llT0_T1_lllT2_lllib,"axG",@progbits,_ZL39rocblas_trsm_block_forward_substitutionI19rocblas_complex_numIfES1_PKS1_PS1_Lb1ELb1ELb1EEv18rocblas_operation_llT0_T1_lllT2_lllib,comdat
	.globl	_ZL39rocblas_trsm_block_forward_substitutionI19rocblas_complex_numIfES1_PKS1_PS1_Lb1ELb1ELb1EEv18rocblas_operation_llT0_T1_lllT2_lllib ; -- Begin function _ZL39rocblas_trsm_block_forward_substitutionI19rocblas_complex_numIfES1_PKS1_PS1_Lb1ELb1ELb1EEv18rocblas_operation_llT0_T1_lllT2_lllib
	.p2align	8
	.type	_ZL39rocblas_trsm_block_forward_substitutionI19rocblas_complex_numIfES1_PKS1_PS1_Lb1ELb1ELb1EEv18rocblas_operation_llT0_T1_lllT2_lllib,@function
_ZL39rocblas_trsm_block_forward_substitutionI19rocblas_complex_numIfES1_PKS1_PS1_Lb1ELb1ELb1EEv18rocblas_operation_llT0_T1_lllT2_lllib: ; @_ZL39rocblas_trsm_block_forward_substitutionI19rocblas_complex_numIfES1_PKS1_PS1_Lb1ELb1ELb1EEv18rocblas_operation_llT0_T1_lllT2_lllib
; %bb.0:
	s_load_dwordx16 s[12:27], s[4:5], 0x20
	s_load_dwordx4 s[28:31], s[4:5], 0x8
	s_load_dwordx2 s[10:11], s[4:5], 0x18
	v_and_b32_e32 v2, 0x3ff, v0
	v_bfe_u32 v8, v0, 10, 10
	s_waitcnt lgkmcnt(0)
	s_mul_i32 s0, s8, s19
	s_mul_hi_u32 s1, s8, s18
	s_add_i32 s1, s1, s0
	s_mul_i32 s0, s8, s18
	s_lshl_b64 s[0:1], s[0:1], 3
	s_add_u32 s6, s12, s0
	s_addc_u32 s9, s13, s1
	s_lshl_b64 s[0:1], s[14:15], 3
	s_add_u32 s12, s6, s0
	s_addc_u32 s13, s9, s1
	s_load_dword s0, s[4:5], 0x64
	s_load_dword s1, s[4:5], 0x74
	s_add_u32 s18, s4, 0x68
	s_addc_u32 s19, s5, 0
	s_mov_b64 s[14:15], 1
	s_waitcnt lgkmcnt(0)
	s_lshr_b32 s6, s1, 16
	s_bitcmp0_b32 s0, 0
	s_cbranch_scc1 .LBB188_6
; %bb.1:
	s_lshl_b32 s0, s6, 3
	s_add_i32 s34, s0, 0
	v_cmp_lt_i64_e64 s[0:1], s[28:29], 1
	s_mov_b64 s[2:3], 1
	s_and_b64 vcc, exec, s[0:1]
	s_cbranch_vccnz .LBB188_7
; %bb.2:
	v_mad_u64_u32 v[0:1], s[14:15], v2, s16, 0
	v_mov_b32_e32 v4, v1
	v_mad_u64_u32 v[4:5], s[14:15], v2, s17, v[4:5]
	v_mov_b32_e32 v1, v4
	v_mov_b32_e32 v3, 0
	v_lshlrev_b64 v[0:1], 3, v[0:1]
	v_cmp_gt_u64_e64 s[0:1], s[28:29], v[2:3]
	v_mov_b32_e32 v4, s13
	v_add_co_u32_e32 v3, vcc, s12, v0
	v_lshl_add_u32 v6, v2, 3, s34
	v_addc_co_u32_e32 v7, vcc, v4, v1, vcc
	s_mov_b32 s12, 0
	v_pk_mov_b32 v[0:1], s[28:29], s[28:29] op_sel:[0,1]
	s_branch .LBB188_4
.LBB188_3:                              ;   in Loop: Header=BB188_4 Depth=1
	s_or_b64 exec, exec, s[14:15]
	s_add_i32 s12, s12, s6
	s_ashr_i32 s13, s12, 31
	v_cmp_ge_i64_e32 vcc, s[12:13], v[0:1]
	s_cbranch_vccnz .LBB188_7
.LBB188_4:                              ; =>This Inner Loop Header: Depth=1
	v_add_u32_e32 v4, s12, v8
	v_cmp_gt_i32_e32 vcc, v2, v4
	s_and_b64 s[16:17], s[0:1], vcc
	s_and_saveexec_b64 s[14:15], s[16:17]
	s_cbranch_execz .LBB188_3
; %bb.5:                                ;   in Loop: Header=BB188_4 Depth=1
	v_ashrrev_i32_e32 v5, 31, v4
	v_lshlrev_b64 v[10:11], 3, v[4:5]
	v_add_co_u32_e32 v10, vcc, v3, v10
	v_addc_co_u32_e32 v11, vcc, v7, v11, vcc
	global_load_dwordx2 v[10:11], v[10:11], off
	s_load_dword s9, s[18:19], 0xc
	s_waitcnt lgkmcnt(0)
	s_and_b32 s9, s9, 0xffff
	v_mul_lo_u32 v4, v4, s9
	v_lshl_add_u32 v4, v4, 3, v6
	s_waitcnt vmcnt(0)
	ds_write_b64 v4, v[10:11]
	s_branch .LBB188_3
.LBB188_6:
	s_mov_b32 s2, s16
	s_mov_b32 s3, s17
	s_branch .LBB188_8
.LBB188_7:
	s_load_dword s9, s[18:19], 0xc
	s_mov_b64 s[0:1], src_shared_base
	s_mov_b32 s35, s1
	s_mov_b64 s[12:13], s[34:35]
	s_waitcnt lgkmcnt(0)
	s_and_b32 s14, s9, 0xffff
.LBB188_8:
	s_mul_i32 s7, s7, s6
	v_add_u32_e32 v0, s7, v8
	v_mov_b32_e32 v1, 0
	v_cmp_gt_i64_e32 vcc, s[30:31], v[0:1]
	s_and_saveexec_b64 s[0:1], vcc
	s_cbranch_execz .LBB188_23
; %bb.9:
	v_mov_b32_e32 v3, v1
	v_cmp_gt_i64_e32 vcc, s[28:29], v[2:3]
	s_and_b64 exec, exec, vcc
	s_cbranch_execz .LBB188_23
; %bb.10:
	s_mul_i32 s0, s8, s27
	s_mul_hi_u32 s1, s8, s26
	s_add_i32 s1, s1, s0
	s_mul_i32 s0, s8, s26
	s_lshl_b64 s[0:1], s[0:1], 3
	s_add_u32 s6, s20, s0
	s_addc_u32 s7, s21, s1
	s_lshl_b64 s[0:1], s[22:23], 3
	s_add_u32 s6, s6, s0
	s_addc_u32 s7, s7, s1
	v_mad_u64_u32 v[4:5], s[0:1], v2, s24, 0
	v_mov_b32_e32 v6, v5
	v_mad_u64_u32 v[6:7], s[0:1], v2, s25, v[6:7]
	v_mov_b32_e32 v5, v6
	v_lshlrev_b64 v[4:5], 3, v[4:5]
	v_mov_b32_e32 v6, s7
	v_add_co_u32_e32 v4, vcc, s6, v4
	v_addc_co_u32_e32 v5, vcc, v6, v5, vcc
	v_lshlrev_b64 v[0:1], 3, v[0:1]
	v_add_co_u32_e32 v0, vcc, v4, v0
	v_addc_co_u32_e32 v1, vcc, v5, v1, vcc
	global_load_dwordx2 v[6:7], v[0:1], off
	s_mov_b32 s0, s11
	v_cmp_lt_u64_e64 s[6:7], s[28:29], 2
	s_and_b64 vcc, exec, s[6:7]
	s_waitcnt vmcnt(0)
	v_pk_mul_f32 v[4:5], s[10:11], v[6:7]
	v_mov_b32_e32 v4, v7
	v_mov_b32_e32 v10, v5
	v_pk_mul_f32 v[12:13], s[10:11], v[4:5]
	v_pk_fma_f32 v[4:5], s[10:11], v[6:7], v[10:11] neg_lo:[0,0,1] neg_hi:[0,0,1]
	v_pk_fma_f32 v[6:7], s[0:1], v[6:7], v[12:13]
	s_cbranch_vccnz .LBB188_22
; %bb.11:
	s_load_dword s0, s[4:5], 0x0
	v_mov_b32_e32 v5, v6
	v_mad_u64_u32 v[6:7], s[6:7], s2, v2, 0
	v_lshl_add_u32 v11, v8, 3, 0
	v_mov_b32_e32 v8, v7
	v_mad_u64_u32 v[8:9], s[2:3], s3, v2, v[8:9]
	v_mov_b32_e32 v7, v8
	s_waitcnt lgkmcnt(0)
	s_cmpk_lg_i32 s0, 0x71
	v_lshlrev_b64 v[6:7], 3, v[6:7]
	s_cselect_b64 s[0:1], -1, 0
	s_add_u32 s4, s28, -1
	v_mov_b32_e32 v8, s13
	v_add_co_u32_e32 v6, vcc, s12, v6
	s_mov_b32 s10, 0
	s_addc_u32 s5, s29, -1
	v_addc_co_u32_e32 v7, vcc, v8, v7, vcc
	s_lshl_b32 s11, s14, 3
	s_mov_b64 s[2:3], 0
	s_branch .LBB188_14
.LBB188_12:                             ;   in Loop: Header=BB188_14 Depth=1
	ds_read_b64 v[12:13], v11
	s_waitcnt lgkmcnt(0)
	v_pk_mul_f32 v[14:15], v[12:13], v[10:11] op_sel_hi:[1,0]
	v_pk_fma_f32 v[16:17], v[12:13], v[8:9], v[14:15] op_sel:[0,0,1] op_sel_hi:[1,1,0] neg_lo:[0,0,1] neg_hi:[0,0,1]
	v_pk_fma_f32 v[8:9], v[12:13], v[8:9], v[14:15] op_sel:[0,0,1] op_sel_hi:[1,0,0]
	v_mov_b32_e32 v17, v9
	v_pk_add_f32 v[4:5], v[4:5], v[16:17] neg_lo:[0,1] neg_hi:[0,1]
.LBB188_13:                             ;   in Loop: Header=BB188_14 Depth=1
	s_or_b64 exec, exec, s[6:7]
	s_add_u32 s2, s2, 1
	s_addc_u32 s3, s3, 0
	v_mov_b32_e32 v8, s10
	v_add_co_u32_e32 v6, vcc, s11, v6
	s_cmp_eq_u64 s[4:5], s[2:3]
	v_addc_co_u32_e32 v7, vcc, v7, v8, vcc
	s_cbranch_scc1 .LBB188_21
.LBB188_14:                             ; =>This Inner Loop Header: Depth=1
	v_cmp_eq_u64_e32 vcc, s[2:3], v[2:3]
	s_barrier
	s_and_saveexec_b64 s[6:7], vcc
	s_cbranch_execz .LBB188_16
; %bb.15:                               ;   in Loop: Header=BB188_14 Depth=1
	ds_write_b64 v11, v[4:5]
.LBB188_16:                             ;   in Loop: Header=BB188_14 Depth=1
	s_or_b64 exec, exec, s[6:7]
	v_cmp_lt_u64_e32 vcc, s[2:3], v[2:3]
	s_waitcnt lgkmcnt(0)
	s_barrier
	s_and_saveexec_b64 s[6:7], vcc
	s_cbranch_execz .LBB188_13
; %bb.17:                               ;   in Loop: Header=BB188_14 Depth=1
	s_and_b64 vcc, exec, s[0:1]
	s_cbranch_vccz .LBB188_19
; %bb.18:                               ;   in Loop: Header=BB188_14 Depth=1
	flat_load_dwordx2 v[8:9], v[6:7]
	s_waitcnt vmcnt(0) lgkmcnt(0)
	v_mov_b32_e32 v10, v9
	s_cbranch_execnz .LBB188_12
	s_branch .LBB188_20
.LBB188_19:                             ;   in Loop: Header=BB188_14 Depth=1
                                        ; implicit-def: $vgpr8
                                        ; implicit-def: $vgpr10
.LBB188_20:                             ;   in Loop: Header=BB188_14 Depth=1
	flat_load_dwordx2 v[8:9], v[6:7]
	s_waitcnt vmcnt(0) lgkmcnt(0)
	v_xor_b32_e32 v10, 0x80000000, v9
	s_branch .LBB188_12
.LBB188_21:
	v_mov_b32_e32 v6, v5
.LBB188_22:
	v_mov_b32_e32 v5, v6
	global_store_dwordx2 v[0:1], v[4:5], off
.LBB188_23:
	s_endpgm
	.section	.rodata,"a",@progbits
	.p2align	6, 0x0
	.amdhsa_kernel _ZL39rocblas_trsm_block_forward_substitutionI19rocblas_complex_numIfES1_PKS1_PS1_Lb1ELb1ELb1EEv18rocblas_operation_llT0_T1_lllT2_lllib
		.amdhsa_group_segment_fixed_size 0
		.amdhsa_private_segment_fixed_size 0
		.amdhsa_kernarg_size 360
		.amdhsa_user_sgpr_count 6
		.amdhsa_user_sgpr_private_segment_buffer 1
		.amdhsa_user_sgpr_dispatch_ptr 0
		.amdhsa_user_sgpr_queue_ptr 0
		.amdhsa_user_sgpr_kernarg_segment_ptr 1
		.amdhsa_user_sgpr_dispatch_id 0
		.amdhsa_user_sgpr_flat_scratch_init 0
		.amdhsa_user_sgpr_kernarg_preload_length 0
		.amdhsa_user_sgpr_kernarg_preload_offset 0
		.amdhsa_user_sgpr_private_segment_size 0
		.amdhsa_uses_dynamic_stack 0
		.amdhsa_system_sgpr_private_segment_wavefront_offset 0
		.amdhsa_system_sgpr_workgroup_id_x 1
		.amdhsa_system_sgpr_workgroup_id_y 1
		.amdhsa_system_sgpr_workgroup_id_z 1
		.amdhsa_system_sgpr_workgroup_info 0
		.amdhsa_system_vgpr_workitem_id 1
		.amdhsa_next_free_vgpr 18
		.amdhsa_next_free_sgpr 36
		.amdhsa_accum_offset 20
		.amdhsa_reserve_vcc 1
		.amdhsa_reserve_flat_scratch 0
		.amdhsa_float_round_mode_32 0
		.amdhsa_float_round_mode_16_64 0
		.amdhsa_float_denorm_mode_32 3
		.amdhsa_float_denorm_mode_16_64 3
		.amdhsa_dx10_clamp 1
		.amdhsa_ieee_mode 1
		.amdhsa_fp16_overflow 0
		.amdhsa_tg_split 0
		.amdhsa_exception_fp_ieee_invalid_op 0
		.amdhsa_exception_fp_denorm_src 0
		.amdhsa_exception_fp_ieee_div_zero 0
		.amdhsa_exception_fp_ieee_overflow 0
		.amdhsa_exception_fp_ieee_underflow 0
		.amdhsa_exception_fp_ieee_inexact 0
		.amdhsa_exception_int_div_zero 0
	.end_amdhsa_kernel
	.section	.text._ZL39rocblas_trsm_block_forward_substitutionI19rocblas_complex_numIfES1_PKS1_PS1_Lb1ELb1ELb1EEv18rocblas_operation_llT0_T1_lllT2_lllib,"axG",@progbits,_ZL39rocblas_trsm_block_forward_substitutionI19rocblas_complex_numIfES1_PKS1_PS1_Lb1ELb1ELb1EEv18rocblas_operation_llT0_T1_lllT2_lllib,comdat
.Lfunc_end188:
	.size	_ZL39rocblas_trsm_block_forward_substitutionI19rocblas_complex_numIfES1_PKS1_PS1_Lb1ELb1ELb1EEv18rocblas_operation_llT0_T1_lllT2_lllib, .Lfunc_end188-_ZL39rocblas_trsm_block_forward_substitutionI19rocblas_complex_numIfES1_PKS1_PS1_Lb1ELb1ELb1EEv18rocblas_operation_llT0_T1_lllT2_lllib
                                        ; -- End function
	.section	.AMDGPU.csdata,"",@progbits
; Kernel info:
; codeLenInByte = 920
; NumSgprs: 40
; NumVgprs: 18
; NumAgprs: 0
; TotalNumVgprs: 18
; ScratchSize: 0
; MemoryBound: 0
; FloatMode: 240
; IeeeMode: 1
; LDSByteSize: 0 bytes/workgroup (compile time only)
; SGPRBlocks: 4
; VGPRBlocks: 2
; NumSGPRsForWavesPerEU: 40
; NumVGPRsForWavesPerEU: 18
; AccumOffset: 20
; Occupancy: 8
; WaveLimiterHint : 1
; COMPUTE_PGM_RSRC2:SCRATCH_EN: 0
; COMPUTE_PGM_RSRC2:USER_SGPR: 6
; COMPUTE_PGM_RSRC2:TRAP_HANDLER: 0
; COMPUTE_PGM_RSRC2:TGID_X_EN: 1
; COMPUTE_PGM_RSRC2:TGID_Y_EN: 1
; COMPUTE_PGM_RSRC2:TGID_Z_EN: 1
; COMPUTE_PGM_RSRC2:TIDIG_COMP_CNT: 1
; COMPUTE_PGM_RSRC3_GFX90A:ACCUM_OFFSET: 4
; COMPUTE_PGM_RSRC3_GFX90A:TG_SPLIT: 0
	.section	.text._ZL40rocblas_trsm_block_backward_substitutionI19rocblas_complex_numIfES1_PKS1_PS1_Lb1ELb1ELb1EEv18rocblas_operation_llT0_T1_lllT2_lllib,"axG",@progbits,_ZL40rocblas_trsm_block_backward_substitutionI19rocblas_complex_numIfES1_PKS1_PS1_Lb1ELb1ELb1EEv18rocblas_operation_llT0_T1_lllT2_lllib,comdat
	.globl	_ZL40rocblas_trsm_block_backward_substitutionI19rocblas_complex_numIfES1_PKS1_PS1_Lb1ELb1ELb1EEv18rocblas_operation_llT0_T1_lllT2_lllib ; -- Begin function _ZL40rocblas_trsm_block_backward_substitutionI19rocblas_complex_numIfES1_PKS1_PS1_Lb1ELb1ELb1EEv18rocblas_operation_llT0_T1_lllT2_lllib
	.p2align	8
	.type	_ZL40rocblas_trsm_block_backward_substitutionI19rocblas_complex_numIfES1_PKS1_PS1_Lb1ELb1ELb1EEv18rocblas_operation_llT0_T1_lllT2_lllib,@function
_ZL40rocblas_trsm_block_backward_substitutionI19rocblas_complex_numIfES1_PKS1_PS1_Lb1ELb1ELb1EEv18rocblas_operation_llT0_T1_lllT2_lllib: ; @_ZL40rocblas_trsm_block_backward_substitutionI19rocblas_complex_numIfES1_PKS1_PS1_Lb1ELb1ELb1EEv18rocblas_operation_llT0_T1_lllT2_lllib
; %bb.0:
	s_load_dwordx16 s[12:27], s[4:5], 0x20
	s_load_dwordx4 s[28:31], s[4:5], 0x8
	s_load_dwordx2 s[10:11], s[4:5], 0x18
	v_and_b32_e32 v2, 0x3ff, v0
	v_bfe_u32 v8, v0, 10, 10
	s_waitcnt lgkmcnt(0)
	s_mul_i32 s0, s8, s19
	s_mul_hi_u32 s1, s8, s18
	s_add_i32 s1, s1, s0
	s_mul_i32 s0, s8, s18
	s_lshl_b64 s[0:1], s[0:1], 3
	s_add_u32 s2, s12, s0
	s_addc_u32 s3, s13, s1
	s_lshl_b64 s[0:1], s[14:15], 3
	s_add_u32 s2, s2, s0
	s_load_dword s0, s[4:5], 0x64
	s_load_dword s6, s[4:5], 0x74
	s_addc_u32 s3, s3, s1
	s_add_u32 s12, s4, 0x68
	s_addc_u32 s13, s5, 0
	s_waitcnt lgkmcnt(0)
	s_lshr_b32 s6, s6, 16
	s_bitcmp0_b32 s0, 0
	s_cbranch_scc1 .LBB189_7
; %bb.1:
	s_lshl_b32 s0, s6, 3
	s_add_i32 s14, s0, 0
	v_cmp_lt_i64_e64 s[0:1], s[28:29], 1
	s_and_b64 vcc, exec, s[0:1]
	s_cbranch_vccnz .LBB189_6
; %bb.2:
	v_lshlrev_b32_e32 v0, 3, v2
	v_mov_b32_e32 v3, 0
	v_cmp_gt_u64_e64 s[0:1], s[28:29], v[2:3]
	v_mov_b32_e32 v1, s3
	v_add_co_u32_e32 v3, vcc, s2, v0
	v_add_u32_e32 v6, s14, v0
	s_mov_b32 s18, 0
	v_addc_co_u32_e32 v7, vcc, 0, v1, vcc
	v_pk_mov_b32 v[0:1], s[28:29], s[28:29] op_sel:[0,1]
	s_branch .LBB189_4
.LBB189_3:                              ;   in Loop: Header=BB189_4 Depth=1
	s_or_b64 exec, exec, s[2:3]
	s_add_i32 s18, s18, s6
	s_ashr_i32 s19, s18, 31
	v_cmp_ge_i64_e32 vcc, s[18:19], v[0:1]
	s_cbranch_vccnz .LBB189_6
.LBB189_4:                              ; =>This Inner Loop Header: Depth=1
	v_add_u32_e32 v4, s18, v8
	v_ashrrev_i32_e32 v5, 31, v4
	v_cmp_gt_i64_e32 vcc, s[28:29], v[4:5]
	v_cmp_lt_i32_e64 s[2:3], v2, v4
	s_and_b64 s[2:3], s[2:3], vcc
	s_and_b64 s[34:35], s[0:1], s[2:3]
	s_and_saveexec_b64 s[2:3], s[34:35]
	s_cbranch_execz .LBB189_3
; %bb.5:                                ;   in Loop: Header=BB189_4 Depth=1
	v_mul_lo_u32 v5, v5, s16
	v_mul_lo_u32 v9, v4, s17
	v_mad_u64_u32 v[10:11], s[34:35], v4, s16, 0
	v_add3_u32 v11, v11, v9, v5
	v_lshlrev_b64 v[10:11], 3, v[10:11]
	v_add_co_u32_e32 v10, vcc, v3, v10
	v_addc_co_u32_e32 v11, vcc, v7, v11, vcc
	global_load_dwordx2 v[10:11], v[10:11], off
	s_load_dword s9, s[12:13], 0xc
	s_waitcnt lgkmcnt(0)
	s_and_b32 s9, s9, 0xffff
	v_mul_lo_u32 v4, v4, s9
	v_lshl_add_u32 v4, v4, 3, v6
	s_waitcnt vmcnt(0)
	ds_write_b64 v4, v[10:11]
	s_branch .LBB189_3
.LBB189_6:
	s_load_dword s2, s[12:13], 0xc
	s_mov_b64 s[0:1], src_shared_base
	s_mov_b32 s15, s1
	s_mov_b32 s17, 0
	s_waitcnt lgkmcnt(0)
	s_and_b32 s16, s2, 0xffff
	s_mov_b64 s[2:3], s[14:15]
.LBB189_7:
	s_mul_i32 s7, s7, s6
	v_add_u32_e32 v0, s7, v8
	v_mov_b32_e32 v1, 0
	v_cmp_gt_i64_e32 vcc, s[30:31], v[0:1]
	s_and_saveexec_b64 s[0:1], vcc
	s_cbranch_execz .LBB189_23
; %bb.8:
	v_mov_b32_e32 v3, v1
	v_cmp_gt_i64_e32 vcc, s[28:29], v[2:3]
	s_and_b64 exec, exec, vcc
	s_cbranch_execz .LBB189_23
; %bb.9:
	s_mul_i32 s0, s8, s27
	s_mul_hi_u32 s1, s8, s26
	s_add_i32 s1, s1, s0
	s_mul_i32 s0, s8, s26
	s_lshl_b64 s[0:1], s[0:1], 3
	s_add_u32 s6, s20, s0
	s_addc_u32 s7, s21, s1
	s_lshl_b64 s[0:1], s[22:23], 3
	s_add_u32 s6, s6, s0
	s_addc_u32 s7, s7, s1
	v_mad_u64_u32 v[4:5], s[0:1], v0, s24, 0
	v_mov_b32_e32 v6, v5
	v_mad_u64_u32 v[0:1], s[0:1], v0, s25, v[6:7]
	v_mov_b32_e32 v5, v0
	v_lshlrev_b64 v[0:1], 3, v[4:5]
	v_mov_b32_e32 v4, s7
	v_add_co_u32_e32 v0, vcc, s6, v0
	v_addc_co_u32_e32 v1, vcc, v4, v1, vcc
	v_lshlrev_b32_e32 v9, 3, v2
	v_add_co_u32_e32 v0, vcc, v0, v9
	v_addc_co_u32_e32 v1, vcc, 0, v1, vcc
	global_load_dwordx2 v[6:7], v[0:1], off
	s_mov_b32 s0, s11
	v_cmp_lt_u64_e64 s[6:7], s[28:29], 2
	s_and_b64 vcc, exec, s[6:7]
	s_waitcnt vmcnt(0)
	v_pk_mul_f32 v[4:5], s[10:11], v[6:7]
	v_mov_b32_e32 v4, v7
	v_mov_b32_e32 v10, v5
	v_pk_mul_f32 v[12:13], s[10:11], v[4:5]
	v_pk_fma_f32 v[4:5], s[10:11], v[6:7], v[10:11] neg_lo:[0,0,1] neg_hi:[0,0,1]
	v_pk_fma_f32 v[6:7], s[0:1], v[6:7], v[12:13]
	s_cbranch_vccnz .LBB189_22
; %bb.10:
	s_load_dword s0, s[4:5], 0x0
	v_mov_b32_e32 v5, v6
	v_lshl_add_u32 v11, v8, 3, 0
	s_waitcnt lgkmcnt(0)
	s_cmpk_lg_i32 s0, 0x71
	s_cselect_b64 s[0:1], -1, 0
	s_add_u32 s4, s28, -1
	s_addc_u32 s5, s29, -1
	s_mul_hi_u32 s6, s16, s4
	s_mul_i32 s7, s16, s5
	s_add_i32 s6, s6, s7
	s_mul_i32 s7, s17, s4
	s_add_i32 s7, s6, s7
	s_mul_i32 s6, s16, s4
	s_lshl_b64 s[6:7], s[6:7], 3
	s_add_u32 s2, s2, s6
	s_addc_u32 s3, s3, s7
	v_mov_b32_e32 v7, s3
	v_add_co_u32_e32 v6, vcc, s2, v9
	s_lshl_b64 s[2:3], s[16:17], 3
	s_sub_u32 s8, 0, s2
	s_subb_u32 s2, 0, s3
	v_addc_co_u32_e32 v7, vcc, 0, v7, vcc
	v_mov_b32_e32 v12, s2
.LBB189_11:                             ; =>This Inner Loop Header: Depth=1
	v_cmp_eq_u64_e32 vcc, s[4:5], v[2:3]
	s_barrier
	s_and_saveexec_b64 s[2:3], vcc
	s_cbranch_execz .LBB189_13
; %bb.12:                               ;   in Loop: Header=BB189_11 Depth=1
	ds_write_b64 v11, v[4:5]
.LBB189_13:                             ;   in Loop: Header=BB189_11 Depth=1
	s_or_b64 exec, exec, s[2:3]
	v_cmp_gt_i64_e32 vcc, s[4:5], v[2:3]
	s_waitcnt lgkmcnt(0)
	s_barrier
	s_and_saveexec_b64 s[2:3], vcc
	s_cbranch_execz .LBB189_19
; %bb.14:                               ;   in Loop: Header=BB189_11 Depth=1
	s_and_b64 vcc, exec, s[0:1]
	s_cbranch_vccz .LBB189_16
; %bb.15:                               ;   in Loop: Header=BB189_11 Depth=1
	flat_load_dwordx2 v[8:9], v[6:7]
	s_waitcnt vmcnt(0) lgkmcnt(0)
	v_mov_b32_e32 v10, v9
	s_cbranch_execz .LBB189_17
	s_branch .LBB189_18
.LBB189_16:                             ;   in Loop: Header=BB189_11 Depth=1
                                        ; implicit-def: $vgpr8
                                        ; implicit-def: $vgpr10
.LBB189_17:                             ;   in Loop: Header=BB189_11 Depth=1
	flat_load_dwordx2 v[8:9], v[6:7]
	s_waitcnt vmcnt(0) lgkmcnt(0)
	v_xor_b32_e32 v10, 0x80000000, v9
.LBB189_18:                             ;   in Loop: Header=BB189_11 Depth=1
	ds_read_b64 v[14:15], v11
	s_waitcnt lgkmcnt(0)
	v_pk_mul_f32 v[16:17], v[14:15], v[10:11] op_sel_hi:[1,0]
	v_pk_fma_f32 v[18:19], v[14:15], v[8:9], v[16:17] op_sel:[0,0,1] op_sel_hi:[1,1,0] neg_lo:[0,0,1] neg_hi:[0,0,1]
	v_pk_fma_f32 v[8:9], v[14:15], v[8:9], v[16:17] op_sel:[0,0,1] op_sel_hi:[1,0,0]
	v_mov_b32_e32 v19, v9
	v_pk_add_f32 v[4:5], v[4:5], v[18:19] neg_lo:[0,1] neg_hi:[0,1]
.LBB189_19:                             ;   in Loop: Header=BB189_11 Depth=1
	s_or_b64 exec, exec, s[2:3]
	s_add_u32 s2, s4, -1
	s_addc_u32 s3, s5, -1
	s_add_u32 s4, s4, 1
	s_addc_u32 s5, s5, 0
	v_add_co_u32_e32 v6, vcc, s8, v6
	v_addc_co_u32_e32 v7, vcc, v7, v12, vcc
	v_cmp_lt_u64_e64 s[4:5], s[4:5], 3
	s_and_b64 vcc, exec, s[4:5]
	s_cbranch_vccnz .LBB189_21
; %bb.20:                               ;   in Loop: Header=BB189_11 Depth=1
	s_mov_b64 s[4:5], s[2:3]
	s_branch .LBB189_11
.LBB189_21:
	v_mov_b32_e32 v6, v5
.LBB189_22:
	v_mov_b32_e32 v5, v6
	global_store_dwordx2 v[0:1], v[4:5], off
.LBB189_23:
	s_endpgm
	.section	.rodata,"a",@progbits
	.p2align	6, 0x0
	.amdhsa_kernel _ZL40rocblas_trsm_block_backward_substitutionI19rocblas_complex_numIfES1_PKS1_PS1_Lb1ELb1ELb1EEv18rocblas_operation_llT0_T1_lllT2_lllib
		.amdhsa_group_segment_fixed_size 0
		.amdhsa_private_segment_fixed_size 0
		.amdhsa_kernarg_size 360
		.amdhsa_user_sgpr_count 6
		.amdhsa_user_sgpr_private_segment_buffer 1
		.amdhsa_user_sgpr_dispatch_ptr 0
		.amdhsa_user_sgpr_queue_ptr 0
		.amdhsa_user_sgpr_kernarg_segment_ptr 1
		.amdhsa_user_sgpr_dispatch_id 0
		.amdhsa_user_sgpr_flat_scratch_init 0
		.amdhsa_user_sgpr_kernarg_preload_length 0
		.amdhsa_user_sgpr_kernarg_preload_offset 0
		.amdhsa_user_sgpr_private_segment_size 0
		.amdhsa_uses_dynamic_stack 0
		.amdhsa_system_sgpr_private_segment_wavefront_offset 0
		.amdhsa_system_sgpr_workgroup_id_x 1
		.amdhsa_system_sgpr_workgroup_id_y 1
		.amdhsa_system_sgpr_workgroup_id_z 1
		.amdhsa_system_sgpr_workgroup_info 0
		.amdhsa_system_vgpr_workitem_id 1
		.amdhsa_next_free_vgpr 20
		.amdhsa_next_free_sgpr 36
		.amdhsa_accum_offset 20
		.amdhsa_reserve_vcc 1
		.amdhsa_reserve_flat_scratch 0
		.amdhsa_float_round_mode_32 0
		.amdhsa_float_round_mode_16_64 0
		.amdhsa_float_denorm_mode_32 3
		.amdhsa_float_denorm_mode_16_64 3
		.amdhsa_dx10_clamp 1
		.amdhsa_ieee_mode 1
		.amdhsa_fp16_overflow 0
		.amdhsa_tg_split 0
		.amdhsa_exception_fp_ieee_invalid_op 0
		.amdhsa_exception_fp_denorm_src 0
		.amdhsa_exception_fp_ieee_div_zero 0
		.amdhsa_exception_fp_ieee_overflow 0
		.amdhsa_exception_fp_ieee_underflow 0
		.amdhsa_exception_fp_ieee_inexact 0
		.amdhsa_exception_int_div_zero 0
	.end_amdhsa_kernel
	.section	.text._ZL40rocblas_trsm_block_backward_substitutionI19rocblas_complex_numIfES1_PKS1_PS1_Lb1ELb1ELb1EEv18rocblas_operation_llT0_T1_lllT2_lllib,"axG",@progbits,_ZL40rocblas_trsm_block_backward_substitutionI19rocblas_complex_numIfES1_PKS1_PS1_Lb1ELb1ELb1EEv18rocblas_operation_llT0_T1_lllT2_lllib,comdat
.Lfunc_end189:
	.size	_ZL40rocblas_trsm_block_backward_substitutionI19rocblas_complex_numIfES1_PKS1_PS1_Lb1ELb1ELb1EEv18rocblas_operation_llT0_T1_lllT2_lllib, .Lfunc_end189-_ZL40rocblas_trsm_block_backward_substitutionI19rocblas_complex_numIfES1_PKS1_PS1_Lb1ELb1ELb1EEv18rocblas_operation_llT0_T1_lllT2_lllib
                                        ; -- End function
	.section	.AMDGPU.csdata,"",@progbits
; Kernel info:
; codeLenInByte = 932
; NumSgprs: 40
; NumVgprs: 20
; NumAgprs: 0
; TotalNumVgprs: 20
; ScratchSize: 0
; MemoryBound: 0
; FloatMode: 240
; IeeeMode: 1
; LDSByteSize: 0 bytes/workgroup (compile time only)
; SGPRBlocks: 4
; VGPRBlocks: 2
; NumSGPRsForWavesPerEU: 40
; NumVGPRsForWavesPerEU: 20
; AccumOffset: 20
; Occupancy: 8
; WaveLimiterHint : 1
; COMPUTE_PGM_RSRC2:SCRATCH_EN: 0
; COMPUTE_PGM_RSRC2:USER_SGPR: 6
; COMPUTE_PGM_RSRC2:TRAP_HANDLER: 0
; COMPUTE_PGM_RSRC2:TGID_X_EN: 1
; COMPUTE_PGM_RSRC2:TGID_Y_EN: 1
; COMPUTE_PGM_RSRC2:TGID_Z_EN: 1
; COMPUTE_PGM_RSRC2:TIDIG_COMP_CNT: 1
; COMPUTE_PGM_RSRC3_GFX90A:ACCUM_OFFSET: 4
; COMPUTE_PGM_RSRC3_GFX90A:TG_SPLIT: 0
	.section	.text._ZL39rocblas_trsm_block_forward_substitutionI19rocblas_complex_numIfES1_PKS1_PS1_Lb1ELb0ELb0EEv18rocblas_operation_llT0_T1_lllT2_lllib,"axG",@progbits,_ZL39rocblas_trsm_block_forward_substitutionI19rocblas_complex_numIfES1_PKS1_PS1_Lb1ELb0ELb0EEv18rocblas_operation_llT0_T1_lllT2_lllib,comdat
	.globl	_ZL39rocblas_trsm_block_forward_substitutionI19rocblas_complex_numIfES1_PKS1_PS1_Lb1ELb0ELb0EEv18rocblas_operation_llT0_T1_lllT2_lllib ; -- Begin function _ZL39rocblas_trsm_block_forward_substitutionI19rocblas_complex_numIfES1_PKS1_PS1_Lb1ELb0ELb0EEv18rocblas_operation_llT0_T1_lllT2_lllib
	.p2align	8
	.type	_ZL39rocblas_trsm_block_forward_substitutionI19rocblas_complex_numIfES1_PKS1_PS1_Lb1ELb0ELb0EEv18rocblas_operation_llT0_T1_lllT2_lllib,@function
_ZL39rocblas_trsm_block_forward_substitutionI19rocblas_complex_numIfES1_PKS1_PS1_Lb1ELb0ELb0EEv18rocblas_operation_llT0_T1_lllT2_lllib: ; @_ZL39rocblas_trsm_block_forward_substitutionI19rocblas_complex_numIfES1_PKS1_PS1_Lb1ELb0ELb0EEv18rocblas_operation_llT0_T1_lllT2_lllib
; %bb.0:
	s_load_dwordx16 s[12:27], s[4:5], 0x20
	s_load_dword s0, s[4:5], 0x64
	s_load_dwordx4 s[28:31], s[4:5], 0x8
	s_load_dwordx2 s[34:35], s[4:5], 0x18
	s_load_dword s6, s[4:5], 0x74
	v_and_b32_e32 v2, 0x3ff, v0
	s_waitcnt lgkmcnt(0)
	s_bitcmp1_b32 s0, 0
	s_cselect_b64 s[0:1], -1, 0
	s_xor_b64 s[10:11], s[0:1], -1
	s_mul_i32 s0, s8, s19
	s_mul_hi_u32 s1, s8, s18
	s_add_i32 s1, s1, s0
	s_mul_i32 s0, s8, s18
	s_lshl_b64 s[0:1], s[0:1], 3
	s_add_u32 s9, s12, s0
	s_addc_u32 s13, s13, s1
	s_lshl_b64 s[0:1], s[14:15], 3
	s_add_u32 s12, s9, s0
	s_addc_u32 s13, s13, s1
	s_add_u32 s18, s4, 0x68
	v_bfe_u32 v12, v0, 10, 10
	s_addc_u32 s19, s5, 0
	s_lshr_b32 s6, s6, 16
	s_mov_b64 s[14:15], 1
	s_and_b64 vcc, exec, s[10:11]
	s_cbranch_vccnz .LBB190_14
; %bb.1:
	s_lshl_b32 s0, s6, 3
	s_add_i32 s36, s0, 0
	v_cmp_lt_i64_e64 s[0:1], s[28:29], 1
	s_mov_b64 s[2:3], 1
	s_and_b64 vcc, exec, s[0:1]
	s_cbranch_vccnz .LBB190_15
; %bb.2:
	v_mad_u64_u32 v[0:1], s[0:1], v2, s16, 0
	v_mov_b32_e32 v4, v1
	v_mad_u64_u32 v[4:5], s[0:1], v2, s17, v[4:5]
	v_mov_b32_e32 v1, v4
	v_mov_b32_e32 v3, 0
	v_lshlrev_b64 v[0:1], 3, v[0:1]
	v_cmp_le_u64_e32 vcc, s[28:29], v[2:3]
	v_mov_b32_e32 v4, s13
	v_add_co_u32_e64 v3, s[0:1], s12, v0
	v_lshlrev_b32_e32 v6, 3, v2
	v_addc_co_u32_e64 v14, s[0:1], v4, v1, s[0:1]
	v_add_co_u32_e64 v0, s[0:1], v3, v6
	v_addc_co_u32_e64 v1, s[0:1], 0, v14, s[0:1]
	v_add_u32_e32 v13, s36, v6
	s_xor_b64 s[0:1], vcc, -1
	v_pk_mov_b32 v[4:5], s[28:29], s[28:29] op_sel:[0,1]
	s_mov_b32 s12, s6
	v_mov_b32_e32 v6, v12
	s_branch .LBB190_6
.LBB190_3:                              ;   in Loop: Header=BB190_6 Depth=1
	s_or_b64 exec, exec, s[38:39]
	s_load_dword s9, s[18:19], 0xc
	s_waitcnt lgkmcnt(0)
	s_and_b32 s9, s9, 0xffff
	v_mul_u32_u24_e32 v7, s9, v2
	v_lshl_add_u32 v7, v7, 3, v13
	ds_write_b64 v7, v[10:11]
.LBB190_4:                              ;   in Loop: Header=BB190_6 Depth=1
	s_or_b64 exec, exec, s[16:17]
.LBB190_5:                              ;   in Loop: Header=BB190_6 Depth=1
	s_or_b64 exec, exec, s[14:15]
	s_ashr_i32 s13, s12, 31
	v_cmp_ge_i64_e32 vcc, s[12:13], v[4:5]
	v_add_u32_e32 v6, s6, v6
	s_add_i32 s12, s12, s6
	s_cbranch_vccnz .LBB190_15
.LBB190_6:                              ; =>This Inner Loop Header: Depth=1
	v_cmp_gt_i32_e32 vcc, v2, v6
	s_and_b64 s[14:15], s[0:1], vcc
	s_and_saveexec_b64 s[16:17], s[14:15]
	s_xor_b64 s[14:15], exec, s[16:17]
	s_cbranch_execz .LBB190_8
; %bb.7:                                ;   in Loop: Header=BB190_6 Depth=1
	v_ashrrev_i32_e32 v7, 31, v6
	v_lshlrev_b64 v[8:9], 3, v[6:7]
	v_add_co_u32_e32 v8, vcc, v3, v8
	v_addc_co_u32_e32 v9, vcc, v14, v9, vcc
	global_load_dwordx2 v[8:9], v[8:9], off
	s_load_dword s9, s[18:19], 0xc
	s_waitcnt lgkmcnt(0)
	s_and_b32 s9, s9, 0xffff
	v_mul_lo_u32 v7, v6, s9
	v_lshl_add_u32 v7, v7, 3, v13
	s_waitcnt vmcnt(0)
	ds_write_b64 v7, v[8:9]
.LBB190_8:                              ;   in Loop: Header=BB190_6 Depth=1
	s_andn2_saveexec_b64 s[14:15], s[14:15]
	s_cbranch_execz .LBB190_5
; %bb.9:                                ;   in Loop: Header=BB190_6 Depth=1
	v_cmp_eq_u32_e32 vcc, v2, v6
	s_and_b64 s[38:39], s[0:1], vcc
	s_and_saveexec_b64 s[16:17], s[38:39]
	s_cbranch_execz .LBB190_4
; %bb.10:                               ;   in Loop: Header=BB190_6 Depth=1
	global_load_dwordx2 v[8:9], v[0:1], off
	s_waitcnt vmcnt(0)
	v_cmp_gt_f32_e32 vcc, 0, v9
	v_cndmask_b32_e64 v7, v9, -v9, vcc
	v_cmp_gt_f32_e32 vcc, 0, v8
	v_cndmask_b32_e64 v10, v8, -v8, vcc
	v_cmp_ngt_f32_e32 vcc, v10, v7
                                        ; implicit-def: $vgpr10_vgpr11
	s_and_saveexec_b64 s[38:39], vcc
	s_xor_b64 s[38:39], exec, s[38:39]
	s_cbranch_execz .LBB190_12
; %bb.11:                               ;   in Loop: Header=BB190_6 Depth=1
	v_div_scale_f32 v7, s[40:41], v9, v9, v8
	v_rcp_f32_e32 v10, v7
	v_div_scale_f32 v11, vcc, v8, v9, v8
	v_fma_f32 v15, -v7, v10, 1.0
	v_fmac_f32_e32 v10, v15, v10
	v_mul_f32_e32 v15, v11, v10
	v_fma_f32 v16, -v7, v15, v11
	v_fmac_f32_e32 v15, v16, v10
	v_fma_f32 v7, -v7, v15, v11
	v_div_fmas_f32 v7, v7, v10, v15
	v_div_fixup_f32 v7, v7, v9, v8
	v_fmac_f32_e32 v9, v8, v7
	v_div_scale_f32 v8, s[40:41], v9, v9, 1.0
	v_rcp_f32_e32 v10, v8
	v_fma_f32 v11, -v8, v10, 1.0
	v_fmac_f32_e32 v10, v11, v10
	v_div_scale_f32 v11, vcc, 1.0, v9, 1.0
	v_mul_f32_e32 v15, v11, v10
	v_fma_f32 v16, -v8, v15, v11
	v_fmac_f32_e32 v15, v16, v10
	v_fma_f32 v8, -v8, v15, v11
	v_div_fmas_f32 v8, v8, v10, v15
	v_div_fixup_f32 v8, v8, v9, 1.0
	v_mul_f32_e32 v10, v7, v8
	v_xor_b32_e32 v11, 0x80000000, v8
                                        ; implicit-def: $vgpr8_vgpr9
.LBB190_12:                             ;   in Loop: Header=BB190_6 Depth=1
	s_andn2_saveexec_b64 s[38:39], s[38:39]
	s_cbranch_execz .LBB190_3
; %bb.13:                               ;   in Loop: Header=BB190_6 Depth=1
	v_div_scale_f32 v7, s[40:41], v8, v8, v9
	v_rcp_f32_e32 v10, v7
	v_div_scale_f32 v11, vcc, v9, v8, v9
	v_fma_f32 v15, -v7, v10, 1.0
	v_fmac_f32_e32 v10, v15, v10
	v_mul_f32_e32 v15, v11, v10
	v_fma_f32 v16, -v7, v15, v11
	v_fmac_f32_e32 v15, v16, v10
	v_fma_f32 v7, -v7, v15, v11
	v_div_fmas_f32 v7, v7, v10, v15
	v_div_fixup_f32 v7, v7, v8, v9
	v_fmac_f32_e32 v8, v9, v7
	v_div_scale_f32 v9, s[40:41], v8, v8, 1.0
	v_rcp_f32_e32 v10, v9
	v_fma_f32 v11, -v9, v10, 1.0
	v_fmac_f32_e32 v10, v11, v10
	v_div_scale_f32 v11, vcc, 1.0, v8, 1.0
	v_mul_f32_e32 v15, v11, v10
	v_fma_f32 v16, -v9, v15, v11
	v_fmac_f32_e32 v15, v16, v10
	v_fma_f32 v9, -v9, v15, v11
	v_div_fmas_f32 v9, v9, v10, v15
	v_div_fixup_f32 v10, v9, v8, 1.0
	v_mul_f32_e64 v11, v7, -v10
	s_branch .LBB190_3
.LBB190_14:
	s_mov_b32 s2, s16
	s_mov_b32 s3, s17
	s_branch .LBB190_16
.LBB190_15:
	s_load_dword s9, s[18:19], 0xc
	s_mov_b64 s[0:1], src_shared_base
	s_mov_b32 s37, s1
	s_mov_b32 s15, 0
	s_mov_b64 s[12:13], s[36:37]
	s_waitcnt lgkmcnt(0)
	s_and_b32 s14, s9, 0xffff
.LBB190_16:
	s_mul_i32 s7, s7, s6
	v_add_u32_e32 v0, s7, v12
	v_mov_b32_e32 v1, 0
	v_cmp_gt_i64_e32 vcc, s[30:31], v[0:1]
	s_and_saveexec_b64 s[0:1], vcc
	s_cbranch_execz .LBB190_44
; %bb.17:
	v_mov_b32_e32 v3, v1
	v_cmp_gt_i64_e32 vcc, s[28:29], v[2:3]
	s_and_b64 exec, exec, vcc
	s_cbranch_execz .LBB190_44
; %bb.18:
	s_mul_i32 s0, s8, s27
	s_mul_hi_u32 s1, s8, s26
	s_add_i32 s1, s1, s0
	s_mul_i32 s0, s8, s26
	s_lshl_b64 s[0:1], s[0:1], 3
	s_add_u32 s6, s20, s0
	s_addc_u32 s7, s21, s1
	s_lshl_b64 s[0:1], s[22:23], 3
	s_add_u32 s6, s6, s0
	s_addc_u32 s7, s7, s1
	v_mad_u64_u32 v[4:5], s[0:1], v0, s24, 0
	v_mov_b32_e32 v6, v5
	v_mad_u64_u32 v[0:1], s[0:1], v0, s25, v[6:7]
	v_mov_b32_e32 v5, v0
	v_lshlrev_b64 v[0:1], 3, v[4:5]
	v_mov_b32_e32 v4, s7
	v_add_co_u32_e32 v0, vcc, s6, v0
	v_addc_co_u32_e32 v1, vcc, v4, v1, vcc
	v_lshlrev_b32_e32 v4, 3, v2
	v_add_co_u32_e32 v0, vcc, v0, v4
	v_addc_co_u32_e32 v1, vcc, 0, v1, vcc
	global_load_dwordx2 v[6:7], v[0:1], off
	v_cmp_lt_u64_e64 s[0:1], s[28:29], 2
	s_add_u32 s6, s28, -1
	s_addc_u32 s7, s29, -1
	s_and_b64 vcc, exec, s[0:1]
	s_waitcnt vmcnt(0)
	v_pk_mul_f32 v[8:9], s[34:35], v[6:7]
	v_mul_f32_e32 v5, s35, v6
	v_sub_f32_e32 v4, v8, v9
	v_fmac_f32_e32 v5, s34, v7
	s_cbranch_vccnz .LBB190_35
; %bb.19:
	s_load_dword s0, s[4:5], 0x0
	v_mov_b32_e32 v13, s13
	s_mov_b32 s20, 0
	v_lshl_add_u32 v12, v12, 3, 0
	s_waitcnt lgkmcnt(0)
	s_cmpk_lg_i32 s0, 0x71
	s_cselect_b64 s[4:5], -1, 0
	s_add_u32 s0, s14, s2
	v_mad_u64_u32 v[6:7], s[0:1], s0, v2, 0
	s_addc_u32 s8, s15, s3
	v_mov_b32_e32 v8, v7
	v_mad_u64_u32 v[8:9], s[0:1], s8, v2, v[8:9]
	v_mov_b32_e32 v7, v8
	v_mad_u64_u32 v[8:9], s[0:1], s2, v2, 0
	v_mov_b32_e32 v10, v9
	v_lshlrev_b64 v[6:7], 3, v[6:7]
	v_mad_u64_u32 v[10:11], s[0:1], s3, v2, v[10:11]
	v_add_co_u32_e32 v6, vcc, s12, v6
	v_mov_b32_e32 v9, v10
	v_addc_co_u32_e32 v7, vcc, v13, v7, vcc
	v_lshlrev_b64 v[8:9], 3, v[8:9]
	v_add_co_u32_e32 v8, vcc, s12, v8
	v_cndmask_b32_e64 v10, 0, 1, s[10:11]
	v_addc_co_u32_e32 v9, vcc, v13, v9, vcc
	s_lshl_b32 s21, s14, 3
	s_mov_b64 s[8:9], 0
	v_cmp_ne_u32_e64 s[0:1], 1, v10
	s_branch .LBB190_22
.LBB190_20:                             ;   in Loop: Header=BB190_22 Depth=1
	ds_read_b64 v[14:15], v12
	s_waitcnt vmcnt(0) lgkmcnt(0)
	v_mul_f32_e32 v13, v15, v11
	v_mul_f32_e32 v15, v15, v10
	v_fma_f32 v10, v14, v10, -v13
	v_fmac_f32_e32 v15, v14, v11
	v_sub_f32_e32 v4, v4, v10
	v_sub_f32_e32 v5, v5, v15
.LBB190_21:                             ;   in Loop: Header=BB190_22 Depth=1
	s_or_b64 exec, exec, s[16:17]
	s_add_u32 s8, s8, 1
	s_addc_u32 s9, s9, 0
	v_mov_b32_e32 v10, s20
	v_add_co_u32_e32 v8, vcc, s21, v8
	s_cmp_eq_u64 s[6:7], s[8:9]
	v_addc_co_u32_e32 v9, vcc, v9, v10, vcc
	s_cbranch_scc1 .LBB190_35
.LBB190_22:                             ; =>This Inner Loop Header: Depth=1
	v_cmp_eq_u64_e32 vcc, s[8:9], v[2:3]
	s_barrier
	s_and_saveexec_b64 s[16:17], vcc
	s_cbranch_execz .LBB190_30
; %bb.23:                               ;   in Loop: Header=BB190_22 Depth=1
	flat_load_dwordx2 v[10:11], v[6:7]
	s_and_b64 vcc, exec, s[0:1]
	s_cbranch_vccnz .LBB190_29
; %bb.24:                               ;   in Loop: Header=BB190_22 Depth=1
	s_waitcnt vmcnt(0) lgkmcnt(0)
	v_cmp_gt_f32_e32 vcc, 0, v10
	v_cndmask_b32_e64 v13, v10, -v10, vcc
	v_cmp_gt_f32_e32 vcc, 0, v11
	v_cndmask_b32_e64 v14, v11, -v11, vcc
	v_cmp_ngt_f32_e32 vcc, v13, v14
	s_and_saveexec_b64 s[18:19], vcc
	s_xor_b64 s[18:19], exec, s[18:19]
	s_cbranch_execz .LBB190_26
; %bb.25:                               ;   in Loop: Header=BB190_22 Depth=1
	v_div_scale_f32 v13, s[22:23], v11, v11, v10
	v_rcp_f32_e32 v14, v13
	v_div_scale_f32 v15, vcc, v10, v11, v10
	v_fma_f32 v16, -v13, v14, 1.0
	v_fmac_f32_e32 v14, v16, v14
	v_mul_f32_e32 v16, v15, v14
	v_fma_f32 v17, -v13, v16, v15
	v_fmac_f32_e32 v16, v17, v14
	v_fma_f32 v13, -v13, v16, v15
	v_div_fmas_f32 v13, v13, v14, v16
	v_div_fixup_f32 v13, v13, v11, v10
	v_fmac_f32_e32 v11, v10, v13
	v_div_scale_f32 v10, s[22:23], v11, v11, 1.0
	v_rcp_f32_e32 v14, v10
	v_fma_f32 v15, -v10, v14, 1.0
	v_fmac_f32_e32 v14, v15, v14
	v_div_scale_f32 v15, vcc, 1.0, v11, 1.0
	v_mul_f32_e32 v16, v15, v14
	v_fma_f32 v17, -v10, v16, v15
	v_fmac_f32_e32 v16, v17, v14
	v_fma_f32 v10, -v10, v16, v15
	v_div_fmas_f32 v10, v10, v14, v16
	v_div_fixup_f32 v11, v10, v11, 1.0
	v_mul_f32_e32 v10, v13, v11
	v_xor_b32_e32 v11, 0x80000000, v11
.LBB190_26:                             ;   in Loop: Header=BB190_22 Depth=1
	s_andn2_saveexec_b64 s[18:19], s[18:19]
	s_cbranch_execz .LBB190_28
; %bb.27:                               ;   in Loop: Header=BB190_22 Depth=1
	v_div_scale_f32 v13, s[22:23], v10, v10, v11
	v_rcp_f32_e32 v14, v13
	v_div_scale_f32 v15, vcc, v11, v10, v11
	v_fma_f32 v16, -v13, v14, 1.0
	v_fmac_f32_e32 v14, v16, v14
	v_mul_f32_e32 v16, v15, v14
	v_fma_f32 v17, -v13, v16, v15
	v_fmac_f32_e32 v16, v17, v14
	v_fma_f32 v13, -v13, v16, v15
	v_div_fmas_f32 v13, v13, v14, v16
	v_div_fixup_f32 v13, v13, v10, v11
	v_fmac_f32_e32 v10, v11, v13
	v_div_scale_f32 v11, s[22:23], v10, v10, 1.0
	v_rcp_f32_e32 v14, v11
	v_fma_f32 v15, -v11, v14, 1.0
	v_fmac_f32_e32 v14, v15, v14
	v_div_scale_f32 v15, vcc, 1.0, v10, 1.0
	v_mul_f32_e32 v16, v15, v14
	v_fma_f32 v17, -v11, v16, v15
	v_fmac_f32_e32 v16, v17, v14
	v_fma_f32 v11, -v11, v16, v15
	v_div_fmas_f32 v11, v11, v14, v16
	v_div_fixup_f32 v10, v11, v10, 1.0
	v_mul_f32_e64 v11, v13, -v10
.LBB190_28:                             ;   in Loop: Header=BB190_22 Depth=1
	s_or_b64 exec, exec, s[18:19]
.LBB190_29:                             ;   in Loop: Header=BB190_22 Depth=1
	s_waitcnt vmcnt(0) lgkmcnt(0)
	v_mul_f32_e32 v13, v5, v11
	v_mul_f32_e32 v15, v4, v11
	v_fma_f32 v14, v4, v10, -v13
	v_fmac_f32_e32 v15, v5, v10
	v_mov_b32_e32 v5, v15
	v_mov_b32_e32 v4, v14
	ds_write_b64 v12, v[14:15]
.LBB190_30:                             ;   in Loop: Header=BB190_22 Depth=1
	s_or_b64 exec, exec, s[16:17]
	v_cmp_lt_u64_e32 vcc, s[8:9], v[2:3]
	s_waitcnt lgkmcnt(0)
	s_barrier
	s_and_saveexec_b64 s[16:17], vcc
	s_cbranch_execz .LBB190_21
; %bb.31:                               ;   in Loop: Header=BB190_22 Depth=1
	s_and_b64 vcc, exec, s[4:5]
	s_cbranch_vccz .LBB190_33
; %bb.32:                               ;   in Loop: Header=BB190_22 Depth=1
	flat_load_dwordx2 v[10:11], v[8:9]
	s_cbranch_execnz .LBB190_20
	s_branch .LBB190_34
.LBB190_33:                             ;   in Loop: Header=BB190_22 Depth=1
                                        ; implicit-def: $vgpr10
.LBB190_34:                             ;   in Loop: Header=BB190_22 Depth=1
	s_waitcnt vmcnt(0) lgkmcnt(0)
	flat_load_dwordx2 v[10:11], v[8:9]
	s_waitcnt vmcnt(0) lgkmcnt(0)
	v_xor_b32_e32 v11, 0x80000000, v11
	s_branch .LBB190_20
.LBB190_35:
	v_cmp_eq_u64_e32 vcc, s[6:7], v[2:3]
	s_and_saveexec_b64 s[0:1], vcc
	s_cbranch_execz .LBB190_43
; %bb.36:
	s_add_u32 s2, s14, s2
	s_addc_u32 s4, s15, s3
	v_mad_u64_u32 v[6:7], s[2:3], s2, v2, 0
	v_mov_b32_e32 v8, v7
	v_mad_u64_u32 v[2:3], s[2:3], s4, v2, v[8:9]
	v_mov_b32_e32 v7, v2
	v_lshlrev_b64 v[2:3], 3, v[6:7]
	v_mov_b32_e32 v6, s13
	v_add_co_u32_e32 v2, vcc, s12, v2
	v_addc_co_u32_e32 v3, vcc, v6, v3, vcc
	flat_load_dwordx2 v[2:3], v[2:3]
	s_andn2_b64 vcc, exec, s[10:11]
	s_cbranch_vccnz .LBB190_42
; %bb.37:
	s_waitcnt vmcnt(0) lgkmcnt(0)
	v_cmp_gt_f32_e32 vcc, 0, v2
	v_cndmask_b32_e64 v6, v2, -v2, vcc
	v_cmp_gt_f32_e32 vcc, 0, v3
	v_cndmask_b32_e64 v7, v3, -v3, vcc
	v_cmp_ngt_f32_e32 vcc, v6, v7
	s_and_saveexec_b64 s[2:3], vcc
	s_xor_b64 s[2:3], exec, s[2:3]
	s_cbranch_execz .LBB190_39
; %bb.38:
	v_div_scale_f32 v6, s[4:5], v3, v3, v2
	v_rcp_f32_e32 v7, v6
	v_div_scale_f32 v8, vcc, v2, v3, v2
	v_fma_f32 v9, -v6, v7, 1.0
	v_fmac_f32_e32 v7, v9, v7
	v_mul_f32_e32 v9, v8, v7
	v_fma_f32 v10, -v6, v9, v8
	v_fmac_f32_e32 v9, v10, v7
	v_fma_f32 v6, -v6, v9, v8
	v_div_fmas_f32 v6, v6, v7, v9
	v_div_fixup_f32 v6, v6, v3, v2
	v_fmac_f32_e32 v3, v2, v6
	v_div_scale_f32 v2, s[4:5], v3, v3, 1.0
	v_rcp_f32_e32 v7, v2
	v_fma_f32 v8, -v2, v7, 1.0
	v_fmac_f32_e32 v7, v8, v7
	v_div_scale_f32 v8, vcc, 1.0, v3, 1.0
	v_mul_f32_e32 v9, v8, v7
	v_fma_f32 v10, -v2, v9, v8
	v_fmac_f32_e32 v9, v10, v7
	v_fma_f32 v2, -v2, v9, v8
	v_div_fmas_f32 v2, v2, v7, v9
	v_div_fixup_f32 v3, v2, v3, 1.0
	v_mul_f32_e32 v2, v6, v3
	v_xor_b32_e32 v3, 0x80000000, v3
.LBB190_39:
	s_andn2_saveexec_b64 s[2:3], s[2:3]
	s_cbranch_execz .LBB190_41
; %bb.40:
	v_div_scale_f32 v6, s[4:5], v2, v2, v3
	v_rcp_f32_e32 v7, v6
	v_div_scale_f32 v8, vcc, v3, v2, v3
	v_fma_f32 v9, -v6, v7, 1.0
	v_fmac_f32_e32 v7, v9, v7
	v_mul_f32_e32 v9, v8, v7
	v_fma_f32 v10, -v6, v9, v8
	v_fmac_f32_e32 v9, v10, v7
	v_fma_f32 v6, -v6, v9, v8
	v_div_fmas_f32 v6, v6, v7, v9
	v_div_fixup_f32 v6, v6, v2, v3
	v_fmac_f32_e32 v2, v3, v6
	v_div_scale_f32 v3, s[4:5], v2, v2, 1.0
	v_rcp_f32_e32 v7, v3
	v_fma_f32 v8, -v3, v7, 1.0
	v_fmac_f32_e32 v7, v8, v7
	v_div_scale_f32 v8, vcc, 1.0, v2, 1.0
	v_mul_f32_e32 v9, v8, v7
	v_fma_f32 v10, -v3, v9, v8
	v_fmac_f32_e32 v9, v10, v7
	v_fma_f32 v3, -v3, v9, v8
	v_div_fmas_f32 v3, v3, v7, v9
	v_div_fixup_f32 v2, v3, v2, 1.0
	v_mul_f32_e64 v3, v6, -v2
.LBB190_41:
	s_or_b64 exec, exec, s[2:3]
.LBB190_42:
	s_waitcnt vmcnt(0) lgkmcnt(0)
	v_mul_f32_e32 v6, v5, v3
	v_fma_f32 v6, v4, v2, -v6
	v_mul_f32_e32 v5, v5, v2
	v_fmac_f32_e32 v5, v4, v3
	v_mov_b32_e32 v4, v6
.LBB190_43:
	s_or_b64 exec, exec, s[0:1]
	global_store_dwordx2 v[0:1], v[4:5], off
.LBB190_44:
	s_endpgm
	.section	.rodata,"a",@progbits
	.p2align	6, 0x0
	.amdhsa_kernel _ZL39rocblas_trsm_block_forward_substitutionI19rocblas_complex_numIfES1_PKS1_PS1_Lb1ELb0ELb0EEv18rocblas_operation_llT0_T1_lllT2_lllib
		.amdhsa_group_segment_fixed_size 0
		.amdhsa_private_segment_fixed_size 0
		.amdhsa_kernarg_size 360
		.amdhsa_user_sgpr_count 6
		.amdhsa_user_sgpr_private_segment_buffer 1
		.amdhsa_user_sgpr_dispatch_ptr 0
		.amdhsa_user_sgpr_queue_ptr 0
		.amdhsa_user_sgpr_kernarg_segment_ptr 1
		.amdhsa_user_sgpr_dispatch_id 0
		.amdhsa_user_sgpr_flat_scratch_init 0
		.amdhsa_user_sgpr_kernarg_preload_length 0
		.amdhsa_user_sgpr_kernarg_preload_offset 0
		.amdhsa_user_sgpr_private_segment_size 0
		.amdhsa_uses_dynamic_stack 0
		.amdhsa_system_sgpr_private_segment_wavefront_offset 0
		.amdhsa_system_sgpr_workgroup_id_x 1
		.amdhsa_system_sgpr_workgroup_id_y 1
		.amdhsa_system_sgpr_workgroup_id_z 1
		.amdhsa_system_sgpr_workgroup_info 0
		.amdhsa_system_vgpr_workitem_id 1
		.amdhsa_next_free_vgpr 18
		.amdhsa_next_free_sgpr 42
		.amdhsa_accum_offset 20
		.amdhsa_reserve_vcc 1
		.amdhsa_reserve_flat_scratch 0
		.amdhsa_float_round_mode_32 0
		.amdhsa_float_round_mode_16_64 0
		.amdhsa_float_denorm_mode_32 3
		.amdhsa_float_denorm_mode_16_64 3
		.amdhsa_dx10_clamp 1
		.amdhsa_ieee_mode 1
		.amdhsa_fp16_overflow 0
		.amdhsa_tg_split 0
		.amdhsa_exception_fp_ieee_invalid_op 0
		.amdhsa_exception_fp_denorm_src 0
		.amdhsa_exception_fp_ieee_div_zero 0
		.amdhsa_exception_fp_ieee_overflow 0
		.amdhsa_exception_fp_ieee_underflow 0
		.amdhsa_exception_fp_ieee_inexact 0
		.amdhsa_exception_int_div_zero 0
	.end_amdhsa_kernel
	.section	.text._ZL39rocblas_trsm_block_forward_substitutionI19rocblas_complex_numIfES1_PKS1_PS1_Lb1ELb0ELb0EEv18rocblas_operation_llT0_T1_lllT2_lllib,"axG",@progbits,_ZL39rocblas_trsm_block_forward_substitutionI19rocblas_complex_numIfES1_PKS1_PS1_Lb1ELb0ELb0EEv18rocblas_operation_llT0_T1_lllT2_lllib,comdat
.Lfunc_end190:
	.size	_ZL39rocblas_trsm_block_forward_substitutionI19rocblas_complex_numIfES1_PKS1_PS1_Lb1ELb0ELb0EEv18rocblas_operation_llT0_T1_lllT2_lllib, .Lfunc_end190-_ZL39rocblas_trsm_block_forward_substitutionI19rocblas_complex_numIfES1_PKS1_PS1_Lb1ELb0ELb0EEv18rocblas_operation_llT0_T1_lllT2_lllib
                                        ; -- End function
	.section	.AMDGPU.csdata,"",@progbits
; Kernel info:
; codeLenInByte = 2328
; NumSgprs: 46
; NumVgprs: 18
; NumAgprs: 0
; TotalNumVgprs: 18
; ScratchSize: 0
; MemoryBound: 0
; FloatMode: 240
; IeeeMode: 1
; LDSByteSize: 0 bytes/workgroup (compile time only)
; SGPRBlocks: 5
; VGPRBlocks: 2
; NumSGPRsForWavesPerEU: 46
; NumVGPRsForWavesPerEU: 18
; AccumOffset: 20
; Occupancy: 8
; WaveLimiterHint : 1
; COMPUTE_PGM_RSRC2:SCRATCH_EN: 0
; COMPUTE_PGM_RSRC2:USER_SGPR: 6
; COMPUTE_PGM_RSRC2:TRAP_HANDLER: 0
; COMPUTE_PGM_RSRC2:TGID_X_EN: 1
; COMPUTE_PGM_RSRC2:TGID_Y_EN: 1
; COMPUTE_PGM_RSRC2:TGID_Z_EN: 1
; COMPUTE_PGM_RSRC2:TIDIG_COMP_CNT: 1
; COMPUTE_PGM_RSRC3_GFX90A:ACCUM_OFFSET: 4
; COMPUTE_PGM_RSRC3_GFX90A:TG_SPLIT: 0
	.section	.text._ZL40rocblas_trsm_block_backward_substitutionI19rocblas_complex_numIfES1_PKS1_PS1_Lb1ELb0ELb0EEv18rocblas_operation_llT0_T1_lllT2_lllib,"axG",@progbits,_ZL40rocblas_trsm_block_backward_substitutionI19rocblas_complex_numIfES1_PKS1_PS1_Lb1ELb0ELb0EEv18rocblas_operation_llT0_T1_lllT2_lllib,comdat
	.globl	_ZL40rocblas_trsm_block_backward_substitutionI19rocblas_complex_numIfES1_PKS1_PS1_Lb1ELb0ELb0EEv18rocblas_operation_llT0_T1_lllT2_lllib ; -- Begin function _ZL40rocblas_trsm_block_backward_substitutionI19rocblas_complex_numIfES1_PKS1_PS1_Lb1ELb0ELb0EEv18rocblas_operation_llT0_T1_lllT2_lllib
	.p2align	8
	.type	_ZL40rocblas_trsm_block_backward_substitutionI19rocblas_complex_numIfES1_PKS1_PS1_Lb1ELb0ELb0EEv18rocblas_operation_llT0_T1_lllT2_lllib,@function
_ZL40rocblas_trsm_block_backward_substitutionI19rocblas_complex_numIfES1_PKS1_PS1_Lb1ELb0ELb0EEv18rocblas_operation_llT0_T1_lllT2_lllib: ; @_ZL40rocblas_trsm_block_backward_substitutionI19rocblas_complex_numIfES1_PKS1_PS1_Lb1ELb0ELb0EEv18rocblas_operation_llT0_T1_lllT2_lllib
; %bb.0:
	s_load_dword s0, s[4:5], 0x64
	s_load_dwordx4 s[28:31], s[4:5], 0x8
	s_load_dwordx2 s[34:35], s[4:5], 0x18
	s_load_dwordx16 s[12:27], s[4:5], 0x20
	s_load_dword s6, s[4:5], 0x74
	s_waitcnt lgkmcnt(0)
	s_bitcmp1_b32 s0, 0
	s_cselect_b64 s[0:1], -1, 0
	s_xor_b64 s[10:11], s[0:1], -1
	s_mul_i32 s0, s8, s19
	s_mul_hi_u32 s1, s8, s18
	s_add_i32 s1, s1, s0
	s_mul_i32 s0, s8, s18
	s_lshl_b64 s[0:1], s[0:1], 3
	s_add_u32 s2, s12, s0
	s_addc_u32 s3, s13, s1
	s_lshl_b64 s[0:1], s[14:15], 3
	s_add_u32 s2, s2, s0
	s_addc_u32 s3, s3, s1
	s_add_u32 s12, s4, 0x68
	v_and_b32_e32 v2, 0x3ff, v0
	v_bfe_u32 v10, v0, 10, 10
	s_addc_u32 s13, s5, 0
	s_lshr_b32 s6, s6, 16
	s_and_b64 vcc, exec, s[10:11]
	s_cbranch_vccnz .LBB191_16
; %bb.1:
	s_lshl_b32 s0, s6, 3
	s_add_i32 s14, s0, 0
	v_cmp_lt_i64_e64 s[0:1], s[28:29], 1
	s_and_b64 vcc, exec, s[0:1]
	s_cbranch_vccnz .LBB191_15
; %bb.2:
	v_lshlrev_b32_e32 v0, 3, v2
	v_mov_b32_e32 v3, 0
	v_cmp_le_u64_e64 s[18:19], s[28:29], v[2:3]
	v_cmp_gt_u64_e64 s[0:1], s[28:29], v[2:3]
	v_mov_b32_e32 v1, s3
	v_add_co_u32_e32 v3, vcc, s2, v0
	v_add_u32_e32 v11, s14, v0
	v_addc_co_u32_e32 v12, vcc, 0, v1, vcc
	v_mad_u64_u32 v[0:1], s[2:3], v2, s16, 0
	v_mov_b32_e32 v4, v1
	v_mad_u64_u32 v[4:5], s[2:3], v2, s17, v[4:5]
	v_mov_b32_e32 v1, v4
	v_lshlrev_b64 v[0:1], 3, v[0:1]
	v_add_co_u32_e32 v0, vcc, v3, v0
	v_addc_co_u32_e32 v1, vcc, v12, v1, vcc
	s_xor_b64 s[36:37], s[18:19], -1
	s_mov_b32 s38, s6
	v_mov_b32_e32 v4, v10
	s_branch .LBB191_5
.LBB191_3:                              ;   in Loop: Header=BB191_5 Depth=1
	s_or_b64 exec, exec, s[40:41]
	s_load_dword s9, s[12:13], 0xc
	s_waitcnt lgkmcnt(0)
	s_and_b32 s9, s9, 0xffff
	v_mul_u32_u24_e32 v5, s9, v2
	v_lshl_add_u32 v5, v5, 3, v11
	ds_write_b64 v5, v[8:9]
.LBB191_4:                              ;   in Loop: Header=BB191_5 Depth=1
	s_or_b64 exec, exec, s[2:3]
	s_ashr_i32 s39, s38, 31
	v_pk_mov_b32 v[6:7], s[28:29], s[28:29] op_sel:[0,1]
	v_cmp_ge_i64_e32 vcc, s[38:39], v[6:7]
	v_add_u32_e32 v4, s6, v4
	s_add_i32 s38, s38, s6
	s_cbranch_vccnz .LBB191_15
.LBB191_5:                              ; =>This Inner Loop Header: Depth=1
	s_mov_b64 s[42:43], s[18:19]
	s_and_saveexec_b64 s[40:41], s[0:1]
	s_cbranch_execz .LBB191_9
; %bb.6:                                ;   in Loop: Header=BB191_5 Depth=1
	v_ashrrev_i32_e32 v5, 31, v4
	v_cmp_gt_i64_e32 vcc, s[28:29], v[4:5]
	v_cmp_lt_i32_e64 s[2:3], v2, v4
	s_and_b64 s[44:45], s[2:3], vcc
	s_mov_b64 s[42:43], -1
	s_and_saveexec_b64 s[2:3], s[44:45]
	s_cbranch_execz .LBB191_8
; %bb.7:                                ;   in Loop: Header=BB191_5 Depth=1
	v_mul_lo_u32 v5, v5, s16
	v_mul_lo_u32 v8, v4, s17
	v_mad_u64_u32 v[6:7], s[42:43], v4, s16, 0
	v_add3_u32 v7, v7, v8, v5
	v_lshlrev_b64 v[6:7], 3, v[6:7]
	v_add_co_u32_e32 v6, vcc, v3, v6
	v_addc_co_u32_e32 v7, vcc, v12, v7, vcc
	global_load_dwordx2 v[6:7], v[6:7], off
	s_load_dword s9, s[12:13], 0xc
	s_xor_b64 s[42:43], exec, -1
	s_waitcnt lgkmcnt(0)
	s_and_b32 s9, s9, 0xffff
	v_mul_lo_u32 v5, v4, s9
	v_lshl_add_u32 v5, v5, 3, v11
	s_waitcnt vmcnt(0)
	ds_write_b64 v5, v[6:7]
.LBB191_8:                              ;   in Loop: Header=BB191_5 Depth=1
	s_or_b64 exec, exec, s[2:3]
	s_andn2_b64 s[2:3], s[18:19], exec
	s_and_b64 s[42:43], s[42:43], exec
	s_or_b64 s[42:43], s[2:3], s[42:43]
.LBB191_9:                              ;   in Loop: Header=BB191_5 Depth=1
	s_or_b64 exec, exec, s[40:41]
	s_and_saveexec_b64 s[2:3], s[42:43]
	s_cbranch_execz .LBB191_4
; %bb.10:                               ;   in Loop: Header=BB191_5 Depth=1
	v_cmp_eq_u32_e32 vcc, v2, v4
	s_and_b64 s[40:41], s[36:37], vcc
	s_and_b64 exec, exec, s[40:41]
	s_cbranch_execz .LBB191_4
; %bb.11:                               ;   in Loop: Header=BB191_5 Depth=1
	global_load_dwordx2 v[6:7], v[0:1], off
	s_waitcnt vmcnt(0)
	v_cmp_gt_f32_e32 vcc, 0, v7
	v_cndmask_b32_e64 v5, v7, -v7, vcc
	v_cmp_gt_f32_e32 vcc, 0, v6
	v_cndmask_b32_e64 v8, v6, -v6, vcc
	v_cmp_ngt_f32_e32 vcc, v8, v5
                                        ; implicit-def: $vgpr8_vgpr9
	s_and_saveexec_b64 s[40:41], vcc
	s_xor_b64 s[40:41], exec, s[40:41]
	s_cbranch_execz .LBB191_13
; %bb.12:                               ;   in Loop: Header=BB191_5 Depth=1
	v_div_scale_f32 v5, s[42:43], v7, v7, v6
	v_rcp_f32_e32 v8, v5
	v_div_scale_f32 v9, vcc, v6, v7, v6
	v_fma_f32 v13, -v5, v8, 1.0
	v_fmac_f32_e32 v8, v13, v8
	v_mul_f32_e32 v13, v9, v8
	v_fma_f32 v14, -v5, v13, v9
	v_fmac_f32_e32 v13, v14, v8
	v_fma_f32 v5, -v5, v13, v9
	v_div_fmas_f32 v5, v5, v8, v13
	v_div_fixup_f32 v5, v5, v7, v6
	v_fmac_f32_e32 v7, v6, v5
	v_div_scale_f32 v6, s[42:43], v7, v7, 1.0
	v_rcp_f32_e32 v8, v6
	v_fma_f32 v9, -v6, v8, 1.0
	v_fmac_f32_e32 v8, v9, v8
	v_div_scale_f32 v9, vcc, 1.0, v7, 1.0
	v_mul_f32_e32 v13, v9, v8
	v_fma_f32 v14, -v6, v13, v9
	v_fmac_f32_e32 v13, v14, v8
	v_fma_f32 v6, -v6, v13, v9
	v_div_fmas_f32 v6, v6, v8, v13
	v_div_fixup_f32 v6, v6, v7, 1.0
	v_mul_f32_e32 v8, v5, v6
	v_xor_b32_e32 v9, 0x80000000, v6
                                        ; implicit-def: $vgpr6_vgpr7
.LBB191_13:                             ;   in Loop: Header=BB191_5 Depth=1
	s_andn2_saveexec_b64 s[40:41], s[40:41]
	s_cbranch_execz .LBB191_3
; %bb.14:                               ;   in Loop: Header=BB191_5 Depth=1
	v_div_scale_f32 v5, s[42:43], v6, v6, v7
	v_rcp_f32_e32 v8, v5
	v_div_scale_f32 v9, vcc, v7, v6, v7
	v_fma_f32 v13, -v5, v8, 1.0
	v_fmac_f32_e32 v8, v13, v8
	v_mul_f32_e32 v13, v9, v8
	v_fma_f32 v14, -v5, v13, v9
	v_fmac_f32_e32 v13, v14, v8
	v_fma_f32 v5, -v5, v13, v9
	v_div_fmas_f32 v5, v5, v8, v13
	v_div_fixup_f32 v5, v5, v6, v7
	v_fmac_f32_e32 v6, v7, v5
	v_div_scale_f32 v7, s[42:43], v6, v6, 1.0
	v_rcp_f32_e32 v8, v7
	v_fma_f32 v9, -v7, v8, 1.0
	v_fmac_f32_e32 v8, v9, v8
	v_div_scale_f32 v9, vcc, 1.0, v6, 1.0
	v_mul_f32_e32 v13, v9, v8
	v_fma_f32 v14, -v7, v13, v9
	v_fmac_f32_e32 v13, v14, v8
	v_fma_f32 v7, -v7, v13, v9
	v_div_fmas_f32 v7, v7, v8, v13
	v_div_fixup_f32 v8, v7, v6, 1.0
	v_mul_f32_e64 v9, v5, -v8
	s_branch .LBB191_3
.LBB191_15:
	s_load_dword s2, s[12:13], 0xc
	s_mov_b64 s[0:1], src_shared_base
	s_mov_b32 s15, s1
	s_mov_b32 s17, 0
	s_waitcnt lgkmcnt(0)
	s_and_b32 s16, s2, 0xffff
	s_mov_b64 s[2:3], s[14:15]
.LBB191_16:
	s_mul_i32 s7, s7, s6
	v_add_u32_e32 v0, s7, v10
	v_mov_b32_e32 v1, 0
	v_cmp_gt_i64_e32 vcc, s[30:31], v[0:1]
	s_and_saveexec_b64 s[0:1], vcc
	s_cbranch_execz .LBB191_45
; %bb.17:
	v_mov_b32_e32 v3, v1
	v_cmp_gt_i64_e32 vcc, s[28:29], v[2:3]
	s_and_b64 exec, exec, vcc
	s_cbranch_execz .LBB191_45
; %bb.18:
	s_mul_i32 s0, s8, s27
	s_mul_hi_u32 s1, s8, s26
	s_add_i32 s1, s1, s0
	s_mul_i32 s0, s8, s26
	s_lshl_b64 s[0:1], s[0:1], 3
	s_add_u32 s6, s20, s0
	s_addc_u32 s7, s21, s1
	s_lshl_b64 s[0:1], s[22:23], 3
	s_add_u32 s6, s6, s0
	s_addc_u32 s7, s7, s1
	v_mad_u64_u32 v[4:5], s[0:1], v2, s24, 0
	v_mov_b32_e32 v6, v5
	v_mad_u64_u32 v[6:7], s[0:1], v2, s25, v[6:7]
	v_mov_b32_e32 v5, v6
	v_lshlrev_b64 v[4:5], 3, v[4:5]
	v_mov_b32_e32 v6, s7
	v_add_co_u32_e32 v4, vcc, s6, v4
	v_addc_co_u32_e32 v5, vcc, v6, v5, vcc
	v_lshlrev_b64 v[0:1], 3, v[0:1]
	v_add_co_u32_e32 v0, vcc, v4, v0
	v_addc_co_u32_e32 v1, vcc, v5, v1, vcc
	global_load_dwordx2 v[6:7], v[0:1], off
	v_cmp_lt_u64_e64 s[0:1], s[28:29], 2
	s_and_b64 vcc, exec, s[0:1]
	s_waitcnt vmcnt(0)
	v_pk_mul_f32 v[8:9], s[34:35], v[6:7]
	v_mul_f32_e32 v5, s35, v6
	v_sub_f32_e32 v4, v8, v9
	v_fmac_f32_e32 v5, s34, v7
	s_cbranch_vccnz .LBB191_36
; %bb.19:
	s_load_dword s4, s[4:5], 0x0
	v_mad_u64_u32 v[6:7], s[0:1], v2, s16, v[2:3]
	v_mov_b32_e32 v8, v7
	v_mad_u64_u32 v[8:9], s[0:1], v2, s17, v[8:9]
	s_waitcnt lgkmcnt(0)
	s_cmpk_lg_i32 s4, 0x71
	s_cselect_b64 s[4:5], -1, 0
	s_add_u32 s6, s28, -1
	s_addc_u32 s7, s29, -1
	s_mul_i32 s0, s16, s7
	s_mul_hi_u32 s1, s16, s6
	s_add_i32 s0, s1, s0
	s_mul_i32 s1, s17, s6
	v_mov_b32_e32 v7, v8
	s_add_i32 s1, s0, s1
	s_mul_i32 s0, s16, s6
	v_lshlrev_b64 v[6:7], 3, v[6:7]
	s_lshl_b64 s[0:1], s[0:1], 3
	v_mov_b32_e32 v8, s3
	v_add_co_u32_e32 v6, vcc, s2, v6
	s_add_u32 s0, s2, s0
	v_addc_co_u32_e32 v7, vcc, v8, v7, vcc
	v_lshlrev_b32_e32 v8, 3, v2
	s_addc_u32 s1, s3, s1
	v_mov_b32_e32 v9, s1
	v_add_co_u32_e32 v8, vcc, s0, v8
	s_lshl_b64 s[0:1], s[16:17], 3
	v_lshl_add_u32 v12, v10, 3, 0
	s_sub_u32 s14, 0, s0
	v_cndmask_b32_e64 v10, 0, 1, s[10:11]
	v_addc_co_u32_e32 v9, vcc, 0, v9, vcc
	s_subb_u32 s15, 0, s1
	v_cmp_ne_u32_e64 s[0:1], 1, v10
.LBB191_20:                             ; =>This Inner Loop Header: Depth=1
	v_cmp_eq_u64_e32 vcc, s[6:7], v[2:3]
	s_barrier
	s_and_saveexec_b64 s[8:9], vcc
	s_cbranch_execz .LBB191_28
; %bb.21:                               ;   in Loop: Header=BB191_20 Depth=1
	flat_load_dwordx2 v[10:11], v[6:7]
	s_and_b64 vcc, exec, s[0:1]
	s_cbranch_vccnz .LBB191_27
; %bb.22:                               ;   in Loop: Header=BB191_20 Depth=1
	s_waitcnt vmcnt(0) lgkmcnt(0)
	v_cmp_gt_f32_e32 vcc, 0, v10
	v_cndmask_b32_e64 v13, v10, -v10, vcc
	v_cmp_gt_f32_e32 vcc, 0, v11
	v_cndmask_b32_e64 v14, v11, -v11, vcc
	v_cmp_ngt_f32_e32 vcc, v13, v14
	s_and_saveexec_b64 s[12:13], vcc
	s_xor_b64 s[12:13], exec, s[12:13]
	s_cbranch_execz .LBB191_24
; %bb.23:                               ;   in Loop: Header=BB191_20 Depth=1
	v_div_scale_f32 v13, s[18:19], v11, v11, v10
	v_rcp_f32_e32 v14, v13
	v_div_scale_f32 v15, vcc, v10, v11, v10
	v_fma_f32 v16, -v13, v14, 1.0
	v_fmac_f32_e32 v14, v16, v14
	v_mul_f32_e32 v16, v15, v14
	v_fma_f32 v17, -v13, v16, v15
	v_fmac_f32_e32 v16, v17, v14
	v_fma_f32 v13, -v13, v16, v15
	v_div_fmas_f32 v13, v13, v14, v16
	v_div_fixup_f32 v13, v13, v11, v10
	v_fmac_f32_e32 v11, v10, v13
	v_div_scale_f32 v10, s[18:19], v11, v11, 1.0
	v_rcp_f32_e32 v14, v10
	v_fma_f32 v15, -v10, v14, 1.0
	v_fmac_f32_e32 v14, v15, v14
	v_div_scale_f32 v15, vcc, 1.0, v11, 1.0
	v_mul_f32_e32 v16, v15, v14
	v_fma_f32 v17, -v10, v16, v15
	v_fmac_f32_e32 v16, v17, v14
	v_fma_f32 v10, -v10, v16, v15
	v_div_fmas_f32 v10, v10, v14, v16
	v_div_fixup_f32 v11, v10, v11, 1.0
	v_mul_f32_e32 v10, v13, v11
	v_xor_b32_e32 v11, 0x80000000, v11
.LBB191_24:                             ;   in Loop: Header=BB191_20 Depth=1
	s_andn2_saveexec_b64 s[12:13], s[12:13]
	s_cbranch_execz .LBB191_26
; %bb.25:                               ;   in Loop: Header=BB191_20 Depth=1
	v_div_scale_f32 v13, s[18:19], v10, v10, v11
	v_rcp_f32_e32 v14, v13
	v_div_scale_f32 v15, vcc, v11, v10, v11
	v_fma_f32 v16, -v13, v14, 1.0
	v_fmac_f32_e32 v14, v16, v14
	v_mul_f32_e32 v16, v15, v14
	v_fma_f32 v17, -v13, v16, v15
	v_fmac_f32_e32 v16, v17, v14
	v_fma_f32 v13, -v13, v16, v15
	v_div_fmas_f32 v13, v13, v14, v16
	v_div_fixup_f32 v13, v13, v10, v11
	v_fmac_f32_e32 v10, v11, v13
	v_div_scale_f32 v11, s[18:19], v10, v10, 1.0
	v_rcp_f32_e32 v14, v11
	v_fma_f32 v15, -v11, v14, 1.0
	v_fmac_f32_e32 v14, v15, v14
	v_div_scale_f32 v15, vcc, 1.0, v10, 1.0
	v_mul_f32_e32 v16, v15, v14
	v_fma_f32 v17, -v11, v16, v15
	v_fmac_f32_e32 v16, v17, v14
	v_fma_f32 v11, -v11, v16, v15
	v_div_fmas_f32 v11, v11, v14, v16
	v_div_fixup_f32 v10, v11, v10, 1.0
	v_mul_f32_e64 v11, v13, -v10
.LBB191_26:                             ;   in Loop: Header=BB191_20 Depth=1
	s_or_b64 exec, exec, s[12:13]
.LBB191_27:                             ;   in Loop: Header=BB191_20 Depth=1
	s_waitcnt vmcnt(0) lgkmcnt(0)
	v_mul_f32_e32 v13, v5, v11
	v_mul_f32_e32 v15, v4, v11
	v_fma_f32 v14, v4, v10, -v13
	v_fmac_f32_e32 v15, v5, v10
	v_mov_b32_e32 v5, v15
	v_mov_b32_e32 v4, v14
	ds_write_b64 v12, v[14:15]
.LBB191_28:                             ;   in Loop: Header=BB191_20 Depth=1
	s_or_b64 exec, exec, s[8:9]
	v_cmp_gt_i64_e32 vcc, s[6:7], v[2:3]
	s_waitcnt lgkmcnt(0)
	s_barrier
	s_and_saveexec_b64 s[8:9], vcc
	s_cbranch_execz .LBB191_34
; %bb.29:                               ;   in Loop: Header=BB191_20 Depth=1
	s_and_b64 vcc, exec, s[4:5]
	s_cbranch_vccz .LBB191_31
; %bb.30:                               ;   in Loop: Header=BB191_20 Depth=1
	flat_load_dwordx2 v[10:11], v[8:9]
	s_cbranch_execz .LBB191_32
	s_branch .LBB191_33
.LBB191_31:                             ;   in Loop: Header=BB191_20 Depth=1
                                        ; implicit-def: $vgpr10
.LBB191_32:                             ;   in Loop: Header=BB191_20 Depth=1
	s_waitcnt vmcnt(0) lgkmcnt(0)
	flat_load_dwordx2 v[10:11], v[8:9]
	s_waitcnt vmcnt(0) lgkmcnt(0)
	v_xor_b32_e32 v11, 0x80000000, v11
.LBB191_33:                             ;   in Loop: Header=BB191_20 Depth=1
	ds_read_b64 v[14:15], v12
	s_waitcnt vmcnt(0) lgkmcnt(0)
	v_mul_f32_e32 v13, v15, v11
	v_mul_f32_e32 v15, v15, v10
	v_fma_f32 v10, v14, v10, -v13
	v_fmac_f32_e32 v15, v14, v11
	v_sub_f32_e32 v4, v4, v10
	v_sub_f32_e32 v5, v5, v15
.LBB191_34:                             ;   in Loop: Header=BB191_20 Depth=1
	s_or_b64 exec, exec, s[8:9]
	s_add_u32 s8, s6, -1
	s_addc_u32 s9, s7, -1
	s_add_u32 s6, s6, 1
	s_addc_u32 s7, s7, 0
	v_mov_b32_e32 v10, s15
	v_add_co_u32_e32 v8, vcc, s14, v8
	v_addc_co_u32_e32 v9, vcc, v9, v10, vcc
	v_cmp_lt_u64_e64 s[6:7], s[6:7], 3
	s_and_b64 vcc, exec, s[6:7]
	s_cbranch_vccnz .LBB191_36
; %bb.35:                               ;   in Loop: Header=BB191_20 Depth=1
	s_mov_b64 s[6:7], s[8:9]
	s_branch .LBB191_20
.LBB191_36:
	v_cmp_eq_u32_e32 vcc, 0, v2
	s_and_saveexec_b64 s[0:1], vcc
	s_cbranch_execz .LBB191_44
; %bb.37:
	v_mad_u64_u32 v[6:7], s[4:5], v2, s16, v[2:3]
	v_mov_b32_e32 v8, v7
	v_mad_u64_u32 v[2:3], s[4:5], v2, s17, v[8:9]
	v_mov_b32_e32 v7, v2
	v_lshlrev_b64 v[2:3], 3, v[6:7]
	v_mov_b32_e32 v6, s3
	v_add_co_u32_e32 v2, vcc, s2, v2
	v_addc_co_u32_e32 v3, vcc, v6, v3, vcc
	flat_load_dwordx2 v[2:3], v[2:3]
	s_andn2_b64 vcc, exec, s[10:11]
	s_cbranch_vccnz .LBB191_43
; %bb.38:
	s_waitcnt vmcnt(0) lgkmcnt(0)
	v_cmp_gt_f32_e32 vcc, 0, v2
	v_cndmask_b32_e64 v6, v2, -v2, vcc
	v_cmp_gt_f32_e32 vcc, 0, v3
	v_cndmask_b32_e64 v7, v3, -v3, vcc
	v_cmp_ngt_f32_e32 vcc, v6, v7
	s_and_saveexec_b64 s[2:3], vcc
	s_xor_b64 s[2:3], exec, s[2:3]
	s_cbranch_execz .LBB191_40
; %bb.39:
	v_div_scale_f32 v6, s[4:5], v3, v3, v2
	v_rcp_f32_e32 v7, v6
	v_div_scale_f32 v8, vcc, v2, v3, v2
	v_fma_f32 v9, -v6, v7, 1.0
	v_fmac_f32_e32 v7, v9, v7
	v_mul_f32_e32 v9, v8, v7
	v_fma_f32 v10, -v6, v9, v8
	v_fmac_f32_e32 v9, v10, v7
	v_fma_f32 v6, -v6, v9, v8
	v_div_fmas_f32 v6, v6, v7, v9
	v_div_fixup_f32 v6, v6, v3, v2
	v_fmac_f32_e32 v3, v2, v6
	v_div_scale_f32 v2, s[4:5], v3, v3, 1.0
	v_rcp_f32_e32 v7, v2
	v_fma_f32 v8, -v2, v7, 1.0
	v_fmac_f32_e32 v7, v8, v7
	v_div_scale_f32 v8, vcc, 1.0, v3, 1.0
	v_mul_f32_e32 v9, v8, v7
	v_fma_f32 v10, -v2, v9, v8
	v_fmac_f32_e32 v9, v10, v7
	v_fma_f32 v2, -v2, v9, v8
	v_div_fmas_f32 v2, v2, v7, v9
	v_div_fixup_f32 v3, v2, v3, 1.0
	v_mul_f32_e32 v2, v6, v3
	v_xor_b32_e32 v3, 0x80000000, v3
.LBB191_40:
	s_andn2_saveexec_b64 s[2:3], s[2:3]
	s_cbranch_execz .LBB191_42
; %bb.41:
	v_div_scale_f32 v6, s[4:5], v2, v2, v3
	v_rcp_f32_e32 v7, v6
	v_div_scale_f32 v8, vcc, v3, v2, v3
	v_fma_f32 v9, -v6, v7, 1.0
	v_fmac_f32_e32 v7, v9, v7
	v_mul_f32_e32 v9, v8, v7
	v_fma_f32 v10, -v6, v9, v8
	v_fmac_f32_e32 v9, v10, v7
	v_fma_f32 v6, -v6, v9, v8
	v_div_fmas_f32 v6, v6, v7, v9
	v_div_fixup_f32 v6, v6, v2, v3
	v_fmac_f32_e32 v2, v3, v6
	v_div_scale_f32 v3, s[4:5], v2, v2, 1.0
	v_rcp_f32_e32 v7, v3
	v_fma_f32 v8, -v3, v7, 1.0
	v_fmac_f32_e32 v7, v8, v7
	v_div_scale_f32 v8, vcc, 1.0, v2, 1.0
	v_mul_f32_e32 v9, v8, v7
	v_fma_f32 v10, -v3, v9, v8
	v_fmac_f32_e32 v9, v10, v7
	v_fma_f32 v3, -v3, v9, v8
	v_div_fmas_f32 v3, v3, v7, v9
	v_div_fixup_f32 v2, v3, v2, 1.0
	v_mul_f32_e64 v3, v6, -v2
.LBB191_42:
	s_or_b64 exec, exec, s[2:3]
.LBB191_43:
	s_waitcnt vmcnt(0) lgkmcnt(0)
	v_mul_f32_e32 v6, v5, v3
	v_fma_f32 v6, v4, v2, -v6
	v_mul_f32_e32 v5, v5, v2
	v_fmac_f32_e32 v5, v4, v3
	v_mov_b32_e32 v4, v6
.LBB191_44:
	s_or_b64 exec, exec, s[0:1]
	global_store_dwordx2 v[0:1], v[4:5], off
.LBB191_45:
	s_endpgm
	.section	.rodata,"a",@progbits
	.p2align	6, 0x0
	.amdhsa_kernel _ZL40rocblas_trsm_block_backward_substitutionI19rocblas_complex_numIfES1_PKS1_PS1_Lb1ELb0ELb0EEv18rocblas_operation_llT0_T1_lllT2_lllib
		.amdhsa_group_segment_fixed_size 0
		.amdhsa_private_segment_fixed_size 0
		.amdhsa_kernarg_size 360
		.amdhsa_user_sgpr_count 6
		.amdhsa_user_sgpr_private_segment_buffer 1
		.amdhsa_user_sgpr_dispatch_ptr 0
		.amdhsa_user_sgpr_queue_ptr 0
		.amdhsa_user_sgpr_kernarg_segment_ptr 1
		.amdhsa_user_sgpr_dispatch_id 0
		.amdhsa_user_sgpr_flat_scratch_init 0
		.amdhsa_user_sgpr_kernarg_preload_length 0
		.amdhsa_user_sgpr_kernarg_preload_offset 0
		.amdhsa_user_sgpr_private_segment_size 0
		.amdhsa_uses_dynamic_stack 0
		.amdhsa_system_sgpr_private_segment_wavefront_offset 0
		.amdhsa_system_sgpr_workgroup_id_x 1
		.amdhsa_system_sgpr_workgroup_id_y 1
		.amdhsa_system_sgpr_workgroup_id_z 1
		.amdhsa_system_sgpr_workgroup_info 0
		.amdhsa_system_vgpr_workitem_id 1
		.amdhsa_next_free_vgpr 18
		.amdhsa_next_free_sgpr 46
		.amdhsa_accum_offset 20
		.amdhsa_reserve_vcc 1
		.amdhsa_reserve_flat_scratch 0
		.amdhsa_float_round_mode_32 0
		.amdhsa_float_round_mode_16_64 0
		.amdhsa_float_denorm_mode_32 3
		.amdhsa_float_denorm_mode_16_64 3
		.amdhsa_dx10_clamp 1
		.amdhsa_ieee_mode 1
		.amdhsa_fp16_overflow 0
		.amdhsa_tg_split 0
		.amdhsa_exception_fp_ieee_invalid_op 0
		.amdhsa_exception_fp_denorm_src 0
		.amdhsa_exception_fp_ieee_div_zero 0
		.amdhsa_exception_fp_ieee_overflow 0
		.amdhsa_exception_fp_ieee_underflow 0
		.amdhsa_exception_fp_ieee_inexact 0
		.amdhsa_exception_int_div_zero 0
	.end_amdhsa_kernel
	.section	.text._ZL40rocblas_trsm_block_backward_substitutionI19rocblas_complex_numIfES1_PKS1_PS1_Lb1ELb0ELb0EEv18rocblas_operation_llT0_T1_lllT2_lllib,"axG",@progbits,_ZL40rocblas_trsm_block_backward_substitutionI19rocblas_complex_numIfES1_PKS1_PS1_Lb1ELb0ELb0EEv18rocblas_operation_llT0_T1_lllT2_lllib,comdat
.Lfunc_end191:
	.size	_ZL40rocblas_trsm_block_backward_substitutionI19rocblas_complex_numIfES1_PKS1_PS1_Lb1ELb0ELb0EEv18rocblas_operation_llT0_T1_lllT2_lllib, .Lfunc_end191-_ZL40rocblas_trsm_block_backward_substitutionI19rocblas_complex_numIfES1_PKS1_PS1_Lb1ELb0ELb0EEv18rocblas_operation_llT0_T1_lllT2_lllib
                                        ; -- End function
	.section	.AMDGPU.csdata,"",@progbits
; Kernel info:
; codeLenInByte = 2392
; NumSgprs: 50
; NumVgprs: 18
; NumAgprs: 0
; TotalNumVgprs: 18
; ScratchSize: 0
; MemoryBound: 0
; FloatMode: 240
; IeeeMode: 1
; LDSByteSize: 0 bytes/workgroup (compile time only)
; SGPRBlocks: 6
; VGPRBlocks: 2
; NumSGPRsForWavesPerEU: 50
; NumVGPRsForWavesPerEU: 18
; AccumOffset: 20
; Occupancy: 8
; WaveLimiterHint : 1
; COMPUTE_PGM_RSRC2:SCRATCH_EN: 0
; COMPUTE_PGM_RSRC2:USER_SGPR: 6
; COMPUTE_PGM_RSRC2:TRAP_HANDLER: 0
; COMPUTE_PGM_RSRC2:TGID_X_EN: 1
; COMPUTE_PGM_RSRC2:TGID_Y_EN: 1
; COMPUTE_PGM_RSRC2:TGID_Z_EN: 1
; COMPUTE_PGM_RSRC2:TIDIG_COMP_CNT: 1
; COMPUTE_PGM_RSRC3_GFX90A:ACCUM_OFFSET: 4
; COMPUTE_PGM_RSRC3_GFX90A:TG_SPLIT: 0
	.section	.text._ZL39rocblas_trsm_block_forward_substitutionI19rocblas_complex_numIfES1_PKS1_PS1_Lb1ELb0ELb1EEv18rocblas_operation_llT0_T1_lllT2_lllib,"axG",@progbits,_ZL39rocblas_trsm_block_forward_substitutionI19rocblas_complex_numIfES1_PKS1_PS1_Lb1ELb0ELb1EEv18rocblas_operation_llT0_T1_lllT2_lllib,comdat
	.globl	_ZL39rocblas_trsm_block_forward_substitutionI19rocblas_complex_numIfES1_PKS1_PS1_Lb1ELb0ELb1EEv18rocblas_operation_llT0_T1_lllT2_lllib ; -- Begin function _ZL39rocblas_trsm_block_forward_substitutionI19rocblas_complex_numIfES1_PKS1_PS1_Lb1ELb0ELb1EEv18rocblas_operation_llT0_T1_lllT2_lllib
	.p2align	8
	.type	_ZL39rocblas_trsm_block_forward_substitutionI19rocblas_complex_numIfES1_PKS1_PS1_Lb1ELb0ELb1EEv18rocblas_operation_llT0_T1_lllT2_lllib,@function
_ZL39rocblas_trsm_block_forward_substitutionI19rocblas_complex_numIfES1_PKS1_PS1_Lb1ELb0ELb1EEv18rocblas_operation_llT0_T1_lllT2_lllib: ; @_ZL39rocblas_trsm_block_forward_substitutionI19rocblas_complex_numIfES1_PKS1_PS1_Lb1ELb0ELb1EEv18rocblas_operation_llT0_T1_lllT2_lllib
; %bb.0:
	s_load_dwordx16 s[12:27], s[4:5], 0x20
	s_load_dwordx4 s[28:31], s[4:5], 0x8
	s_load_dwordx2 s[10:11], s[4:5], 0x18
	v_and_b32_e32 v2, 0x3ff, v0
	v_bfe_u32 v8, v0, 10, 10
	s_waitcnt lgkmcnt(0)
	s_mul_i32 s0, s8, s19
	s_mul_hi_u32 s1, s8, s18
	s_add_i32 s1, s1, s0
	s_mul_i32 s0, s8, s18
	s_lshl_b64 s[0:1], s[0:1], 3
	s_add_u32 s6, s12, s0
	s_addc_u32 s9, s13, s1
	s_lshl_b64 s[0:1], s[14:15], 3
	s_add_u32 s12, s6, s0
	s_addc_u32 s13, s9, s1
	s_load_dword s0, s[4:5], 0x64
	s_load_dword s1, s[4:5], 0x74
	s_add_u32 s18, s4, 0x68
	s_addc_u32 s19, s5, 0
	s_mov_b64 s[14:15], 1
	s_waitcnt lgkmcnt(0)
	s_lshr_b32 s6, s1, 16
	s_bitcmp0_b32 s0, 0
	s_cbranch_scc1 .LBB192_6
; %bb.1:
	s_lshl_b32 s0, s6, 3
	s_add_i32 s34, s0, 0
	v_cmp_lt_i64_e64 s[0:1], s[28:29], 1
	s_mov_b64 s[2:3], 1
	s_and_b64 vcc, exec, s[0:1]
	s_cbranch_vccnz .LBB192_7
; %bb.2:
	v_mad_u64_u32 v[0:1], s[14:15], v2, s16, 0
	v_mov_b32_e32 v4, v1
	v_mad_u64_u32 v[4:5], s[14:15], v2, s17, v[4:5]
	v_mov_b32_e32 v1, v4
	v_mov_b32_e32 v3, 0
	v_lshlrev_b64 v[0:1], 3, v[0:1]
	v_cmp_gt_u64_e64 s[0:1], s[28:29], v[2:3]
	v_mov_b32_e32 v4, s13
	v_add_co_u32_e32 v3, vcc, s12, v0
	v_lshl_add_u32 v6, v2, 3, s34
	v_addc_co_u32_e32 v7, vcc, v4, v1, vcc
	s_mov_b32 s12, 0
	v_pk_mov_b32 v[0:1], s[28:29], s[28:29] op_sel:[0,1]
	s_branch .LBB192_4
.LBB192_3:                              ;   in Loop: Header=BB192_4 Depth=1
	s_or_b64 exec, exec, s[14:15]
	s_add_i32 s12, s12, s6
	s_ashr_i32 s13, s12, 31
	v_cmp_ge_i64_e32 vcc, s[12:13], v[0:1]
	s_cbranch_vccnz .LBB192_7
.LBB192_4:                              ; =>This Inner Loop Header: Depth=1
	v_add_u32_e32 v4, s12, v8
	v_cmp_gt_i32_e32 vcc, v2, v4
	s_and_b64 s[16:17], s[0:1], vcc
	s_and_saveexec_b64 s[14:15], s[16:17]
	s_cbranch_execz .LBB192_3
; %bb.5:                                ;   in Loop: Header=BB192_4 Depth=1
	v_ashrrev_i32_e32 v5, 31, v4
	v_lshlrev_b64 v[10:11], 3, v[4:5]
	v_add_co_u32_e32 v10, vcc, v3, v10
	v_addc_co_u32_e32 v11, vcc, v7, v11, vcc
	global_load_dwordx2 v[10:11], v[10:11], off
	s_load_dword s9, s[18:19], 0xc
	s_waitcnt lgkmcnt(0)
	s_and_b32 s9, s9, 0xffff
	v_mul_lo_u32 v4, v4, s9
	v_lshl_add_u32 v4, v4, 3, v6
	s_waitcnt vmcnt(0)
	ds_write_b64 v4, v[10:11]
	s_branch .LBB192_3
.LBB192_6:
	s_mov_b32 s2, s16
	s_mov_b32 s3, s17
	s_branch .LBB192_8
.LBB192_7:
	s_load_dword s9, s[18:19], 0xc
	s_mov_b64 s[0:1], src_shared_base
	s_mov_b32 s35, s1
	s_mov_b64 s[12:13], s[34:35]
	s_waitcnt lgkmcnt(0)
	s_and_b32 s14, s9, 0xffff
.LBB192_8:
	s_mul_i32 s7, s7, s6
	v_add_u32_e32 v0, s7, v8
	v_mov_b32_e32 v1, 0
	v_cmp_gt_i64_e32 vcc, s[30:31], v[0:1]
	s_and_saveexec_b64 s[0:1], vcc
	s_cbranch_execz .LBB192_23
; %bb.9:
	v_mov_b32_e32 v3, v1
	v_cmp_gt_i64_e32 vcc, s[28:29], v[2:3]
	s_and_b64 exec, exec, vcc
	s_cbranch_execz .LBB192_23
; %bb.10:
	s_mul_i32 s0, s8, s27
	s_mul_hi_u32 s1, s8, s26
	s_add_i32 s1, s1, s0
	s_mul_i32 s0, s8, s26
	s_lshl_b64 s[0:1], s[0:1], 3
	s_add_u32 s6, s20, s0
	s_addc_u32 s7, s21, s1
	s_lshl_b64 s[0:1], s[22:23], 3
	s_add_u32 s6, s6, s0
	s_addc_u32 s7, s7, s1
	v_mad_u64_u32 v[4:5], s[0:1], v0, s24, 0
	v_mov_b32_e32 v6, v5
	v_mad_u64_u32 v[0:1], s[0:1], v0, s25, v[6:7]
	v_mov_b32_e32 v5, v0
	v_lshlrev_b64 v[0:1], 3, v[4:5]
	v_mov_b32_e32 v4, s7
	v_add_co_u32_e32 v0, vcc, s6, v0
	v_addc_co_u32_e32 v1, vcc, v4, v1, vcc
	v_lshlrev_b32_e32 v4, 3, v2
	v_add_co_u32_e32 v0, vcc, v0, v4
	v_addc_co_u32_e32 v1, vcc, 0, v1, vcc
	global_load_dwordx2 v[6:7], v[0:1], off
	s_mov_b32 s0, s11
	v_cmp_lt_u64_e64 s[6:7], s[28:29], 2
	s_and_b64 vcc, exec, s[6:7]
	s_waitcnt vmcnt(0)
	v_pk_mul_f32 v[4:5], s[10:11], v[6:7]
	v_mov_b32_e32 v4, v7
	v_mov_b32_e32 v10, v5
	v_pk_mul_f32 v[12:13], s[10:11], v[4:5]
	v_pk_fma_f32 v[4:5], s[10:11], v[6:7], v[10:11] neg_lo:[0,0,1] neg_hi:[0,0,1]
	v_pk_fma_f32 v[6:7], s[0:1], v[6:7], v[12:13]
	s_cbranch_vccnz .LBB192_22
; %bb.11:
	s_load_dword s0, s[4:5], 0x0
	v_mov_b32_e32 v5, v6
	v_mad_u64_u32 v[6:7], s[6:7], s2, v2, 0
	v_lshl_add_u32 v11, v8, 3, 0
	v_mov_b32_e32 v8, v7
	v_mad_u64_u32 v[8:9], s[2:3], s3, v2, v[8:9]
	v_mov_b32_e32 v7, v8
	s_waitcnt lgkmcnt(0)
	s_cmpk_lg_i32 s0, 0x71
	v_lshlrev_b64 v[6:7], 3, v[6:7]
	s_cselect_b64 s[0:1], -1, 0
	s_add_u32 s4, s28, -1
	v_mov_b32_e32 v8, s13
	v_add_co_u32_e32 v6, vcc, s12, v6
	s_mov_b32 s10, 0
	s_addc_u32 s5, s29, -1
	v_addc_co_u32_e32 v7, vcc, v8, v7, vcc
	s_lshl_b32 s11, s14, 3
	s_mov_b64 s[2:3], 0
	s_branch .LBB192_14
.LBB192_12:                             ;   in Loop: Header=BB192_14 Depth=1
	ds_read_b64 v[12:13], v11
	s_waitcnt lgkmcnt(0)
	v_pk_mul_f32 v[14:15], v[12:13], v[10:11] op_sel_hi:[1,0]
	v_pk_fma_f32 v[16:17], v[12:13], v[8:9], v[14:15] op_sel:[0,0,1] op_sel_hi:[1,1,0] neg_lo:[0,0,1] neg_hi:[0,0,1]
	v_pk_fma_f32 v[8:9], v[12:13], v[8:9], v[14:15] op_sel:[0,0,1] op_sel_hi:[1,0,0]
	v_mov_b32_e32 v17, v9
	v_pk_add_f32 v[4:5], v[4:5], v[16:17] neg_lo:[0,1] neg_hi:[0,1]
.LBB192_13:                             ;   in Loop: Header=BB192_14 Depth=1
	s_or_b64 exec, exec, s[6:7]
	s_add_u32 s2, s2, 1
	s_addc_u32 s3, s3, 0
	v_mov_b32_e32 v8, s10
	v_add_co_u32_e32 v6, vcc, s11, v6
	s_cmp_eq_u64 s[4:5], s[2:3]
	v_addc_co_u32_e32 v7, vcc, v7, v8, vcc
	s_cbranch_scc1 .LBB192_21
.LBB192_14:                             ; =>This Inner Loop Header: Depth=1
	v_cmp_eq_u64_e32 vcc, s[2:3], v[2:3]
	s_barrier
	s_and_saveexec_b64 s[6:7], vcc
	s_cbranch_execz .LBB192_16
; %bb.15:                               ;   in Loop: Header=BB192_14 Depth=1
	ds_write_b64 v11, v[4:5]
.LBB192_16:                             ;   in Loop: Header=BB192_14 Depth=1
	s_or_b64 exec, exec, s[6:7]
	v_cmp_lt_u64_e32 vcc, s[2:3], v[2:3]
	s_waitcnt lgkmcnt(0)
	s_barrier
	s_and_saveexec_b64 s[6:7], vcc
	s_cbranch_execz .LBB192_13
; %bb.17:                               ;   in Loop: Header=BB192_14 Depth=1
	s_and_b64 vcc, exec, s[0:1]
	s_cbranch_vccz .LBB192_19
; %bb.18:                               ;   in Loop: Header=BB192_14 Depth=1
	flat_load_dwordx2 v[8:9], v[6:7]
	s_waitcnt vmcnt(0) lgkmcnt(0)
	v_mov_b32_e32 v10, v9
	s_cbranch_execnz .LBB192_12
	s_branch .LBB192_20
.LBB192_19:                             ;   in Loop: Header=BB192_14 Depth=1
                                        ; implicit-def: $vgpr8
                                        ; implicit-def: $vgpr10
.LBB192_20:                             ;   in Loop: Header=BB192_14 Depth=1
	flat_load_dwordx2 v[8:9], v[6:7]
	s_waitcnt vmcnt(0) lgkmcnt(0)
	v_xor_b32_e32 v10, 0x80000000, v9
	s_branch .LBB192_12
.LBB192_21:
	v_mov_b32_e32 v6, v5
.LBB192_22:
	v_mov_b32_e32 v5, v6
	global_store_dwordx2 v[0:1], v[4:5], off
.LBB192_23:
	s_endpgm
	.section	.rodata,"a",@progbits
	.p2align	6, 0x0
	.amdhsa_kernel _ZL39rocblas_trsm_block_forward_substitutionI19rocblas_complex_numIfES1_PKS1_PS1_Lb1ELb0ELb1EEv18rocblas_operation_llT0_T1_lllT2_lllib
		.amdhsa_group_segment_fixed_size 0
		.amdhsa_private_segment_fixed_size 0
		.amdhsa_kernarg_size 360
		.amdhsa_user_sgpr_count 6
		.amdhsa_user_sgpr_private_segment_buffer 1
		.amdhsa_user_sgpr_dispatch_ptr 0
		.amdhsa_user_sgpr_queue_ptr 0
		.amdhsa_user_sgpr_kernarg_segment_ptr 1
		.amdhsa_user_sgpr_dispatch_id 0
		.amdhsa_user_sgpr_flat_scratch_init 0
		.amdhsa_user_sgpr_kernarg_preload_length 0
		.amdhsa_user_sgpr_kernarg_preload_offset 0
		.amdhsa_user_sgpr_private_segment_size 0
		.amdhsa_uses_dynamic_stack 0
		.amdhsa_system_sgpr_private_segment_wavefront_offset 0
		.amdhsa_system_sgpr_workgroup_id_x 1
		.amdhsa_system_sgpr_workgroup_id_y 1
		.amdhsa_system_sgpr_workgroup_id_z 1
		.amdhsa_system_sgpr_workgroup_info 0
		.amdhsa_system_vgpr_workitem_id 1
		.amdhsa_next_free_vgpr 18
		.amdhsa_next_free_sgpr 36
		.amdhsa_accum_offset 20
		.amdhsa_reserve_vcc 1
		.amdhsa_reserve_flat_scratch 0
		.amdhsa_float_round_mode_32 0
		.amdhsa_float_round_mode_16_64 0
		.amdhsa_float_denorm_mode_32 3
		.amdhsa_float_denorm_mode_16_64 3
		.amdhsa_dx10_clamp 1
		.amdhsa_ieee_mode 1
		.amdhsa_fp16_overflow 0
		.amdhsa_tg_split 0
		.amdhsa_exception_fp_ieee_invalid_op 0
		.amdhsa_exception_fp_denorm_src 0
		.amdhsa_exception_fp_ieee_div_zero 0
		.amdhsa_exception_fp_ieee_overflow 0
		.amdhsa_exception_fp_ieee_underflow 0
		.amdhsa_exception_fp_ieee_inexact 0
		.amdhsa_exception_int_div_zero 0
	.end_amdhsa_kernel
	.section	.text._ZL39rocblas_trsm_block_forward_substitutionI19rocblas_complex_numIfES1_PKS1_PS1_Lb1ELb0ELb1EEv18rocblas_operation_llT0_T1_lllT2_lllib,"axG",@progbits,_ZL39rocblas_trsm_block_forward_substitutionI19rocblas_complex_numIfES1_PKS1_PS1_Lb1ELb0ELb1EEv18rocblas_operation_llT0_T1_lllT2_lllib,comdat
.Lfunc_end192:
	.size	_ZL39rocblas_trsm_block_forward_substitutionI19rocblas_complex_numIfES1_PKS1_PS1_Lb1ELb0ELb1EEv18rocblas_operation_llT0_T1_lllT2_lllib, .Lfunc_end192-_ZL39rocblas_trsm_block_forward_substitutionI19rocblas_complex_numIfES1_PKS1_PS1_Lb1ELb0ELb1EEv18rocblas_operation_llT0_T1_lllT2_lllib
                                        ; -- End function
	.section	.AMDGPU.csdata,"",@progbits
; Kernel info:
; codeLenInByte = 916
; NumSgprs: 40
; NumVgprs: 18
; NumAgprs: 0
; TotalNumVgprs: 18
; ScratchSize: 0
; MemoryBound: 0
; FloatMode: 240
; IeeeMode: 1
; LDSByteSize: 0 bytes/workgroup (compile time only)
; SGPRBlocks: 4
; VGPRBlocks: 2
; NumSGPRsForWavesPerEU: 40
; NumVGPRsForWavesPerEU: 18
; AccumOffset: 20
; Occupancy: 8
; WaveLimiterHint : 1
; COMPUTE_PGM_RSRC2:SCRATCH_EN: 0
; COMPUTE_PGM_RSRC2:USER_SGPR: 6
; COMPUTE_PGM_RSRC2:TRAP_HANDLER: 0
; COMPUTE_PGM_RSRC2:TGID_X_EN: 1
; COMPUTE_PGM_RSRC2:TGID_Y_EN: 1
; COMPUTE_PGM_RSRC2:TGID_Z_EN: 1
; COMPUTE_PGM_RSRC2:TIDIG_COMP_CNT: 1
; COMPUTE_PGM_RSRC3_GFX90A:ACCUM_OFFSET: 4
; COMPUTE_PGM_RSRC3_GFX90A:TG_SPLIT: 0
	.section	.text._ZL40rocblas_trsm_block_backward_substitutionI19rocblas_complex_numIfES1_PKS1_PS1_Lb1ELb0ELb1EEv18rocblas_operation_llT0_T1_lllT2_lllib,"axG",@progbits,_ZL40rocblas_trsm_block_backward_substitutionI19rocblas_complex_numIfES1_PKS1_PS1_Lb1ELb0ELb1EEv18rocblas_operation_llT0_T1_lllT2_lllib,comdat
	.globl	_ZL40rocblas_trsm_block_backward_substitutionI19rocblas_complex_numIfES1_PKS1_PS1_Lb1ELb0ELb1EEv18rocblas_operation_llT0_T1_lllT2_lllib ; -- Begin function _ZL40rocblas_trsm_block_backward_substitutionI19rocblas_complex_numIfES1_PKS1_PS1_Lb1ELb0ELb1EEv18rocblas_operation_llT0_T1_lllT2_lllib
	.p2align	8
	.type	_ZL40rocblas_trsm_block_backward_substitutionI19rocblas_complex_numIfES1_PKS1_PS1_Lb1ELb0ELb1EEv18rocblas_operation_llT0_T1_lllT2_lllib,@function
_ZL40rocblas_trsm_block_backward_substitutionI19rocblas_complex_numIfES1_PKS1_PS1_Lb1ELb0ELb1EEv18rocblas_operation_llT0_T1_lllT2_lllib: ; @_ZL40rocblas_trsm_block_backward_substitutionI19rocblas_complex_numIfES1_PKS1_PS1_Lb1ELb0ELb1EEv18rocblas_operation_llT0_T1_lllT2_lllib
; %bb.0:
	s_load_dwordx16 s[12:27], s[4:5], 0x20
	s_load_dwordx4 s[28:31], s[4:5], 0x8
	s_load_dwordx2 s[10:11], s[4:5], 0x18
	v_and_b32_e32 v2, 0x3ff, v0
	v_bfe_u32 v8, v0, 10, 10
	s_waitcnt lgkmcnt(0)
	s_mul_i32 s0, s8, s19
	s_mul_hi_u32 s1, s8, s18
	s_add_i32 s1, s1, s0
	s_mul_i32 s0, s8, s18
	s_lshl_b64 s[0:1], s[0:1], 3
	s_add_u32 s2, s12, s0
	s_addc_u32 s3, s13, s1
	s_lshl_b64 s[0:1], s[14:15], 3
	s_add_u32 s2, s2, s0
	s_load_dword s0, s[4:5], 0x64
	s_load_dword s6, s[4:5], 0x74
	s_addc_u32 s3, s3, s1
	s_add_u32 s12, s4, 0x68
	s_addc_u32 s13, s5, 0
	s_waitcnt lgkmcnt(0)
	s_lshr_b32 s6, s6, 16
	s_bitcmp0_b32 s0, 0
	s_cbranch_scc1 .LBB193_7
; %bb.1:
	s_lshl_b32 s0, s6, 3
	s_add_i32 s14, s0, 0
	v_cmp_lt_i64_e64 s[0:1], s[28:29], 1
	s_and_b64 vcc, exec, s[0:1]
	s_cbranch_vccnz .LBB193_6
; %bb.2:
	v_lshlrev_b32_e32 v0, 3, v2
	v_mov_b32_e32 v3, 0
	v_cmp_gt_u64_e64 s[0:1], s[28:29], v[2:3]
	v_mov_b32_e32 v1, s3
	v_add_co_u32_e32 v3, vcc, s2, v0
	v_add_u32_e32 v6, s14, v0
	s_mov_b32 s18, 0
	v_addc_co_u32_e32 v7, vcc, 0, v1, vcc
	v_pk_mov_b32 v[0:1], s[28:29], s[28:29] op_sel:[0,1]
	s_branch .LBB193_4
.LBB193_3:                              ;   in Loop: Header=BB193_4 Depth=1
	s_or_b64 exec, exec, s[2:3]
	s_add_i32 s18, s18, s6
	s_ashr_i32 s19, s18, 31
	v_cmp_ge_i64_e32 vcc, s[18:19], v[0:1]
	s_cbranch_vccnz .LBB193_6
.LBB193_4:                              ; =>This Inner Loop Header: Depth=1
	v_add_u32_e32 v4, s18, v8
	v_ashrrev_i32_e32 v5, 31, v4
	v_cmp_gt_i64_e32 vcc, s[28:29], v[4:5]
	v_cmp_lt_i32_e64 s[2:3], v2, v4
	s_and_b64 s[2:3], s[2:3], vcc
	s_and_b64 s[34:35], s[0:1], s[2:3]
	s_and_saveexec_b64 s[2:3], s[34:35]
	s_cbranch_execz .LBB193_3
; %bb.5:                                ;   in Loop: Header=BB193_4 Depth=1
	v_mul_lo_u32 v5, v5, s16
	v_mul_lo_u32 v9, v4, s17
	v_mad_u64_u32 v[10:11], s[34:35], v4, s16, 0
	v_add3_u32 v11, v11, v9, v5
	v_lshlrev_b64 v[10:11], 3, v[10:11]
	v_add_co_u32_e32 v10, vcc, v3, v10
	v_addc_co_u32_e32 v11, vcc, v7, v11, vcc
	global_load_dwordx2 v[10:11], v[10:11], off
	s_load_dword s9, s[12:13], 0xc
	s_waitcnt lgkmcnt(0)
	s_and_b32 s9, s9, 0xffff
	v_mul_lo_u32 v4, v4, s9
	v_lshl_add_u32 v4, v4, 3, v6
	s_waitcnt vmcnt(0)
	ds_write_b64 v4, v[10:11]
	s_branch .LBB193_3
.LBB193_6:
	s_load_dword s2, s[12:13], 0xc
	s_mov_b64 s[0:1], src_shared_base
	s_mov_b32 s15, s1
	s_mov_b32 s17, 0
	s_waitcnt lgkmcnt(0)
	s_and_b32 s16, s2, 0xffff
	s_mov_b64 s[2:3], s[14:15]
.LBB193_7:
	s_mul_i32 s7, s7, s6
	v_add_u32_e32 v0, s7, v8
	v_mov_b32_e32 v1, 0
	v_cmp_gt_i64_e32 vcc, s[30:31], v[0:1]
	s_and_saveexec_b64 s[0:1], vcc
	s_cbranch_execz .LBB193_23
; %bb.8:
	v_mov_b32_e32 v3, v1
	v_cmp_gt_i64_e32 vcc, s[28:29], v[2:3]
	s_and_b64 exec, exec, vcc
	s_cbranch_execz .LBB193_23
; %bb.9:
	s_mul_i32 s0, s8, s27
	s_mul_hi_u32 s1, s8, s26
	s_add_i32 s1, s1, s0
	s_mul_i32 s0, s8, s26
	s_lshl_b64 s[0:1], s[0:1], 3
	s_add_u32 s6, s20, s0
	s_addc_u32 s7, s21, s1
	s_lshl_b64 s[0:1], s[22:23], 3
	s_add_u32 s6, s6, s0
	s_addc_u32 s7, s7, s1
	v_mad_u64_u32 v[4:5], s[0:1], v2, s24, 0
	v_mov_b32_e32 v6, v5
	v_mad_u64_u32 v[6:7], s[0:1], v2, s25, v[6:7]
	v_mov_b32_e32 v5, v6
	v_lshlrev_b64 v[4:5], 3, v[4:5]
	v_mov_b32_e32 v6, s7
	v_add_co_u32_e32 v4, vcc, s6, v4
	v_addc_co_u32_e32 v5, vcc, v6, v5, vcc
	v_lshlrev_b64 v[0:1], 3, v[0:1]
	v_add_co_u32_e32 v0, vcc, v4, v0
	v_addc_co_u32_e32 v1, vcc, v5, v1, vcc
	global_load_dwordx2 v[6:7], v[0:1], off
	s_mov_b32 s0, s11
	v_cmp_lt_u64_e64 s[6:7], s[28:29], 2
	s_and_b64 vcc, exec, s[6:7]
	s_waitcnt vmcnt(0)
	v_pk_mul_f32 v[4:5], s[10:11], v[6:7]
	v_mov_b32_e32 v4, v7
	v_mov_b32_e32 v10, v5
	v_pk_mul_f32 v[12:13], s[10:11], v[4:5]
	v_pk_fma_f32 v[4:5], s[10:11], v[6:7], v[10:11] neg_lo:[0,0,1] neg_hi:[0,0,1]
	v_pk_fma_f32 v[6:7], s[0:1], v[6:7], v[12:13]
	s_cbranch_vccnz .LBB193_22
; %bb.10:
	s_load_dword s0, s[4:5], 0x0
	v_mov_b32_e32 v5, v6
	v_lshlrev_b32_e32 v6, 3, v2
	v_lshl_add_u32 v11, v8, 3, 0
	s_waitcnt lgkmcnt(0)
	s_cmpk_lg_i32 s0, 0x71
	s_cselect_b64 s[0:1], -1, 0
	s_add_u32 s4, s28, -1
	s_addc_u32 s5, s29, -1
	s_mul_hi_u32 s6, s16, s4
	s_mul_i32 s7, s16, s5
	s_add_i32 s6, s6, s7
	s_mul_i32 s7, s17, s4
	s_add_i32 s7, s6, s7
	s_mul_i32 s6, s16, s4
	s_lshl_b64 s[6:7], s[6:7], 3
	s_add_u32 s2, s2, s6
	s_addc_u32 s3, s3, s7
	v_mov_b32_e32 v7, s3
	v_add_co_u32_e32 v6, vcc, s2, v6
	s_lshl_b64 s[2:3], s[16:17], 3
	s_sub_u32 s8, 0, s2
	s_subb_u32 s2, 0, s3
	v_addc_co_u32_e32 v7, vcc, 0, v7, vcc
	v_mov_b32_e32 v12, s2
.LBB193_11:                             ; =>This Inner Loop Header: Depth=1
	v_cmp_eq_u64_e32 vcc, s[4:5], v[2:3]
	s_barrier
	s_and_saveexec_b64 s[2:3], vcc
	s_cbranch_execz .LBB193_13
; %bb.12:                               ;   in Loop: Header=BB193_11 Depth=1
	ds_write_b64 v11, v[4:5]
.LBB193_13:                             ;   in Loop: Header=BB193_11 Depth=1
	s_or_b64 exec, exec, s[2:3]
	v_cmp_gt_i64_e32 vcc, s[4:5], v[2:3]
	s_waitcnt lgkmcnt(0)
	s_barrier
	s_and_saveexec_b64 s[2:3], vcc
	s_cbranch_execz .LBB193_19
; %bb.14:                               ;   in Loop: Header=BB193_11 Depth=1
	s_and_b64 vcc, exec, s[0:1]
	s_cbranch_vccz .LBB193_16
; %bb.15:                               ;   in Loop: Header=BB193_11 Depth=1
	flat_load_dwordx2 v[8:9], v[6:7]
	s_waitcnt vmcnt(0) lgkmcnt(0)
	v_mov_b32_e32 v10, v9
	s_cbranch_execz .LBB193_17
	s_branch .LBB193_18
.LBB193_16:                             ;   in Loop: Header=BB193_11 Depth=1
                                        ; implicit-def: $vgpr8
                                        ; implicit-def: $vgpr10
.LBB193_17:                             ;   in Loop: Header=BB193_11 Depth=1
	flat_load_dwordx2 v[8:9], v[6:7]
	s_waitcnt vmcnt(0) lgkmcnt(0)
	v_xor_b32_e32 v10, 0x80000000, v9
.LBB193_18:                             ;   in Loop: Header=BB193_11 Depth=1
	ds_read_b64 v[14:15], v11
	s_waitcnt lgkmcnt(0)
	v_pk_mul_f32 v[16:17], v[14:15], v[10:11] op_sel_hi:[1,0]
	v_pk_fma_f32 v[18:19], v[14:15], v[8:9], v[16:17] op_sel:[0,0,1] op_sel_hi:[1,1,0] neg_lo:[0,0,1] neg_hi:[0,0,1]
	v_pk_fma_f32 v[8:9], v[14:15], v[8:9], v[16:17] op_sel:[0,0,1] op_sel_hi:[1,0,0]
	v_mov_b32_e32 v19, v9
	v_pk_add_f32 v[4:5], v[4:5], v[18:19] neg_lo:[0,1] neg_hi:[0,1]
.LBB193_19:                             ;   in Loop: Header=BB193_11 Depth=1
	s_or_b64 exec, exec, s[2:3]
	s_add_u32 s2, s4, -1
	s_addc_u32 s3, s5, -1
	s_add_u32 s4, s4, 1
	s_addc_u32 s5, s5, 0
	v_add_co_u32_e32 v6, vcc, s8, v6
	v_addc_co_u32_e32 v7, vcc, v7, v12, vcc
	v_cmp_lt_u64_e64 s[4:5], s[4:5], 3
	s_and_b64 vcc, exec, s[4:5]
	s_cbranch_vccnz .LBB193_21
; %bb.20:                               ;   in Loop: Header=BB193_11 Depth=1
	s_mov_b64 s[4:5], s[2:3]
	s_branch .LBB193_11
.LBB193_21:
	v_mov_b32_e32 v6, v5
.LBB193_22:
	v_mov_b32_e32 v5, v6
	global_store_dwordx2 v[0:1], v[4:5], off
.LBB193_23:
	s_endpgm
	.section	.rodata,"a",@progbits
	.p2align	6, 0x0
	.amdhsa_kernel _ZL40rocblas_trsm_block_backward_substitutionI19rocblas_complex_numIfES1_PKS1_PS1_Lb1ELb0ELb1EEv18rocblas_operation_llT0_T1_lllT2_lllib
		.amdhsa_group_segment_fixed_size 0
		.amdhsa_private_segment_fixed_size 0
		.amdhsa_kernarg_size 360
		.amdhsa_user_sgpr_count 6
		.amdhsa_user_sgpr_private_segment_buffer 1
		.amdhsa_user_sgpr_dispatch_ptr 0
		.amdhsa_user_sgpr_queue_ptr 0
		.amdhsa_user_sgpr_kernarg_segment_ptr 1
		.amdhsa_user_sgpr_dispatch_id 0
		.amdhsa_user_sgpr_flat_scratch_init 0
		.amdhsa_user_sgpr_kernarg_preload_length 0
		.amdhsa_user_sgpr_kernarg_preload_offset 0
		.amdhsa_user_sgpr_private_segment_size 0
		.amdhsa_uses_dynamic_stack 0
		.amdhsa_system_sgpr_private_segment_wavefront_offset 0
		.amdhsa_system_sgpr_workgroup_id_x 1
		.amdhsa_system_sgpr_workgroup_id_y 1
		.amdhsa_system_sgpr_workgroup_id_z 1
		.amdhsa_system_sgpr_workgroup_info 0
		.amdhsa_system_vgpr_workitem_id 1
		.amdhsa_next_free_vgpr 20
		.amdhsa_next_free_sgpr 36
		.amdhsa_accum_offset 20
		.amdhsa_reserve_vcc 1
		.amdhsa_reserve_flat_scratch 0
		.amdhsa_float_round_mode_32 0
		.amdhsa_float_round_mode_16_64 0
		.amdhsa_float_denorm_mode_32 3
		.amdhsa_float_denorm_mode_16_64 3
		.amdhsa_dx10_clamp 1
		.amdhsa_ieee_mode 1
		.amdhsa_fp16_overflow 0
		.amdhsa_tg_split 0
		.amdhsa_exception_fp_ieee_invalid_op 0
		.amdhsa_exception_fp_denorm_src 0
		.amdhsa_exception_fp_ieee_div_zero 0
		.amdhsa_exception_fp_ieee_overflow 0
		.amdhsa_exception_fp_ieee_underflow 0
		.amdhsa_exception_fp_ieee_inexact 0
		.amdhsa_exception_int_div_zero 0
	.end_amdhsa_kernel
	.section	.text._ZL40rocblas_trsm_block_backward_substitutionI19rocblas_complex_numIfES1_PKS1_PS1_Lb1ELb0ELb1EEv18rocblas_operation_llT0_T1_lllT2_lllib,"axG",@progbits,_ZL40rocblas_trsm_block_backward_substitutionI19rocblas_complex_numIfES1_PKS1_PS1_Lb1ELb0ELb1EEv18rocblas_operation_llT0_T1_lllT2_lllib,comdat
.Lfunc_end193:
	.size	_ZL40rocblas_trsm_block_backward_substitutionI19rocblas_complex_numIfES1_PKS1_PS1_Lb1ELb0ELb1EEv18rocblas_operation_llT0_T1_lllT2_lllib, .Lfunc_end193-_ZL40rocblas_trsm_block_backward_substitutionI19rocblas_complex_numIfES1_PKS1_PS1_Lb1ELb0ELb1EEv18rocblas_operation_llT0_T1_lllT2_lllib
                                        ; -- End function
	.section	.AMDGPU.csdata,"",@progbits
; Kernel info:
; codeLenInByte = 940
; NumSgprs: 40
; NumVgprs: 20
; NumAgprs: 0
; TotalNumVgprs: 20
; ScratchSize: 0
; MemoryBound: 0
; FloatMode: 240
; IeeeMode: 1
; LDSByteSize: 0 bytes/workgroup (compile time only)
; SGPRBlocks: 4
; VGPRBlocks: 2
; NumSGPRsForWavesPerEU: 40
; NumVGPRsForWavesPerEU: 20
; AccumOffset: 20
; Occupancy: 8
; WaveLimiterHint : 1
; COMPUTE_PGM_RSRC2:SCRATCH_EN: 0
; COMPUTE_PGM_RSRC2:USER_SGPR: 6
; COMPUTE_PGM_RSRC2:TRAP_HANDLER: 0
; COMPUTE_PGM_RSRC2:TGID_X_EN: 1
; COMPUTE_PGM_RSRC2:TGID_Y_EN: 1
; COMPUTE_PGM_RSRC2:TGID_Z_EN: 1
; COMPUTE_PGM_RSRC2:TIDIG_COMP_CNT: 1
; COMPUTE_PGM_RSRC3_GFX90A:ACCUM_OFFSET: 4
; COMPUTE_PGM_RSRC3_GFX90A:TG_SPLIT: 0
	.section	.text._ZL26setup_batched_array_kernelILi128E19rocblas_complex_numIfEEvPT0_lPS3_,"axG",@progbits,_ZL26setup_batched_array_kernelILi128E19rocblas_complex_numIfEEvPT0_lPS3_,comdat
	.globl	_ZL26setup_batched_array_kernelILi128E19rocblas_complex_numIfEEvPT0_lPS3_ ; -- Begin function _ZL26setup_batched_array_kernelILi128E19rocblas_complex_numIfEEvPT0_lPS3_
	.p2align	8
	.type	_ZL26setup_batched_array_kernelILi128E19rocblas_complex_numIfEEvPT0_lPS3_,@function
_ZL26setup_batched_array_kernelILi128E19rocblas_complex_numIfEEvPT0_lPS3_: ; @_ZL26setup_batched_array_kernelILi128E19rocblas_complex_numIfEEvPT0_lPS3_
; %bb.0:
	s_load_dwordx4 s[0:3], s[4:5], 0x0
	s_mov_b32 s7, 0
	s_load_dwordx2 s[4:5], s[4:5], 0x10
	v_mov_b32_e32 v2, 0
	s_waitcnt lgkmcnt(0)
	s_mul_i32 s3, s6, s3
	s_mul_hi_u32 s8, s6, s2
	s_add_i32 s3, s8, s3
	s_mul_i32 s2, s6, s2
	s_lshl_b64 s[2:3], s[2:3], 3
	s_add_u32 s0, s0, s2
	s_addc_u32 s1, s1, s3
	s_lshl_b64 s[2:3], s[6:7], 3
	s_add_u32 s2, s4, s2
	s_addc_u32 s3, s5, s3
	v_pk_mov_b32 v[0:1], s[0:1], s[0:1] op_sel:[0,1]
	global_store_dwordx2 v2, v[0:1], s[2:3]
	s_endpgm
	.section	.rodata,"a",@progbits
	.p2align	6, 0x0
	.amdhsa_kernel _ZL26setup_batched_array_kernelILi128E19rocblas_complex_numIfEEvPT0_lPS3_
		.amdhsa_group_segment_fixed_size 0
		.amdhsa_private_segment_fixed_size 0
		.amdhsa_kernarg_size 24
		.amdhsa_user_sgpr_count 6
		.amdhsa_user_sgpr_private_segment_buffer 1
		.amdhsa_user_sgpr_dispatch_ptr 0
		.amdhsa_user_sgpr_queue_ptr 0
		.amdhsa_user_sgpr_kernarg_segment_ptr 1
		.amdhsa_user_sgpr_dispatch_id 0
		.amdhsa_user_sgpr_flat_scratch_init 0
		.amdhsa_user_sgpr_kernarg_preload_length 0
		.amdhsa_user_sgpr_kernarg_preload_offset 0
		.amdhsa_user_sgpr_private_segment_size 0
		.amdhsa_uses_dynamic_stack 0
		.amdhsa_system_sgpr_private_segment_wavefront_offset 0
		.amdhsa_system_sgpr_workgroup_id_x 1
		.amdhsa_system_sgpr_workgroup_id_y 0
		.amdhsa_system_sgpr_workgroup_id_z 0
		.amdhsa_system_sgpr_workgroup_info 0
		.amdhsa_system_vgpr_workitem_id 0
		.amdhsa_next_free_vgpr 3
		.amdhsa_next_free_sgpr 9
		.amdhsa_accum_offset 4
		.amdhsa_reserve_vcc 0
		.amdhsa_reserve_flat_scratch 0
		.amdhsa_float_round_mode_32 0
		.amdhsa_float_round_mode_16_64 0
		.amdhsa_float_denorm_mode_32 3
		.amdhsa_float_denorm_mode_16_64 3
		.amdhsa_dx10_clamp 1
		.amdhsa_ieee_mode 1
		.amdhsa_fp16_overflow 0
		.amdhsa_tg_split 0
		.amdhsa_exception_fp_ieee_invalid_op 0
		.amdhsa_exception_fp_denorm_src 0
		.amdhsa_exception_fp_ieee_div_zero 0
		.amdhsa_exception_fp_ieee_overflow 0
		.amdhsa_exception_fp_ieee_underflow 0
		.amdhsa_exception_fp_ieee_inexact 0
		.amdhsa_exception_int_div_zero 0
	.end_amdhsa_kernel
	.section	.text._ZL26setup_batched_array_kernelILi128E19rocblas_complex_numIfEEvPT0_lPS3_,"axG",@progbits,_ZL26setup_batched_array_kernelILi128E19rocblas_complex_numIfEEvPT0_lPS3_,comdat
.Lfunc_end194:
	.size	_ZL26setup_batched_array_kernelILi128E19rocblas_complex_numIfEEvPT0_lPS3_, .Lfunc_end194-_ZL26setup_batched_array_kernelILi128E19rocblas_complex_numIfEEvPT0_lPS3_
                                        ; -- End function
	.section	.AMDGPU.csdata,"",@progbits
; Kernel info:
; codeLenInByte = 88
; NumSgprs: 13
; NumVgprs: 3
; NumAgprs: 0
; TotalNumVgprs: 3
; ScratchSize: 0
; MemoryBound: 0
; FloatMode: 240
; IeeeMode: 1
; LDSByteSize: 0 bytes/workgroup (compile time only)
; SGPRBlocks: 1
; VGPRBlocks: 0
; NumSGPRsForWavesPerEU: 13
; NumVGPRsForWavesPerEU: 3
; AccumOffset: 4
; Occupancy: 8
; WaveLimiterHint : 0
; COMPUTE_PGM_RSRC2:SCRATCH_EN: 0
; COMPUTE_PGM_RSRC2:USER_SGPR: 6
; COMPUTE_PGM_RSRC2:TRAP_HANDLER: 0
; COMPUTE_PGM_RSRC2:TGID_X_EN: 1
; COMPUTE_PGM_RSRC2:TGID_Y_EN: 0
; COMPUTE_PGM_RSRC2:TGID_Z_EN: 0
; COMPUTE_PGM_RSRC2:TIDIG_COMP_CNT: 0
; COMPUTE_PGM_RSRC3_GFX90A:ACCUM_OFFSET: 0
; COMPUTE_PGM_RSRC3_GFX90A:TG_SPLIT: 0
	.section	.text._ZL25rocblas_trtri_trsm_kernelILi128ELi16ELi8E19rocblas_complex_numIfEPKS1_PS1_Ev13rocblas_fill_17rocblas_diagonal_T3_lilT4_lli,"axG",@progbits,_ZL25rocblas_trtri_trsm_kernelILi128ELi16ELi8E19rocblas_complex_numIfEPKS1_PS1_Ev13rocblas_fill_17rocblas_diagonal_T3_lilT4_lli,comdat
	.globl	_ZL25rocblas_trtri_trsm_kernelILi128ELi16ELi8E19rocblas_complex_numIfEPKS1_PS1_Ev13rocblas_fill_17rocblas_diagonal_T3_lilT4_lli ; -- Begin function _ZL25rocblas_trtri_trsm_kernelILi128ELi16ELi8E19rocblas_complex_numIfEPKS1_PS1_Ev13rocblas_fill_17rocblas_diagonal_T3_lilT4_lli
	.p2align	8
	.type	_ZL25rocblas_trtri_trsm_kernelILi128ELi16ELi8E19rocblas_complex_numIfEPKS1_PS1_Ev13rocblas_fill_17rocblas_diagonal_T3_lilT4_lli,@function
_ZL25rocblas_trtri_trsm_kernelILi128ELi16ELi8E19rocblas_complex_numIfEPKS1_PS1_Ev13rocblas_fill_17rocblas_diagonal_T3_lilT4_lli: ; @_ZL25rocblas_trtri_trsm_kernelILi128ELi16ELi8E19rocblas_complex_numIfEPKS1_PS1_Ev13rocblas_fill_17rocblas_diagonal_T3_lilT4_lli
; %bb.0:
	v_cmp_gt_u32_e64 s[0:1], 16, v0
	v_cmp_lt_u32_e64 s[8:9], 15, v0
	v_cmp_gt_u32_e64 s[2:3], 32, v0
	v_cmp_lt_u32_e32 vcc, 31, v0
	v_mov_b32_e32 v2, v0
	s_and_saveexec_b64 s[10:11], s[8:9]
	s_cbranch_execz .LBB195_6
; %bb.1:
                                        ; implicit-def: $vgpr2
	s_and_saveexec_b64 s[8:9], vcc
	s_xor_b64 s[8:9], exec, s[8:9]
; %bb.2:
	v_subrev_u32_e32 v2, 32, v0
; %bb.3:
	s_andn2_saveexec_b64 s[8:9], s[8:9]
; %bb.4:
	v_add_u32_e32 v2, -16, v0
; %bb.5:
	s_or_b64 exec, exec, s[8:9]
.LBB195_6:
	s_or_b64 exec, exec, s[10:11]
	s_load_dword s18, s[4:5], 0x18
	s_load_dwordx2 s[16:17], s[4:5], 0x0
	s_load_dwordx4 s[36:39], s[4:5], 0x8
	s_load_dwordx8 s[8:15], s[4:5], 0x20
	s_lshl_b32 s26, s6, 1
	s_waitcnt lgkmcnt(0)
	s_ashr_i32 s19, s18, 31
	s_lshl_b64 s[20:21], s[18:19], 4
	s_add_u32 s27, s20, 16
	s_addc_u32 s28, s21, 0
	s_mul_i32 s9, s7, s9
	s_mul_hi_u32 s22, s7, s8
	s_mul_i32 s4, s28, s26
	s_mul_hi_u32 s5, s27, s26
	s_add_i32 s9, s22, s9
	s_mul_i32 s8, s7, s8
	s_add_i32 s5, s5, s4
	s_lshl_b64 s[8:9], s[8:9], 3
	s_mul_i32 s4, s27, s26
	s_add_u32 s8, s36, s8
	s_addc_u32 s9, s37, s9
	s_lshl_b64 s[4:5], s[4:5], 3
	s_add_u32 s8, s8, s4
	s_addc_u32 s9, s9, s5
	s_lshl_b64 s[4:5], s[38:39], 3
	s_add_u32 s24, s8, s4
	v_mov_b32_e32 v1, 0x1800
	s_addc_u32 s25, s9, s5
	v_cndmask_b32_e64 v1, 0, v1, s[2:3]
	v_mov_b32_e32 v6, 0x1000
	s_and_saveexec_b64 s[4:5], vcc
	s_xor_b64 s[4:5], exec, s[4:5]
	s_cbranch_execz .LBB195_13
; %bb.7:
	v_cmp_gt_u32_e32 vcc, 48, v0
	s_and_saveexec_b64 s[8:9], vcc
	s_cbranch_execz .LBB195_12
; %bb.8:
	v_mov_b32_e32 v3, 0
	s_cmpk_eq_i32 s16, 0x7a
	s_mov_b64 s[22:23], -1
	v_lshlrev_b64 v[4:5], 3, v[2:3]
	s_cbranch_scc1 .LBB195_10
; %bb.9:
	s_lshl_b64 s[22:23], s[18:19], 7
	s_add_u32 s22, s24, s22
	s_addc_u32 s23, s25, s23
	v_mov_b32_e32 v3, s23
	v_add_co_u32_e32 v8, vcc, s22, v4
	v_addc_co_u32_e32 v9, vcc, v3, v5, vcc
	v_mov_b32_e32 v3, 0x78
	v_mad_i64_i32 v[10:11], s[22:23], s18, v3, v[8:9]
	s_lshl_b64 s[22:23], s[18:19], 3
	global_load_dwordx2 v[12:13], v[10:11], off
	v_mov_b32_e32 v3, s23
	v_subrev_co_u32_e32 v10, vcc, s22, v10
	v_subb_co_u32_e32 v11, vcc, v11, v3, vcc
	global_load_dwordx2 v[14:15], v[10:11], off
	v_subrev_co_u32_e32 v10, vcc, s22, v10
	v_subb_co_u32_e32 v11, vcc, v11, v3, vcc
	global_load_dwordx2 v[16:17], v[10:11], off
	;; [unrolled: 3-line block ×14, first 2 shown]
	global_load_dwordx2 v[42:43], v[10:11], off
	v_lshlrev_b32_e32 v3, 3, v2
	s_mov_b64 s[22:23], 0
	s_waitcnt vmcnt(14)
	ds_write2_b64 v3, v[14:15], v[12:13] offset0:224 offset1:240
	s_waitcnt vmcnt(12)
	ds_write2_b64 v3, v[18:19], v[16:17] offset0:192 offset1:208
	s_waitcnt vmcnt(10)
	ds_write2_b64 v3, v[22:23], v[20:21] offset0:160 offset1:176
	s_waitcnt vmcnt(8)
	ds_write2_b64 v3, v[26:27], v[24:25] offset0:128 offset1:144
	s_waitcnt vmcnt(6)
	ds_write2_b64 v3, v[30:31], v[28:29] offset0:96 offset1:112
	s_waitcnt vmcnt(4)
	ds_write2_b64 v3, v[34:35], v[32:33] offset0:64 offset1:80
	s_waitcnt vmcnt(2)
	ds_write2_b64 v3, v[38:39], v[36:37] offset0:32 offset1:48
	s_waitcnt vmcnt(0)
	ds_write2_b64 v3, v[40:41], v[42:43] offset1:16
.LBB195_10:
	s_andn2_b64 vcc, exec, s[22:23]
	s_cbranch_vccnz .LBB195_12
; %bb.11:
	v_mov_b32_e32 v3, s25
	v_add_co_u32_e32 v4, vcc, s24, v4
	v_addc_co_u32_e32 v5, vcc, v3, v5, vcc
	s_lshl_b64 s[22:23], s[18:19], 3
	v_mov_b32_e32 v3, s23
	v_add_co_u32_e32 v8, vcc, s22, v4
	v_addc_co_u32_e32 v9, vcc, v5, v3, vcc
	global_load_dwordx2 v[10:11], v[4:5], off offset:128
	global_load_dwordx2 v[12:13], v[8:9], off offset:128
	v_add_co_u32_e32 v4, vcc, s22, v8
	v_addc_co_u32_e32 v5, vcc, v9, v3, vcc
	global_load_dwordx2 v[8:9], v[4:5], off offset:128
	v_add_co_u32_e32 v4, vcc, s22, v4
	v_addc_co_u32_e32 v5, vcc, v5, v3, vcc
	global_load_dwordx2 v[14:15], v[4:5], off offset:128
	v_add_co_u32_e32 v4, vcc, s22, v4
	v_addc_co_u32_e32 v5, vcc, v5, v3, vcc
	global_load_dwordx2 v[16:17], v[4:5], off offset:128
	v_add_co_u32_e32 v4, vcc, s22, v4
	v_addc_co_u32_e32 v5, vcc, v5, v3, vcc
	global_load_dwordx2 v[18:19], v[4:5], off offset:128
	v_add_co_u32_e32 v4, vcc, s22, v4
	v_addc_co_u32_e32 v5, vcc, v5, v3, vcc
	global_load_dwordx2 v[20:21], v[4:5], off offset:128
	v_add_co_u32_e32 v4, vcc, s22, v4
	v_addc_co_u32_e32 v5, vcc, v5, v3, vcc
	global_load_dwordx2 v[22:23], v[4:5], off offset:128
	v_add_co_u32_e32 v4, vcc, s22, v4
	v_addc_co_u32_e32 v5, vcc, v5, v3, vcc
	global_load_dwordx2 v[24:25], v[4:5], off offset:128
	v_add_co_u32_e32 v4, vcc, s22, v4
	v_addc_co_u32_e32 v5, vcc, v5, v3, vcc
	global_load_dwordx2 v[26:27], v[4:5], off offset:128
	v_add_co_u32_e32 v4, vcc, s22, v4
	v_addc_co_u32_e32 v5, vcc, v5, v3, vcc
	global_load_dwordx2 v[28:29], v[4:5], off offset:128
	v_add_co_u32_e32 v4, vcc, s22, v4
	v_addc_co_u32_e32 v5, vcc, v5, v3, vcc
	global_load_dwordx2 v[30:31], v[4:5], off offset:128
	v_add_co_u32_e32 v4, vcc, s22, v4
	v_addc_co_u32_e32 v5, vcc, v5, v3, vcc
	global_load_dwordx2 v[32:33], v[4:5], off offset:128
	v_add_co_u32_e32 v4, vcc, s22, v4
	v_addc_co_u32_e32 v5, vcc, v5, v3, vcc
	global_load_dwordx2 v[34:35], v[4:5], off offset:128
	v_add_co_u32_e32 v4, vcc, s22, v4
	v_addc_co_u32_e32 v5, vcc, v5, v3, vcc
	global_load_dwordx2 v[36:37], v[4:5], off offset:128
	v_add_co_u32_e32 v4, vcc, s22, v4
	v_addc_co_u32_e32 v5, vcc, v5, v3, vcc
	global_load_dwordx2 v[4:5], v[4:5], off offset:128
	v_lshlrev_b32_e32 v3, 3, v2
	s_waitcnt vmcnt(14)
	ds_write2_b64 v3, v[10:11], v[12:13] offset1:16
	s_waitcnt vmcnt(12)
	ds_write2_b64 v3, v[8:9], v[14:15] offset0:32 offset1:48
	s_waitcnt vmcnt(10)
	ds_write2_b64 v3, v[16:17], v[18:19] offset0:64 offset1:80
	s_waitcnt vmcnt(8)
	ds_write2_b64 v3, v[20:21], v[22:23] offset0:96 offset1:112
	s_waitcnt vmcnt(6)
	ds_write2_b64 v3, v[24:25], v[26:27] offset0:128 offset1:144
	s_waitcnt vmcnt(4)
	ds_write2_b64 v3, v[28:29], v[30:31] offset0:160 offset1:176
	s_waitcnt vmcnt(2)
	ds_write2_b64 v3, v[32:33], v[34:35] offset0:192 offset1:208
	s_waitcnt vmcnt(0)
	ds_write2_b64 v3, v[36:37], v[4:5] offset0:224 offset1:240
.LBB195_12:
	s_or_b64 exec, exec, s[8:9]
.LBB195_13:
	s_or_saveexec_b64 s[4:5], s[4:5]
	v_cndmask_b32_e64 v1, v1, v6, s[0:1]
	s_xor_b64 exec, exec, s[4:5]
	s_cbranch_execz .LBB195_80
; %bb.14:
	v_mov_b32_e32 v3, s28
	v_cndmask_b32_e64 v5, v3, 0, s[0:1]
	v_mov_b32_e32 v3, s27
	v_cndmask_b32_e64 v4, v3, 0, s[0:1]
	s_mov_b64 s[8:9], -1
	s_cmpk_eq_i32 s16, 0x7a
	v_lshlrev_b64 v[4:5], 3, v[4:5]
	s_cbranch_scc1 .LBB195_48
; %bb.15:
	v_mov_b32_e32 v8, 0
	v_mov_b32_e32 v3, v8
	;; [unrolled: 1-line block ×3, first 2 shown]
	v_add_co_u32_e32 v9, vcc, s24, v4
	v_addc_co_u32_e32 v10, vcc, v6, v5, vcc
	v_lshlrev_b64 v[6:7], 3, v[2:3]
	v_add_co_u32_e32 v6, vcc, v9, v6
	v_addc_co_u32_e32 v7, vcc, v10, v7, vcc
	v_cmp_gt_u32_e32 vcc, 16, v2
	v_mov_b32_e32 v10, 0
	v_mov_b32_e32 v11, 0
	s_and_saveexec_b64 s[8:9], vcc
	s_cbranch_execz .LBB195_17
; %bb.16:
	v_mov_b32_e32 v3, 0x78
	v_mad_i64_i32 v[10:11], s[22:23], s18, v3, v[6:7]
	global_load_dwordx2 v[10:11], v[10:11], off
.LBB195_17:
	s_or_b64 exec, exec, s[8:9]
	v_sub_u32_e32 v3, 0xffffff10, v2
	v_lshl_add_u32 v3, v3, 3, v1
	v_cmp_gt_u32_e32 vcc, 15, v2
	v_mov_b32_e32 v9, 0
	s_waitcnt vmcnt(0)
	ds_write_b64 v3, v[10:11] offset:2040
	s_and_saveexec_b64 s[8:9], vcc
	s_cbranch_execz .LBB195_19
; %bb.18:
	v_mov_b32_e32 v3, 0x70
	v_mad_i64_i32 v[8:9], s[22:23], s18, v3, v[6:7]
	global_load_dwordx2 v[8:9], v[8:9], off
.LBB195_19:
	s_or_b64 exec, exec, s[8:9]
	v_sub_u32_e32 v3, 0xffffff20, v2
	v_lshl_add_u32 v3, v3, 3, v1
	s_waitcnt vmcnt(0)
	ds_write_b64 v3, v[8:9] offset:2040
	v_cmp_gt_u32_e32 vcc, 14, v2
	v_mov_b32_e32 v8, 0
	v_mov_b32_e32 v10, 0
	v_mov_b32_e32 v11, 0
	s_and_saveexec_b64 s[8:9], vcc
	s_cbranch_execz .LBB195_21
; %bb.20:
	v_mov_b32_e32 v3, 0x68
	v_mad_i64_i32 v[10:11], s[22:23], s18, v3, v[6:7]
	global_load_dwordx2 v[10:11], v[10:11], off
.LBB195_21:
	s_or_b64 exec, exec, s[8:9]
	v_sub_u32_e32 v3, 0xffffff30, v2
	v_lshl_add_u32 v3, v3, 3, v1
	v_cmp_gt_u32_e32 vcc, 13, v2
	v_mov_b32_e32 v9, 0
	s_waitcnt vmcnt(0)
	ds_write_b64 v3, v[10:11] offset:2040
	s_and_saveexec_b64 s[8:9], vcc
	s_cbranch_execz .LBB195_23
; %bb.22:
	v_mov_b32_e32 v3, 0x60
	v_mad_i64_i32 v[8:9], s[22:23], s18, v3, v[6:7]
	global_load_dwordx2 v[8:9], v[8:9], off
.LBB195_23:
	s_or_b64 exec, exec, s[8:9]
	v_sub_u32_e32 v3, 0xffffff40, v2
	v_lshl_add_u32 v3, v3, 3, v1
	s_waitcnt vmcnt(0)
	ds_write_b64 v3, v[8:9] offset:2040
	v_cmp_gt_u32_e32 vcc, 12, v2
	v_mov_b32_e32 v8, 0
	;; [unrolled: 30-line block ×3, first 2 shown]
	v_mov_b32_e32 v10, 0
	v_mov_b32_e32 v11, 0
	s_and_saveexec_b64 s[8:9], vcc
	s_cbranch_execz .LBB195_29
; %bb.28:
	v_mov_b32_e32 v3, 0x48
	v_mad_i64_i32 v[10:11], s[22:23], s18, v3, v[6:7]
	global_load_dwordx2 v[10:11], v[10:11], off
.LBB195_29:
	s_or_b64 exec, exec, s[8:9]
	v_sub_u32_e32 v3, 0xffffff70, v2
	v_lshl_add_u32 v3, v3, 3, v1
	v_cmp_gt_u32_e32 vcc, 9, v2
	v_mov_b32_e32 v9, 0
	s_waitcnt vmcnt(0)
	ds_write_b64 v3, v[10:11] offset:2040
	s_and_saveexec_b64 s[8:9], vcc
	s_cbranch_execz .LBB195_31
; %bb.30:
	s_lshl_b64 s[22:23], s[18:19], 6
	v_mov_b32_e32 v3, s23
	v_add_co_u32_e32 v8, vcc, s22, v6
	v_addc_co_u32_e32 v9, vcc, v7, v3, vcc
	global_load_dwordx2 v[8:9], v[8:9], off
.LBB195_31:
	s_or_b64 exec, exec, s[8:9]
	v_sub_u32_e32 v3, 0xffffff80, v2
	v_lshl_add_u32 v3, v3, 3, v1
	s_waitcnt vmcnt(0)
	ds_write_b64 v3, v[8:9] offset:2040
	v_cmp_gt_u32_e32 vcc, 8, v2
	v_mov_b32_e32 v8, 0
	v_mov_b32_e32 v10, 0
	;; [unrolled: 1-line block ×3, first 2 shown]
	s_and_saveexec_b64 s[8:9], vcc
	s_cbranch_execz .LBB195_33
; %bb.32:
	v_mad_i64_i32 v[10:11], s[22:23], s18, 56, v[6:7]
	global_load_dwordx2 v[10:11], v[10:11], off
.LBB195_33:
	s_or_b64 exec, exec, s[8:9]
	v_sub_u32_e32 v3, 0xffffff90, v2
	v_lshl_add_u32 v3, v3, 3, v1
	v_cmp_gt_u32_e32 vcc, 7, v2
	v_mov_b32_e32 v9, 0
	s_waitcnt vmcnt(0)
	ds_write_b64 v3, v[10:11] offset:2040
	s_and_saveexec_b64 s[8:9], vcc
	s_cbranch_execz .LBB195_35
; %bb.34:
	v_mad_i64_i32 v[8:9], s[22:23], s18, 48, v[6:7]
	global_load_dwordx2 v[8:9], v[8:9], off
.LBB195_35:
	s_or_b64 exec, exec, s[8:9]
	v_sub_u32_e32 v3, 0xffffffa0, v2
	v_lshl_add_u32 v3, v3, 3, v1
	s_waitcnt vmcnt(0)
	ds_write_b64 v3, v[8:9] offset:2040
	v_cmp_gt_u32_e32 vcc, 6, v2
	v_mov_b32_e32 v8, 0
	v_mov_b32_e32 v10, 0
	;; [unrolled: 1-line block ×3, first 2 shown]
	s_and_saveexec_b64 s[8:9], vcc
	s_cbranch_execz .LBB195_37
; %bb.36:
	v_mad_i64_i32 v[10:11], s[22:23], s18, 40, v[6:7]
	global_load_dwordx2 v[10:11], v[10:11], off
.LBB195_37:
	s_or_b64 exec, exec, s[8:9]
	v_sub_u32_e32 v3, 0xffffffb0, v2
	v_lshl_add_u32 v3, v3, 3, v1
	v_cmp_gt_u32_e32 vcc, 5, v2
	v_mov_b32_e32 v9, 0
	s_waitcnt vmcnt(0)
	ds_write_b64 v3, v[10:11] offset:2040
	s_and_saveexec_b64 s[8:9], vcc
	s_cbranch_execz .LBB195_39
; %bb.38:
	s_lshl_b64 s[22:23], s[18:19], 5
	v_mov_b32_e32 v3, s23
	v_add_co_u32_e32 v8, vcc, s22, v6
	v_addc_co_u32_e32 v9, vcc, v7, v3, vcc
	global_load_dwordx2 v[8:9], v[8:9], off
.LBB195_39:
	s_or_b64 exec, exec, s[8:9]
	v_sub_u32_e32 v3, 0xffffffc0, v2
	v_lshl_add_u32 v3, v3, 3, v1
	s_waitcnt vmcnt(0)
	ds_write_b64 v3, v[8:9] offset:2040
	v_cmp_gt_u32_e32 vcc, 4, v2
	v_mov_b32_e32 v8, 0
	v_mov_b32_e32 v10, 0
	;; [unrolled: 1-line block ×3, first 2 shown]
	s_and_saveexec_b64 s[8:9], vcc
	s_cbranch_execz .LBB195_41
; %bb.40:
	v_mad_i64_i32 v[10:11], s[22:23], s18, 24, v[6:7]
	global_load_dwordx2 v[10:11], v[10:11], off
.LBB195_41:
	s_or_b64 exec, exec, s[8:9]
	v_sub_u32_e32 v3, 0xffffffd0, v2
	v_lshl_add_u32 v3, v3, 3, v1
	v_cmp_gt_u32_e32 vcc, 3, v2
	v_mov_b32_e32 v9, 0
	s_waitcnt vmcnt(0)
	ds_write_b64 v3, v[10:11] offset:2040
	s_and_saveexec_b64 s[8:9], vcc
	s_cbranch_execz .LBB195_43
; %bb.42:
	v_mov_b32_e32 v3, s21
	v_add_co_u32_e32 v8, vcc, s20, v6
	v_addc_co_u32_e32 v9, vcc, v7, v3, vcc
	global_load_dwordx2 v[8:9], v[8:9], off
.LBB195_43:
	s_or_b64 exec, exec, s[8:9]
	v_sub_u32_e32 v3, 0xffffffe0, v2
	v_lshl_add_u32 v3, v3, 3, v1
	s_waitcnt vmcnt(0)
	ds_write_b64 v3, v[8:9] offset:2040
	v_cmp_gt_u32_e32 vcc, 2, v2
	v_mov_b32_e32 v8, 0
	v_mov_b32_e32 v10, 0
	;; [unrolled: 1-line block ×3, first 2 shown]
	s_and_saveexec_b64 s[8:9], vcc
	s_cbranch_execz .LBB195_45
; %bb.44:
	s_lshl_b64 s[22:23], s[18:19], 3
	v_mov_b32_e32 v3, s23
	v_add_co_u32_e32 v10, vcc, s22, v6
	v_addc_co_u32_e32 v11, vcc, v7, v3, vcc
	global_load_dwordx2 v[10:11], v[10:11], off
.LBB195_45:
	s_or_b64 exec, exec, s[8:9]
	v_sub_u32_e32 v3, -16, v2
	v_lshl_add_u32 v3, v3, 3, v1
	v_cmp_eq_u32_e32 vcc, 0, v2
	v_mov_b32_e32 v9, 0
	s_waitcnt vmcnt(0)
	ds_write_b64 v3, v[10:11] offset:2040
	s_and_saveexec_b64 s[8:9], vcc
	s_cbranch_execz .LBB195_47
; %bb.46:
	global_load_dwordx2 v[8:9], v[6:7], off
.LBB195_47:
	s_or_b64 exec, exec, s[8:9]
	v_lshlrev_b32_e32 v3, 3, v2
	v_sub_u32_e32 v3, v1, v3
	s_mov_b64 s[8:9], 0
	s_waitcnt vmcnt(0)
	ds_write_b64 v3, v[8:9] offset:2040
.LBB195_48:
	s_and_b64 vcc, exec, s[8:9]
	s_cbranch_vccz .LBB195_80
; %bb.49:
	v_mov_b32_e32 v6, 0
	v_mov_b32_e32 v3, v6
	;; [unrolled: 1-line block ×3, first 2 shown]
	v_add_co_u32_e32 v8, vcc, s24, v4
	v_addc_co_u32_e32 v7, vcc, v7, v5, vcc
	v_lshlrev_b64 v[4:5], 3, v[2:3]
	v_add_co_u32_e32 v4, vcc, v8, v4
	v_addc_co_u32_e32 v5, vcc, v7, v5, vcc
	global_load_dwordx2 v[10:11], v[4:5], off
	v_lshl_add_u32 v3, v2, 3, v1
	v_cmp_ne_u32_e32 vcc, 0, v2
	v_mov_b32_e32 v8, 0
	v_mov_b32_e32 v9, 0
	s_waitcnt vmcnt(0)
	ds_write_b64 v3, v[10:11]
	s_and_saveexec_b64 s[8:9], vcc
	s_cbranch_execz .LBB195_51
; %bb.50:
	s_lshl_b64 s[22:23], s[18:19], 3
	v_mov_b32_e32 v7, s23
	v_add_co_u32_e32 v8, vcc, s22, v4
	v_addc_co_u32_e32 v9, vcc, v5, v7, vcc
	global_load_dwordx2 v[8:9], v[8:9], off
.LBB195_51:
	s_or_b64 exec, exec, s[8:9]
	v_cmp_lt_u32_e32 vcc, 1, v2
	v_mov_b32_e32 v7, 0
	s_waitcnt vmcnt(0)
	ds_write_b64 v3, v[8:9] offset:128
	s_and_saveexec_b64 s[8:9], vcc
	s_cbranch_execz .LBB195_53
; %bb.52:
	v_mov_b32_e32 v7, s21
	v_add_co_u32_e32 v6, vcc, s20, v4
	v_addc_co_u32_e32 v7, vcc, v5, v7, vcc
	global_load_dwordx2 v[6:7], v[6:7], off
.LBB195_53:
	s_or_b64 exec, exec, s[8:9]
	s_waitcnt vmcnt(0)
	ds_write_b64 v3, v[6:7] offset:256
	v_cmp_lt_u32_e32 vcc, 2, v2
	v_mov_b32_e32 v6, 0
	v_mov_b32_e32 v8, 0
	;; [unrolled: 1-line block ×3, first 2 shown]
	s_and_saveexec_b64 s[8:9], vcc
	s_cbranch_execz .LBB195_55
; %bb.54:
	v_mad_i64_i32 v[8:9], s[20:21], s18, 24, v[4:5]
	global_load_dwordx2 v[8:9], v[8:9], off
.LBB195_55:
	s_or_b64 exec, exec, s[8:9]
	v_cmp_lt_u32_e32 vcc, 3, v2
	v_mov_b32_e32 v7, 0
	s_waitcnt vmcnt(0)
	ds_write_b64 v3, v[8:9] offset:384
	s_and_saveexec_b64 s[8:9], vcc
	s_cbranch_execz .LBB195_57
; %bb.56:
	s_lshl_b64 s[20:21], s[18:19], 5
	v_mov_b32_e32 v7, s21
	v_add_co_u32_e32 v6, vcc, s20, v4
	v_addc_co_u32_e32 v7, vcc, v5, v7, vcc
	global_load_dwordx2 v[6:7], v[6:7], off
.LBB195_57:
	s_or_b64 exec, exec, s[8:9]
	s_waitcnt vmcnt(0)
	ds_write_b64 v3, v[6:7] offset:512
	v_cmp_lt_u32_e32 vcc, 4, v2
	v_mov_b32_e32 v6, 0
	v_mov_b32_e32 v8, 0
	;; [unrolled: 1-line block ×3, first 2 shown]
	s_and_saveexec_b64 s[8:9], vcc
	s_cbranch_execz .LBB195_59
; %bb.58:
	v_mad_i64_i32 v[8:9], s[20:21], s18, 40, v[4:5]
	global_load_dwordx2 v[8:9], v[8:9], off
.LBB195_59:
	s_or_b64 exec, exec, s[8:9]
	v_cmp_lt_u32_e32 vcc, 5, v2
	v_mov_b32_e32 v7, 0
	s_waitcnt vmcnt(0)
	ds_write_b64 v3, v[8:9] offset:640
	s_and_saveexec_b64 s[8:9], vcc
	s_cbranch_execz .LBB195_61
; %bb.60:
	v_mad_i64_i32 v[6:7], s[20:21], s18, 48, v[4:5]
	global_load_dwordx2 v[6:7], v[6:7], off
.LBB195_61:
	s_or_b64 exec, exec, s[8:9]
	s_waitcnt vmcnt(0)
	ds_write_b64 v3, v[6:7] offset:768
	v_cmp_lt_u32_e32 vcc, 6, v2
	v_mov_b32_e32 v6, 0
	v_mov_b32_e32 v8, 0
	;; [unrolled: 1-line block ×3, first 2 shown]
	s_and_saveexec_b64 s[8:9], vcc
	s_cbranch_execz .LBB195_63
; %bb.62:
	v_mad_i64_i32 v[8:9], s[20:21], s18, 56, v[4:5]
	global_load_dwordx2 v[8:9], v[8:9], off
.LBB195_63:
	s_or_b64 exec, exec, s[8:9]
	v_cmp_lt_u32_e32 vcc, 7, v2
	v_mov_b32_e32 v7, 0
	s_waitcnt vmcnt(0)
	ds_write_b64 v3, v[8:9] offset:896
	s_and_saveexec_b64 s[8:9], vcc
	s_cbranch_execz .LBB195_65
; %bb.64:
	s_lshl_b64 s[20:21], s[18:19], 6
	v_mov_b32_e32 v7, s21
	v_add_co_u32_e32 v6, vcc, s20, v4
	v_addc_co_u32_e32 v7, vcc, v5, v7, vcc
	global_load_dwordx2 v[6:7], v[6:7], off
.LBB195_65:
	s_or_b64 exec, exec, s[8:9]
	s_waitcnt vmcnt(0)
	ds_write_b64 v3, v[6:7] offset:1024
	v_cmp_lt_u32_e32 vcc, 8, v2
	v_mov_b32_e32 v6, 0
	v_mov_b32_e32 v8, 0
	v_mov_b32_e32 v9, 0
	s_and_saveexec_b64 s[8:9], vcc
	s_cbranch_execz .LBB195_67
; %bb.66:
	v_mov_b32_e32 v7, 0x48
	v_mad_i64_i32 v[8:9], s[20:21], s18, v7, v[4:5]
	global_load_dwordx2 v[8:9], v[8:9], off
.LBB195_67:
	s_or_b64 exec, exec, s[8:9]
	v_cmp_lt_u32_e32 vcc, 9, v2
	v_mov_b32_e32 v7, 0
	s_waitcnt vmcnt(0)
	ds_write_b64 v3, v[8:9] offset:1152
	s_and_saveexec_b64 s[8:9], vcc
	s_cbranch_execz .LBB195_69
; %bb.68:
	v_mov_b32_e32 v6, 0x50
	v_mad_i64_i32 v[6:7], s[20:21], s18, v6, v[4:5]
	global_load_dwordx2 v[6:7], v[6:7], off
.LBB195_69:
	s_or_b64 exec, exec, s[8:9]
	s_waitcnt vmcnt(0)
	ds_write_b64 v3, v[6:7] offset:1280
	v_cmp_lt_u32_e32 vcc, 10, v2
	v_mov_b32_e32 v6, 0
	v_mov_b32_e32 v8, 0
	v_mov_b32_e32 v9, 0
	s_and_saveexec_b64 s[8:9], vcc
	s_cbranch_execz .LBB195_71
; %bb.70:
	v_mov_b32_e32 v7, 0x58
	v_mad_i64_i32 v[8:9], s[20:21], s18, v7, v[4:5]
	global_load_dwordx2 v[8:9], v[8:9], off
.LBB195_71:
	s_or_b64 exec, exec, s[8:9]
	v_cmp_lt_u32_e32 vcc, 11, v2
	v_mov_b32_e32 v7, 0
	s_waitcnt vmcnt(0)
	ds_write_b64 v3, v[8:9] offset:1408
	s_and_saveexec_b64 s[8:9], vcc
	s_cbranch_execz .LBB195_73
; %bb.72:
	v_mov_b32_e32 v6, 0x60
	v_mad_i64_i32 v[6:7], s[20:21], s18, v6, v[4:5]
	global_load_dwordx2 v[6:7], v[6:7], off
.LBB195_73:
	;; [unrolled: 26-line block ×3, first 2 shown]
	s_or_b64 exec, exec, s[8:9]
	s_waitcnt vmcnt(0)
	ds_write_b64 v3, v[6:7] offset:1792
	v_cmp_lt_u32_e32 vcc, 14, v2
	v_mov_b32_e32 v6, 0
	v_mov_b32_e32 v7, 0
	s_and_saveexec_b64 s[8:9], vcc
	s_cbranch_execz .LBB195_79
; %bb.78:
	v_mov_b32_e32 v6, 0x78
	v_mad_i64_i32 v[4:5], s[18:19], s18, v6, v[4:5]
	global_load_dwordx2 v[6:7], v[4:5], off
.LBB195_79:
	s_or_b64 exec, exec, s[8:9]
	s_waitcnt vmcnt(0)
	ds_write_b64 v3, v[6:7] offset:1920
.LBB195_80:
	s_or_b64 exec, exec, s[4:5]
	s_waitcnt lgkmcnt(0)
	s_barrier
	s_and_saveexec_b64 s[8:9], s[2:3]
	s_cbranch_execz .LBB195_93
; %bb.81:
	v_mul_i32_i24_e32 v3, 0x88, v2
	s_cmpk_lg_i32 s17, 0x84
	s_mov_b64 s[4:5], -1
	v_add_u32_e32 v3, v1, v3
	s_cbranch_scc0 .LBB195_91
; %bb.82:
	ds_read_b64 v[4:5], v3
	s_waitcnt lgkmcnt(0)
	v_cmp_neq_f32_e32 vcc, 0, v4
	v_cmp_neq_f32_e64 s[4:5], 0, v5
	s_or_b64 s[4:5], vcc, s[4:5]
	s_and_saveexec_b64 s[18:19], s[4:5]
	s_xor_b64 s[4:5], exec, s[18:19]
	s_cbranch_execz .LBB195_88
; %bb.83:
	v_cmp_gt_f32_e32 vcc, 0, v5
	v_cndmask_b32_e64 v6, v5, -v5, vcc
	v_cmp_gt_f32_e32 vcc, 0, v4
	v_cndmask_b32_e64 v7, v4, -v4, vcc
	v_cmp_ngt_f32_e32 vcc, v7, v6
                                        ; implicit-def: $vgpr6_vgpr7
	s_and_saveexec_b64 s[18:19], vcc
	s_xor_b64 s[18:19], exec, s[18:19]
	s_cbranch_execz .LBB195_85
; %bb.84:
	v_div_scale_f32 v6, s[20:21], v5, v5, v4
	v_rcp_f32_e32 v7, v6
	v_div_scale_f32 v8, vcc, v4, v5, v4
	v_fma_f32 v9, -v6, v7, 1.0
	v_fmac_f32_e32 v7, v9, v7
	v_mul_f32_e32 v9, v8, v7
	v_fma_f32 v10, -v6, v9, v8
	v_fmac_f32_e32 v9, v10, v7
	v_fma_f32 v6, -v6, v9, v8
	v_div_fmas_f32 v6, v6, v7, v9
	v_div_fixup_f32 v6, v6, v5, v4
	v_fmac_f32_e32 v5, v4, v6
	v_div_scale_f32 v4, s[20:21], v5, v5, 1.0
	v_rcp_f32_e32 v7, v4
	v_fma_f32 v8, -v4, v7, 1.0
	v_fmac_f32_e32 v7, v8, v7
	v_div_scale_f32 v8, vcc, 1.0, v5, 1.0
	v_mul_f32_e32 v9, v8, v7
	v_fma_f32 v10, -v4, v9, v8
	v_fmac_f32_e32 v9, v10, v7
	v_fma_f32 v4, -v4, v9, v8
	v_div_fmas_f32 v4, v4, v7, v9
	v_div_fixup_f32 v4, v4, v5, 1.0
	v_mul_f32_e32 v6, v6, v4
	v_xor_b32_e32 v7, 0x80000000, v4
                                        ; implicit-def: $vgpr4_vgpr5
.LBB195_85:
	s_andn2_saveexec_b64 s[18:19], s[18:19]
	s_cbranch_execz .LBB195_87
; %bb.86:
	v_div_scale_f32 v6, s[20:21], v4, v4, v5
	v_rcp_f32_e32 v7, v6
	v_div_scale_f32 v8, vcc, v5, v4, v5
	v_fma_f32 v9, -v6, v7, 1.0
	v_fmac_f32_e32 v7, v9, v7
	v_mul_f32_e32 v9, v8, v7
	v_fma_f32 v10, -v6, v9, v8
	v_fmac_f32_e32 v9, v10, v7
	v_fma_f32 v6, -v6, v9, v8
	v_div_fmas_f32 v6, v6, v7, v9
	v_div_fixup_f32 v7, v6, v4, v5
	v_fmac_f32_e32 v4, v5, v7
	v_div_scale_f32 v5, s[20:21], v4, v4, 1.0
	v_rcp_f32_e32 v6, v5
	v_fma_f32 v8, -v5, v6, 1.0
	v_fmac_f32_e32 v6, v8, v6
	v_div_scale_f32 v8, vcc, 1.0, v4, 1.0
	v_mul_f32_e32 v9, v8, v6
	v_fma_f32 v10, -v5, v9, v8
	v_fmac_f32_e32 v9, v10, v6
	v_fma_f32 v5, -v5, v9, v8
	v_div_fmas_f32 v5, v5, v6, v9
	v_div_fixup_f32 v6, v5, v4, 1.0
	v_mul_f32_e64 v7, v7, -v6
.LBB195_87:
	s_or_b64 exec, exec, s[18:19]
	ds_write_b64 v3, v[6:7]
.LBB195_88:
	s_andn2_saveexec_b64 s[4:5], s[4:5]
	s_cbranch_execz .LBB195_90
; %bb.89:
	v_mov_b32_e32 v4, 1.0
	v_mov_b32_e32 v5, 0
	ds_write_b64 v3, v[4:5]
.LBB195_90:
	s_or_b64 exec, exec, s[4:5]
	s_mov_b64 s[4:5], 0
.LBB195_91:
	s_andn2_b64 vcc, exec, s[4:5]
	s_cbranch_vccnz .LBB195_93
; %bb.92:
	v_mov_b32_e32 v4, 1.0
	v_mov_b32_e32 v5, 0
	ds_write_b64 v3, v[4:5]
.LBB195_93:
	s_or_b64 exec, exec, s[8:9]
	s_waitcnt lgkmcnt(0)
	s_barrier
	s_and_saveexec_b64 s[4:5], s[2:3]
	s_cbranch_execz .LBB195_115
; %bb.94:
	v_lshl_add_u32 v3, v2, 3, v1
	v_mul_i32_i24_e32 v8, 0x88, v2
	v_add_u32_e32 v4, 8, v1
	v_add_u32_e32 v5, 0x80, v3
	;; [unrolled: 1-line block ×4, first 2 shown]
	s_mov_b32 s17, 0
	v_add_u32_e32 v8, v1, v8
	s_branch .LBB195_96
.LBB195_95:                             ;   in Loop: Header=BB195_96 Depth=1
	v_add_u32_e32 v4, 16, v4
	v_add_u32_e32 v5, 0x100, v5
	;; [unrolled: 1-line block ×3, first 2 shown]
	s_cmp_eq_u32 s17, 16
	v_add_u32_e32 v7, 0x100, v7
	s_cbranch_scc1 .LBB195_115
.LBB195_96:                             ; =>This Loop Header: Depth=1
                                        ;     Child Loop BB195_102 Depth 2
                                        ;     Child Loop BB195_111 Depth 2
	v_cmp_ge_i32_e32 vcc, s17, v2
                                        ; implicit-def: $sgpr18
                                        ; implicit-def: $sgpr19
	s_and_saveexec_b64 s[8:9], vcc
	s_xor_b64 s[8:9], exec, s[8:9]
; %bb.97:                               ;   in Loop: Header=BB195_96 Depth=1
	s_lshl_b32 s19, s17, 7
	s_mov_b32 s18, 0
; %bb.98:                               ;   in Loop: Header=BB195_96 Depth=1
	s_or_saveexec_b64 s[8:9], s[8:9]
	v_mov_b32_e32 v12, s19
	v_mov_b32_e32 v9, s18
	;; [unrolled: 1-line block ×3, first 2 shown]
	s_xor_b64 exec, exec, s[8:9]
	s_cbranch_execz .LBB195_100
; %bb.99:                               ;   in Loop: Header=BB195_96 Depth=1
	s_lshl_b32 s18, s17, 7
	s_mul_i32 s19, s17, 0x88
	v_add_u32_e32 v9, s18, v3
	v_add_u32_e32 v12, s19, v1
	ds_read_b64 v[10:11], v9
	ds_read_b64 v[12:13], v12
	s_waitcnt lgkmcnt(0)
	v_mul_f32_e32 v9, v13, v11
	v_mul_f32_e32 v11, v12, v11
	v_fma_f32 v9, v12, v10, -v9
	v_fmac_f32_e32 v11, v13, v10
	v_add_f32_e32 v9, 0, v9
	v_add_f32_e32 v10, 0, v11
	v_mov_b32_e32 v12, s18
.LBB195_100:                            ;   in Loop: Header=BB195_96 Depth=1
	s_or_b64 exec, exec, s[8:9]
	s_or_b32 s18, s17, 1
	v_add_u32_e32 v11, v4, v12
	v_add_u32_e32 v12, v3, v12
	v_mov_b32_e32 v13, v5
	s_mov_b32 s19, s18
	s_branch .LBB195_102
.LBB195_101:                            ;   in Loop: Header=BB195_102 Depth=2
	s_or_b64 exec, exec, s[8:9]
	s_add_i32 s8, s19, 1
	v_add_u32_e32 v11, 8, v11
	v_add_u32_e32 v13, 0x80, v13
	s_cmp_gt_u32 s19, 14
	s_mov_b32 s19, s8
	s_cbranch_scc1 .LBB195_106
.LBB195_102:                            ;   Parent Loop BB195_96 Depth=1
                                        ; =>  This Inner Loop Header: Depth=2
	v_cmp_eq_u32_e32 vcc, s19, v2
	s_and_saveexec_b64 s[8:9], vcc
	s_cbranch_execz .LBB195_104
; %bb.103:                              ;   in Loop: Header=BB195_102 Depth=2
	ds_read_b64 v[14:15], v8
	v_sub_f32_e32 v17, 0, v9
	s_waitcnt lgkmcnt(0)
	v_mul_f32_e32 v16, v10, v15
	v_mul_f32_e32 v18, v10, v14
	v_fmac_f32_e32 v16, v17, v14
	v_fma_f32 v17, -v9, v15, -v18
	ds_write_b64 v12, v[16:17]
.LBB195_104:                            ;   in Loop: Header=BB195_102 Depth=2
	s_or_b64 exec, exec, s[8:9]
	v_cmp_lt_i32_e32 vcc, s19, v2
	s_and_saveexec_b64 s[8:9], vcc
	s_cbranch_execz .LBB195_101
; %bb.105:                              ;   in Loop: Header=BB195_102 Depth=2
	ds_read_b64 v[14:15], v13
	ds_read_b64 v[16:17], v11
	s_waitcnt lgkmcnt(0)
	v_mul_f32_e32 v18, v17, v15
	v_mul_f32_e32 v15, v16, v15
	v_fma_f32 v16, v16, v14, -v18
	v_fmac_f32_e32 v15, v17, v14
	v_add_f32_e32 v9, v9, v16
	v_add_f32_e32 v10, v10, v15
	s_branch .LBB195_101
.LBB195_106:                            ;   in Loop: Header=BB195_96 Depth=1
	v_cmp_lt_i32_e32 vcc, s18, v2
	v_mov_b32_e32 v9, 0
	v_mov_b32_e32 v10, 0
	s_and_saveexec_b64 s[8:9], vcc
	s_cbranch_execz .LBB195_108
; %bb.107:                              ;   in Loop: Header=BB195_96 Depth=1
	s_mul_i32 s19, s18, 0x88
	v_lshl_add_u32 v9, s18, 7, v3
	v_add_u32_e32 v12, s19, v1
	ds_read_b64 v[10:11], v9
	ds_read_b64 v[12:13], v12
	s_waitcnt lgkmcnt(0)
	v_mul_f32_e32 v9, v13, v11
	v_mul_f32_e32 v11, v12, v11
	v_fma_f32 v9, v12, v10, -v9
	v_fmac_f32_e32 v11, v13, v10
	v_add_f32_e32 v9, 0, v9
	v_add_f32_e32 v10, 0, v11
.LBB195_108:                            ;   in Loop: Header=BB195_96 Depth=1
	s_or_b64 exec, exec, s[8:9]
	s_add_i32 s17, s17, 2
	s_cmp_gt_u32 s18, 14
	s_cbranch_scc1 .LBB195_95
; %bb.109:                              ;   in Loop: Header=BB195_96 Depth=1
	s_lshl_b32 s8, s18, 7
	v_add_u32_e32 v11, s8, v3
	v_mov_b32_e32 v12, v7
	v_mov_b32_e32 v13, v6
	s_mov_b32 s18, s17
	s_branch .LBB195_111
.LBB195_110:                            ;   in Loop: Header=BB195_111 Depth=2
	s_or_b64 exec, exec, s[8:9]
	s_add_i32 s8, s18, 1
	v_add_u32_e32 v13, 8, v13
	v_add_u32_e32 v12, 0x80, v12
	s_cmp_lt_u32 s18, 15
	s_mov_b32 s18, s8
	s_cbranch_scc0 .LBB195_95
.LBB195_111:                            ;   Parent Loop BB195_96 Depth=1
                                        ; =>  This Inner Loop Header: Depth=2
	v_cmp_eq_u32_e32 vcc, s18, v2
	s_and_saveexec_b64 s[8:9], vcc
	s_cbranch_execz .LBB195_113
; %bb.112:                              ;   in Loop: Header=BB195_111 Depth=2
	ds_read_b64 v[14:15], v8
	v_sub_f32_e32 v17, 0, v9
	s_waitcnt lgkmcnt(0)
	v_mul_f32_e32 v16, v10, v15
	v_mul_f32_e32 v18, v10, v14
	v_fmac_f32_e32 v16, v17, v14
	v_fma_f32 v17, -v9, v15, -v18
	ds_write_b64 v11, v[16:17]
.LBB195_113:                            ;   in Loop: Header=BB195_111 Depth=2
	s_or_b64 exec, exec, s[8:9]
	v_cmp_lt_i32_e32 vcc, s18, v2
	s_and_saveexec_b64 s[8:9], vcc
	s_cbranch_execz .LBB195_110
; %bb.114:                              ;   in Loop: Header=BB195_111 Depth=2
	ds_read_b64 v[14:15], v12
	ds_read_b64 v[16:17], v13
	s_waitcnt lgkmcnt(0)
	v_mul_f32_e32 v18, v17, v15
	v_mul_f32_e32 v15, v16, v15
	v_fma_f32 v16, v16, v14, -v18
	v_fmac_f32_e32 v15, v17, v14
	v_add_f32_e32 v9, v9, v16
	v_add_f32_e32 v10, v10, v15
	s_branch .LBB195_110
.LBB195_115:
	s_or_b64 exec, exec, s[4:5]
	s_cmpk_lg_i32 s16, 0x7a
	s_cselect_b64 s[8:9], -1, 0
	s_movk_i32 s4, 0x100
	v_and_b32_e32 v3, 15, v0
	v_lshrrev_b32_e32 v6, 4, v0
	v_cmp_gt_u32_e64 s[4:5], s4, v0
	s_and_b64 vcc, exec, s[8:9]
	s_waitcnt lgkmcnt(0)
	s_barrier
	s_cbranch_vccz .LBB195_126
; %bb.116:
	s_mov_b64 s[16:17], 0
	s_mov_b64 s[20:21], 0
                                        ; implicit-def: $vgpr4_vgpr5
	s_and_saveexec_b64 s[18:19], s[4:5]
	s_cbranch_execz .LBB195_127
; %bb.117:
	s_movk_i32 s20, 0x6f
	v_cmp_lt_u32_e32 vcc, s20, v0
	s_mov_b32 s20, 0
	v_and_b32_e32 v4, 0xf0, v0
	s_mov_b32 s21, s20
	v_xor_b32_e32 v7, 0xff, v4
	v_add_u32_e32 v9, 1, v6
	v_pk_mov_b32 v[4:5], s[20:21], s[20:21] op_sel:[0,1]
	v_mov_b32_e32 v8, 0
	s_and_saveexec_b64 s[22:23], vcc
	s_cbranch_execz .LBB195_121
; %bb.118:
	v_mov_b32_e32 v4, 0x17c8
	v_lshl_add_u32 v11, v7, 3, v4
	v_mov_b32_e32 v4, 0
	v_and_b32_e32 v8, 24, v9
	v_lshlrev_b32_e32 v10, 3, v3
	s_mov_b64 s[24:25], 0
	v_mov_b32_e32 v5, v4
.LBB195_119:                            ; =>This Inner Loop Header: Depth=1
	ds_read2_b64 v[12:15], v10 offset1:16
	ds_read_b128 v[16:19], v11
	ds_read_b128 v[20:23], v11 offset:16
	ds_read_b128 v[24:27], v11 offset:32
	;; [unrolled: 1-line block ×3, first 2 shown]
	ds_read2_b64 v[32:35], v10 offset0:32 offset1:48
	ds_read2_b64 v[36:39], v10 offset0:64 offset1:80
	;; [unrolled: 1-line block ×3, first 2 shown]
	s_add_i32 s20, s20, 8
	s_waitcnt lgkmcnt(3)
	v_pk_mul_f32 v[44:45], v[30:31], v[12:13] op_sel:[0,1]
	v_pk_mul_f32 v[46:47], v[28:29], v[14:15] op_sel:[0,1]
	v_pk_fma_f32 v[60:61], v[30:31], v[12:13], v[44:45] op_sel:[0,0,1] op_sel_hi:[1,1,0] neg_lo:[0,0,1] neg_hi:[0,0,1]
	v_pk_fma_f32 v[12:13], v[30:31], v[12:13], v[44:45] op_sel:[0,0,1] op_sel_hi:[1,0,0]
	s_waitcnt lgkmcnt(2)
	v_pk_mul_f32 v[48:49], v[26:27], v[32:33] op_sel:[0,1]
	v_pk_fma_f32 v[30:31], v[28:29], v[14:15], v[46:47] op_sel:[0,0,1] op_sel_hi:[1,1,0] neg_lo:[0,0,1] neg_hi:[0,0,1]
	v_pk_fma_f32 v[14:15], v[28:29], v[14:15], v[46:47] op_sel:[0,0,1] op_sel_hi:[1,0,0]
	v_mov_b32_e32 v61, v13
	v_pk_mul_f32 v[50:51], v[24:25], v[34:35] op_sel:[0,1]
	v_pk_fma_f32 v[28:29], v[26:27], v[32:33], v[48:49] op_sel:[0,0,1] op_sel_hi:[1,1,0] neg_lo:[0,0,1] neg_hi:[0,0,1]
	v_pk_fma_f32 v[26:27], v[26:27], v[32:33], v[48:49] op_sel:[0,0,1] op_sel_hi:[1,0,0]
	v_mov_b32_e32 v31, v15
	v_pk_add_f32 v[4:5], v[4:5], v[60:61]
	s_waitcnt lgkmcnt(1)
	v_pk_mul_f32 v[52:53], v[22:23], v[36:37] op_sel:[0,1]
	v_pk_fma_f32 v[32:33], v[24:25], v[34:35], v[50:51] op_sel:[0,0,1] op_sel_hi:[1,1,0] neg_lo:[0,0,1] neg_hi:[0,0,1]
	v_pk_fma_f32 v[24:25], v[24:25], v[34:35], v[50:51] op_sel:[0,0,1] op_sel_hi:[1,0,0]
	v_mov_b32_e32 v29, v27
	v_pk_add_f32 v[4:5], v[4:5], v[30:31]
	v_pk_mul_f32 v[54:55], v[20:21], v[38:39] op_sel:[0,1]
	v_pk_fma_f32 v[34:35], v[22:23], v[36:37], v[52:53] op_sel:[0,0,1] op_sel_hi:[1,1,0] neg_lo:[0,0,1] neg_hi:[0,0,1]
	v_pk_fma_f32 v[22:23], v[22:23], v[36:37], v[52:53] op_sel:[0,0,1] op_sel_hi:[1,0,0]
	v_mov_b32_e32 v33, v25
	v_pk_add_f32 v[4:5], v[4:5], v[28:29]
	s_waitcnt lgkmcnt(0)
	v_pk_mul_f32 v[56:57], v[18:19], v[40:41] op_sel:[0,1]
	v_pk_fma_f32 v[36:37], v[20:21], v[38:39], v[54:55] op_sel:[0,0,1] op_sel_hi:[1,1,0] neg_lo:[0,0,1] neg_hi:[0,0,1]
	v_pk_fma_f32 v[20:21], v[20:21], v[38:39], v[54:55] op_sel:[0,0,1] op_sel_hi:[1,0,0]
	v_mov_b32_e32 v35, v23
	v_pk_add_f32 v[4:5], v[4:5], v[32:33]
	v_pk_mul_f32 v[58:59], v[16:17], v[42:43] op_sel:[0,1]
	v_pk_fma_f32 v[38:39], v[18:19], v[40:41], v[56:57] op_sel:[0,0,1] op_sel_hi:[1,1,0] neg_lo:[0,0,1] neg_hi:[0,0,1]
	v_pk_fma_f32 v[18:19], v[18:19], v[40:41], v[56:57] op_sel:[0,0,1] op_sel_hi:[1,0,0]
	v_mov_b32_e32 v37, v21
	v_pk_add_f32 v[4:5], v[4:5], v[34:35]
	v_pk_fma_f32 v[40:41], v[16:17], v[42:43], v[58:59] op_sel:[0,0,1] op_sel_hi:[1,1,0] neg_lo:[0,0,1] neg_hi:[0,0,1]
	v_pk_fma_f32 v[16:17], v[16:17], v[42:43], v[58:59] op_sel:[0,0,1] op_sel_hi:[1,0,0]
	v_mov_b32_e32 v39, v19
	v_pk_add_f32 v[4:5], v[4:5], v[36:37]
	v_cmp_eq_u32_e32 vcc, s20, v8
	v_mov_b32_e32 v41, v17
	v_pk_add_f32 v[4:5], v[4:5], v[38:39]
	v_add_u32_e32 v10, 0x400, v10
	v_subrev_u32_e32 v11, 64, v11
	s_or_b64 s[24:25], vcc, s[24:25]
	v_pk_add_f32 v[4:5], v[4:5], v[40:41]
	s_andn2_b64 exec, exec, s[24:25]
	s_cbranch_execnz .LBB195_119
; %bb.120:
	s_or_b64 exec, exec, s[24:25]
.LBB195_121:
	s_or_b64 exec, exec, s[22:23]
	v_and_b32_e32 v9, 7, v9
	v_cmp_ne_u32_e32 vcc, 0, v9
	s_and_saveexec_b64 s[20:21], vcc
	s_cbranch_execz .LBB195_125
; %bb.122:
	v_lshlrev_b32_e32 v7, 3, v7
	v_lshlrev_b32_e32 v10, 3, v8
	v_sub_u32_e32 v7, v7, v10
	v_lshlrev_b32_e32 v10, 3, v3
	v_add_u32_e32 v7, 0x1800, v7
	v_lshl_or_b32 v8, v8, 7, v10
	s_mov_b64 s[22:23], 0
.LBB195_123:                            ; =>This Inner Loop Header: Depth=1
	ds_read_b64 v[10:11], v8
	ds_read_b64 v[12:13], v7
	v_add_u32_e32 v9, -1, v9
	v_cmp_eq_u32_e32 vcc, 0, v9
	v_add_u32_e32 v7, -8, v7
	v_add_u32_e32 v8, 0x80, v8
	s_waitcnt lgkmcnt(0)
	v_pk_mul_f32 v[14:15], v[12:13], v[10:11] op_sel:[0,1]
	v_pk_fma_f32 v[16:17], v[12:13], v[10:11], v[14:15] op_sel:[0,0,1] op_sel_hi:[1,1,0] neg_lo:[0,0,1] neg_hi:[0,0,1]
	v_pk_fma_f32 v[10:11], v[12:13], v[10:11], v[14:15] op_sel:[0,0,1] op_sel_hi:[1,0,0]
	v_mov_b32_e32 v17, v11
	s_or_b64 s[22:23], vcc, s[22:23]
	v_pk_add_f32 v[4:5], v[4:5], v[16:17]
	s_andn2_b64 exec, exec, s[22:23]
	s_cbranch_execnz .LBB195_123
; %bb.124:
	s_or_b64 exec, exec, s[22:23]
.LBB195_125:
	s_or_b64 exec, exec, s[20:21]
	s_mov_b64 s[20:21], exec
	s_or_b64 exec, exec, s[18:19]
	s_and_b64 vcc, exec, s[16:17]
	s_cbranch_vccnz .LBB195_128
	s_branch .LBB195_133
.LBB195_126:
	s_mov_b64 s[20:21], 0
                                        ; implicit-def: $vgpr4_vgpr5
	s_cbranch_execnz .LBB195_128
	s_branch .LBB195_133
.LBB195_127:
	s_or_b64 exec, exec, s[18:19]
	s_and_b64 vcc, exec, s[16:17]
	s_cbranch_vccz .LBB195_133
.LBB195_128:
                                        ; implicit-def: $vgpr4_vgpr5
	s_and_saveexec_b64 s[16:17], s[4:5]
	s_cbranch_execz .LBB195_132
; %bb.129:
	v_lshlrev_b32_e32 v4, 3, v0
	v_and_b32_e32 v4, 0x780, v4
	v_lshlrev_b32_e32 v5, 3, v6
	s_movk_i32 s18, 0x1000
	v_or3_b32 v8, v4, v5, s18
	v_lshlrev_b32_e32 v4, 3, v3
	v_lshl_or_b32 v9, v6, 7, v4
	v_mov_b32_e32 v4, 0
	v_add_u32_e32 v7, -1, v6
	s_mov_b64 s[18:19], 0
	v_mov_b32_e32 v5, v4
.LBB195_130:                            ; =>This Inner Loop Header: Depth=1
	ds_read_b64 v[10:11], v9
	ds_read_b64 v[12:13], v8
	v_add_u32_e32 v7, 1, v7
	v_cmp_lt_u32_e32 vcc, 14, v7
	v_add_u32_e32 v8, 8, v8
	v_add_u32_e32 v9, 0x80, v9
	s_waitcnt lgkmcnt(0)
	v_pk_mul_f32 v[14:15], v[12:13], v[10:11] op_sel:[0,1]
	v_pk_fma_f32 v[16:17], v[12:13], v[10:11], v[14:15] op_sel:[0,0,1] op_sel_hi:[1,1,0] neg_lo:[0,0,1] neg_hi:[0,0,1]
	v_pk_fma_f32 v[10:11], v[12:13], v[10:11], v[14:15] op_sel:[0,0,1] op_sel_hi:[1,0,0]
	v_mov_b32_e32 v17, v11
	s_or_b64 s[18:19], vcc, s[18:19]
	v_pk_add_f32 v[4:5], v[4:5], v[16:17]
	s_andn2_b64 exec, exec, s[18:19]
	s_cbranch_execnz .LBB195_130
; %bb.131:
	s_or_b64 exec, exec, s[18:19]
	s_or_b64 s[20:21], s[20:21], exec
.LBB195_132:
	s_or_b64 exec, exec, s[16:17]
.LBB195_133:
	s_and_saveexec_b64 s[16:17], s[20:21]
	s_cbranch_execz .LBB195_135
; %bb.134:
	v_lshlrev_b32_e32 v7, 3, v0
	ds_write_b64 v7, v[4:5] offset:2048
.LBB195_135:
	s_or_b64 exec, exec, s[16:17]
	s_bfe_u32 s16, s6, 0x1d0002
	s_mul_i32 s6, s7, s15
	s_mul_hi_u32 s15, s7, s14
	s_add_i32 s15, s15, s6
	s_mul_i32 s14, s7, s14
	s_and_b32 s18, s26, 6
	s_lshl_b64 s[6:7], s[14:15], 3
	s_mov_b32 s17, 0
	s_add_u32 s10, s10, s6
	s_addc_u32 s11, s11, s7
	s_mulk_i32 s18, 0x4080
	s_lshl_b64 s[6:7], s[16:17], 17
	s_or_b32 s6, s6, s18
	s_add_u32 s10, s10, s6
	s_addc_u32 s11, s11, s7
	s_lshl_b64 s[6:7], s[12:13], 3
	s_add_u32 s16, s10, s6
	s_addc_u32 s17, s11, s7
	s_and_b64 vcc, exec, s[8:9]
	s_waitcnt lgkmcnt(0)
	s_barrier
	s_cbranch_vccz .LBB195_141
; %bb.136:
	s_mov_b64 s[10:11], 0
	s_mov_b64 s[6:7], 0
                                        ; implicit-def: $vgpr4_vgpr5
                                        ; implicit-def: $sgpr14
	s_and_saveexec_b64 s[12:13], s[4:5]
	s_cbranch_execz .LBB195_140
; %bb.137:
	v_lshlrev_b32_e32 v5, 3, v0
	v_xor_b32_e32 v4, 0xff, v3
	v_and_b32_e32 v5, 0x780, v5
	v_lshlrev_b32_e32 v8, 3, v3
	s_movk_i32 s6, 0x800
	v_or3_b32 v8, v5, v8, s6
	v_lshlrev_b32_e32 v4, 3, v4
	v_lshlrev_b32_e32 v5, 7, v3
	v_sub_u32_e32 v4, v4, v5
	v_or_b32_e32 v9, 0x1000, v4
	v_mov_b32_e32 v4, 0
	v_add_u32_e32 v7, -1, v3
	s_mov_b64 s[6:7], 0
	v_mov_b32_e32 v5, v4
.LBB195_138:                            ; =>This Inner Loop Header: Depth=1
	ds_read_b64 v[10:11], v9
	ds_read_b64 v[12:13], v8
	v_add_u32_e32 v7, 1, v7
	v_cmp_lt_u32_e32 vcc, 14, v7
	v_add_u32_e32 v8, 8, v8
	v_add_u32_e32 v9, 0xffffff80, v9
	s_waitcnt lgkmcnt(0)
	v_pk_mul_f32 v[14:15], v[12:13], v[10:11] op_sel:[0,1] neg_lo:[0,1]
	v_pk_fma_f32 v[10:11], v[10:11], v[12:13], v[14:15] op_sel:[0,0,1] op_sel_hi:[0,1,0] neg_lo:[1,0,0] neg_hi:[1,0,0]
	s_or_b64 s[6:7], vcc, s[6:7]
	v_pk_add_f32 v[4:5], v[4:5], v[10:11]
	s_andn2_b64 exec, exec, s[6:7]
	s_cbranch_execnz .LBB195_138
; %bb.139:
	s_or_b64 exec, exec, s[6:7]
	s_mov_b64 s[6:7], exec
	s_movk_i32 s14, 0x800
.LBB195_140:
	s_or_b64 exec, exec, s[12:13]
	s_and_b64 vcc, exec, s[10:11]
	s_cbranch_vccnz .LBB195_142
	s_branch .LBB195_153
.LBB195_141:
	s_mov_b64 s[6:7], 0
                                        ; implicit-def: $vgpr4_vgpr5
                                        ; implicit-def: $sgpr14
	s_cbranch_execz .LBB195_153
.LBB195_142:
                                        ; implicit-def: $vgpr4_vgpr5
                                        ; implicit-def: $sgpr14
	s_and_saveexec_b64 s[10:11], s[4:5]
	s_cbranch_execz .LBB195_152
; %bb.143:
	s_mov_b32 s4, 0
	s_mov_b32 s5, s4
	v_add_u32_e32 v8, 1, v3
	v_cmp_lt_u32_e32 vcc, 6, v3
	v_pk_mov_b32 v[4:5], s[4:5], s[4:5] op_sel:[0,1]
	v_mov_b32_e32 v7, 0
	v_lshlrev_b32_e32 v0, 3, v0
	s_and_saveexec_b64 s[12:13], vcc
	s_cbranch_execz .LBB195_147
; %bb.144:
	v_mov_b32_e32 v4, 0x1800
	v_lshl_or_b32 v9, v3, 3, v4
	v_and_b32_e32 v4, 0x780, v0
	v_or_b32_e32 v10, 0x800, v4
	v_mov_b32_e32 v4, 0
	v_and_b32_e32 v7, 24, v8
	s_mov_b64 s[14:15], 0
	v_mov_b32_e32 v5, v4
.LBB195_145:                            ; =>This Inner Loop Header: Depth=1
	ds_read2_b64 v[12:15], v9 offset1:16
	ds_read_b128 v[16:19], v10
	ds_read_b128 v[20:23], v10 offset:16
	ds_read_b128 v[24:27], v10 offset:32
	ds_read_b128 v[28:31], v10 offset:48
	ds_read2_b64 v[32:35], v9 offset0:32 offset1:48
	ds_read2_b64 v[36:39], v9 offset0:64 offset1:80
	;; [unrolled: 1-line block ×3, first 2 shown]
	s_waitcnt lgkmcnt(6)
	v_pk_mul_f32 v[44:45], v[16:17], v[12:13] op_sel:[0,1] neg_lo:[0,1]
	v_pk_mul_f32 v[46:47], v[18:19], v[14:15] op_sel:[0,1] neg_lo:[0,1]
	v_pk_fma_f32 v[12:13], v[12:13], v[16:17], v[44:45] op_sel:[0,0,1] op_sel_hi:[0,1,0] neg_lo:[1,0,0] neg_hi:[1,0,0]
	s_waitcnt lgkmcnt(2)
	v_pk_mul_f32 v[48:49], v[20:21], v[32:33] op_sel:[0,1] neg_lo:[0,1]
	v_pk_fma_f32 v[14:15], v[14:15], v[18:19], v[46:47] op_sel:[0,0,1] op_sel_hi:[0,1,0] neg_lo:[1,0,0] neg_hi:[1,0,0]
	v_pk_add_f32 v[4:5], v[4:5], v[12:13]
	v_pk_mul_f32 v[50:51], v[22:23], v[34:35] op_sel:[0,1] neg_lo:[0,1]
	v_pk_fma_f32 v[16:17], v[32:33], v[20:21], v[48:49] op_sel:[0,0,1] op_sel_hi:[0,1,0] neg_lo:[1,0,0] neg_hi:[1,0,0]
	v_pk_add_f32 v[4:5], v[4:5], v[14:15]
	s_waitcnt lgkmcnt(1)
	v_pk_mul_f32 v[52:53], v[24:25], v[36:37] op_sel:[0,1] neg_lo:[0,1]
	v_pk_fma_f32 v[18:19], v[34:35], v[22:23], v[50:51] op_sel:[0,0,1] op_sel_hi:[0,1,0] neg_lo:[1,0,0] neg_hi:[1,0,0]
	v_pk_add_f32 v[4:5], v[4:5], v[16:17]
	v_pk_mul_f32 v[54:55], v[26:27], v[38:39] op_sel:[0,1] neg_lo:[0,1]
	v_pk_fma_f32 v[20:21], v[36:37], v[24:25], v[52:53] op_sel:[0,0,1] op_sel_hi:[0,1,0] neg_lo:[1,0,0] neg_hi:[1,0,0]
	v_pk_add_f32 v[4:5], v[4:5], v[18:19]
	s_waitcnt lgkmcnt(0)
	v_pk_mul_f32 v[56:57], v[28:29], v[40:41] op_sel:[0,1] neg_lo:[0,1]
	v_pk_fma_f32 v[22:23], v[38:39], v[26:27], v[54:55] op_sel:[0,0,1] op_sel_hi:[0,1,0] neg_lo:[1,0,0] neg_hi:[1,0,0]
	v_pk_add_f32 v[4:5], v[4:5], v[20:21]
	s_add_i32 s4, s4, 8
	v_pk_mul_f32 v[58:59], v[30:31], v[42:43] op_sel:[0,1] neg_lo:[0,1]
	v_pk_fma_f32 v[24:25], v[40:41], v[28:29], v[56:57] op_sel:[0,0,1] op_sel_hi:[0,1,0] neg_lo:[1,0,0] neg_hi:[1,0,0]
	v_pk_add_f32 v[4:5], v[4:5], v[22:23]
	v_cmp_eq_u32_e32 vcc, s4, v7
	v_pk_fma_f32 v[26:27], v[42:43], v[30:31], v[58:59] op_sel:[0,0,1] op_sel_hi:[0,1,0] neg_lo:[1,0,0] neg_hi:[1,0,0]
	v_pk_add_f32 v[4:5], v[4:5], v[24:25]
	v_add_u32_e32 v9, 0x400, v9
	v_add_u32_e32 v10, 64, v10
	s_or_b64 s[14:15], vcc, s[14:15]
	v_pk_add_f32 v[4:5], v[4:5], v[26:27]
	s_andn2_b64 exec, exec, s[14:15]
	s_cbranch_execnz .LBB195_145
; %bb.146:
	s_or_b64 exec, exec, s[14:15]
.LBB195_147:
	s_or_b64 exec, exec, s[12:13]
	v_and_b32_e32 v8, 7, v8
	v_cmp_ne_u32_e32 vcc, 0, v8
	s_and_saveexec_b64 s[4:5], vcc
	s_cbranch_execz .LBB195_151
; %bb.148:
	v_and_b32_e32 v0, 0x780, v0
	v_lshlrev_b32_e32 v9, 3, v7
	s_movk_i32 s12, 0x800
	v_add3_u32 v0, v0, v9, s12
	v_lshlrev_b32_e32 v9, 3, v3
	v_lshl_or_b32 v7, v7, 7, v9
	v_add_u32_e32 v7, 0x1800, v7
	s_mov_b64 s[12:13], 0
.LBB195_149:                            ; =>This Inner Loop Header: Depth=1
	ds_read_b64 v[10:11], v7
	ds_read_b64 v[12:13], v0
	v_add_u32_e32 v8, -1, v8
	v_cmp_eq_u32_e32 vcc, 0, v8
	v_add_u32_e32 v0, 8, v0
	v_add_u32_e32 v7, 0x80, v7
	s_waitcnt lgkmcnt(0)
	v_pk_mul_f32 v[14:15], v[12:13], v[10:11] op_sel:[0,1] neg_lo:[0,1]
	v_pk_fma_f32 v[10:11], v[10:11], v[12:13], v[14:15] op_sel:[0,0,1] op_sel_hi:[0,1,0] neg_lo:[1,0,0] neg_hi:[1,0,0]
	s_or_b64 s[12:13], vcc, s[12:13]
	v_pk_add_f32 v[4:5], v[4:5], v[10:11]
	s_andn2_b64 exec, exec, s[12:13]
	s_cbranch_execnz .LBB195_149
; %bb.150:
	s_or_b64 exec, exec, s[12:13]
.LBB195_151:
	s_or_b64 exec, exec, s[4:5]
	s_mov_b32 s14, 16
	s_or_b64 s[6:7], s[6:7], exec
.LBB195_152:
	s_or_b64 exec, exec, s[10:11]
.LBB195_153:
	s_and_saveexec_b64 s[4:5], s[6:7]
	s_cbranch_execnz .LBB195_155
; %bb.154:
	s_or_b64 exec, exec, s[4:5]
	s_and_saveexec_b64 s[4:5], s[2:3]
	s_cbranch_execnz .LBB195_156
	s_branch .LBB195_165
.LBB195_155:
	v_lshlrev_b32_e32 v0, 7, v6
	v_or3_b32 v6, v0, s14, v3
	v_mov_b32_e32 v7, 0
	v_lshlrev_b64 v[6:7], 3, v[6:7]
	v_mov_b32_e32 v0, s17
	v_add_co_u32_e32 v6, vcc, s16, v6
	v_addc_co_u32_e32 v7, vcc, v0, v7, vcc
	global_store_dwordx2 v[6:7], v[4:5], off
	s_or_b64 exec, exec, s[4:5]
	s_and_saveexec_b64 s[4:5], s[2:3]
	s_cbranch_execz .LBB195_165
.LBB195_156:
	v_mov_b32_e32 v0, 0x810
	v_cndmask_b32_e64 v0, v0, 0, s[0:1]
	s_andn2_b64 vcc, exec, s[8:9]
	s_mov_b64 s[0:1], -1
	s_cbranch_vccnz .LBB195_161
; %bb.157:
	s_mov_b32 s0, 16
	v_cmp_gt_i32_e32 vcc, 16, v2
	s_and_saveexec_b64 s[2:3], vcc
	s_cbranch_execz .LBB195_160
; %bb.158:
	v_lshlrev_b32_e32 v4, 3, v0
	v_mov_b32_e32 v3, 0
	v_mov_b32_e32 v5, s17
	v_add_co_u32_e32 v6, vcc, s16, v4
	v_addc_co_u32_e32 v7, vcc, 0, v5, vcc
	v_lshlrev_b64 v[4:5], 3, v[2:3]
	v_add_co_u32_e32 v3, vcc, v6, v4
	v_addc_co_u32_e32 v4, vcc, v7, v5, vcc
	v_lshlrev_b32_e32 v5, 3, v2
	v_sub_u32_e32 v5, v1, v5
	s_mov_b32 s1, 0
	v_add_u32_e32 v5, 0x78, v5
	s_mov_b64 s[4:5], 0
.LBB195_159:                            ; =>This Inner Loop Header: Depth=1
	ds_read_b64 v[6:7], v5
	s_add_i32 s0, s0, -1
	s_lshl_b64 s[6:7], s[0:1], 10
	v_cmp_le_i32_e32 vcc, s0, v2
	v_mov_b32_e32 v9, s7
	s_or_b64 s[4:5], vcc, s[4:5]
	v_add_co_u32_e32 v8, vcc, s6, v3
	v_add_u32_e32 v5, 0x80, v5
	v_addc_co_u32_e32 v9, vcc, v4, v9, vcc
	s_waitcnt lgkmcnt(0)
	global_store_dwordx2 v[8:9], v[6:7], off
	s_andn2_b64 exec, exec, s[4:5]
	s_cbranch_execnz .LBB195_159
.LBB195_160:
	s_or_b64 exec, exec, s[2:3]
	s_mov_b64 s[0:1], 0
.LBB195_161:
	s_andn2_b64 vcc, exec, s[0:1]
	s_cbranch_vccnz .LBB195_165
; %bb.162:
	v_cmp_lt_i32_e32 vcc, -1, v2
	s_and_b64 exec, exec, vcc
	s_cbranch_execz .LBB195_165
; %bb.163:
	v_lshlrev_b32_e32 v0, 3, v0
	v_lshl_add_u32 v4, v2, 3, v1
	v_mov_b32_e32 v3, 0
	v_mov_b32_e32 v1, s17
	v_add_co_u32_e32 v5, vcc, s16, v0
	v_addc_co_u32_e32 v6, vcc, 0, v1, vcc
	v_lshlrev_b64 v[0:1], 3, v[2:3]
	v_add_co_u32_e32 v0, vcc, v5, v0
	v_addc_co_u32_e32 v1, vcc, v6, v1, vcc
	v_add_u32_e32 v2, 1, v2
	s_mov_b64 s[0:1], 0
.LBB195_164:                            ; =>This Inner Loop Header: Depth=1
	ds_read_b64 v[6:7], v4
	v_add_u32_e32 v2, -1, v2
	v_cmp_eq_u32_e32 vcc, 0, v2
	s_or_b64 s[0:1], vcc, s[0:1]
	v_add_u32_e32 v4, 0x80, v4
	s_waitcnt lgkmcnt(0)
	global_store_dwordx2 v[0:1], v[6:7], off
	v_add_co_u32_e32 v0, vcc, 0x400, v0
	v_addc_co_u32_e32 v1, vcc, 0, v1, vcc
	s_andn2_b64 exec, exec, s[0:1]
	s_cbranch_execnz .LBB195_164
.LBB195_165:
	s_endpgm
	.section	.rodata,"a",@progbits
	.p2align	6, 0x0
	.amdhsa_kernel _ZL25rocblas_trtri_trsm_kernelILi128ELi16ELi8E19rocblas_complex_numIfEPKS1_PS1_Ev13rocblas_fill_17rocblas_diagonal_T3_lilT4_lli
		.amdhsa_group_segment_fixed_size 8192
		.amdhsa_private_segment_fixed_size 0
		.amdhsa_kernarg_size 68
		.amdhsa_user_sgpr_count 6
		.amdhsa_user_sgpr_private_segment_buffer 1
		.amdhsa_user_sgpr_dispatch_ptr 0
		.amdhsa_user_sgpr_queue_ptr 0
		.amdhsa_user_sgpr_kernarg_segment_ptr 1
		.amdhsa_user_sgpr_dispatch_id 0
		.amdhsa_user_sgpr_flat_scratch_init 0
		.amdhsa_user_sgpr_kernarg_preload_length 0
		.amdhsa_user_sgpr_kernarg_preload_offset 0
		.amdhsa_user_sgpr_private_segment_size 0
		.amdhsa_uses_dynamic_stack 0
		.amdhsa_system_sgpr_private_segment_wavefront_offset 0
		.amdhsa_system_sgpr_workgroup_id_x 1
		.amdhsa_system_sgpr_workgroup_id_y 0
		.amdhsa_system_sgpr_workgroup_id_z 1
		.amdhsa_system_sgpr_workgroup_info 0
		.amdhsa_system_vgpr_workitem_id 0
		.amdhsa_next_free_vgpr 62
		.amdhsa_next_free_sgpr 40
		.amdhsa_accum_offset 64
		.amdhsa_reserve_vcc 1
		.amdhsa_reserve_flat_scratch 0
		.amdhsa_float_round_mode_32 0
		.amdhsa_float_round_mode_16_64 0
		.amdhsa_float_denorm_mode_32 3
		.amdhsa_float_denorm_mode_16_64 3
		.amdhsa_dx10_clamp 1
		.amdhsa_ieee_mode 1
		.amdhsa_fp16_overflow 0
		.amdhsa_tg_split 0
		.amdhsa_exception_fp_ieee_invalid_op 0
		.amdhsa_exception_fp_denorm_src 0
		.amdhsa_exception_fp_ieee_div_zero 0
		.amdhsa_exception_fp_ieee_overflow 0
		.amdhsa_exception_fp_ieee_underflow 0
		.amdhsa_exception_fp_ieee_inexact 0
		.amdhsa_exception_int_div_zero 0
	.end_amdhsa_kernel
	.section	.text._ZL25rocblas_trtri_trsm_kernelILi128ELi16ELi8E19rocblas_complex_numIfEPKS1_PS1_Ev13rocblas_fill_17rocblas_diagonal_T3_lilT4_lli,"axG",@progbits,_ZL25rocblas_trtri_trsm_kernelILi128ELi16ELi8E19rocblas_complex_numIfEPKS1_PS1_Ev13rocblas_fill_17rocblas_diagonal_T3_lilT4_lli,comdat
.Lfunc_end195:
	.size	_ZL25rocblas_trtri_trsm_kernelILi128ELi16ELi8E19rocblas_complex_numIfEPKS1_PS1_Ev13rocblas_fill_17rocblas_diagonal_T3_lilT4_lli, .Lfunc_end195-_ZL25rocblas_trtri_trsm_kernelILi128ELi16ELi8E19rocblas_complex_numIfEPKS1_PS1_Ev13rocblas_fill_17rocblas_diagonal_T3_lilT4_lli
                                        ; -- End function
	.section	.AMDGPU.csdata,"",@progbits
; Kernel info:
; codeLenInByte = 6628
; NumSgprs: 44
; NumVgprs: 62
; NumAgprs: 0
; TotalNumVgprs: 62
; ScratchSize: 0
; MemoryBound: 0
; FloatMode: 240
; IeeeMode: 1
; LDSByteSize: 8192 bytes/workgroup (compile time only)
; SGPRBlocks: 5
; VGPRBlocks: 7
; NumSGPRsForWavesPerEU: 44
; NumVGPRsForWavesPerEU: 62
; AccumOffset: 64
; Occupancy: 8
; WaveLimiterHint : 0
; COMPUTE_PGM_RSRC2:SCRATCH_EN: 0
; COMPUTE_PGM_RSRC2:USER_SGPR: 6
; COMPUTE_PGM_RSRC2:TRAP_HANDLER: 0
; COMPUTE_PGM_RSRC2:TGID_X_EN: 1
; COMPUTE_PGM_RSRC2:TGID_Y_EN: 0
; COMPUTE_PGM_RSRC2:TGID_Z_EN: 1
; COMPUTE_PGM_RSRC2:TIDIG_COMP_CNT: 0
; COMPUTE_PGM_RSRC3_GFX90A:ACCUM_OFFSET: 15
; COMPUTE_PGM_RSRC3_GFX90A:TG_SPLIT: 0
	.section	.text._ZL18rocblas_trtri_fillILi128E19rocblas_complex_numIfEPS1_EvP15_rocblas_handle13rocblas_fill_ililT1_llii,"axG",@progbits,_ZL18rocblas_trtri_fillILi128E19rocblas_complex_numIfEPS1_EvP15_rocblas_handle13rocblas_fill_ililT1_llii,comdat
	.globl	_ZL18rocblas_trtri_fillILi128E19rocblas_complex_numIfEPS1_EvP15_rocblas_handle13rocblas_fill_ililT1_llii ; -- Begin function _ZL18rocblas_trtri_fillILi128E19rocblas_complex_numIfEPS1_EvP15_rocblas_handle13rocblas_fill_ililT1_llii
	.p2align	8
	.type	_ZL18rocblas_trtri_fillILi128E19rocblas_complex_numIfEPS1_EvP15_rocblas_handle13rocblas_fill_ililT1_llii,@function
_ZL18rocblas_trtri_fillILi128E19rocblas_complex_numIfEPS1_EvP15_rocblas_handle13rocblas_fill_ililT1_llii: ; @_ZL18rocblas_trtri_fillILi128E19rocblas_complex_numIfEPS1_EvP15_rocblas_handle13rocblas_fill_ililT1_llii
; %bb.0:
	s_load_dword s1, s[4:5], 0x40
	s_load_dwordx2 s[2:3], s[4:5], 0x10
	s_mov_b32 s0, s6
	s_waitcnt lgkmcnt(0)
	s_ashr_i32 s6, s1, 31
	s_mul_i32 s8, s1, s3
	s_mul_hi_u32 s9, s1, s2
	s_mul_i32 s16, s1, s2
	s_mov_b32 s1, 0
	s_add_i32 s8, s9, s8
	s_mul_i32 s6, s6, s2
	s_lshl_b64 s[0:1], s[0:1], 7
	s_add_i32 s17, s8, s6
	v_or_b32_e32 v0, s0, v0
	v_mov_b32_e32 v1, s1
	v_cmp_gt_u64_e32 vcc, s[16:17], v[0:1]
	s_and_saveexec_b64 s[0:1], vcc
	s_cbranch_execz .LBB196_16
; %bb.1:
	v_cvt_f32_u32_e32 v5, s2
	v_cvt_f32_u32_e32 v6, s3
	s_load_dword s18, s[4:5], 0x18
	s_load_dwordx8 s[8:15], s[4:5], 0x20
	s_load_dwordx2 s[20:21], s[4:5], 0x8
	v_mov_b32_e32 v4, 0
	v_mov_b32_e32 v15, 0x260
	v_mac_f32_e32 v5, 0x4f800000, v6
	s_waitcnt lgkmcnt(0)
	s_mul_i32 s0, s7, s15
	s_mul_hi_u32 s1, s7, s14
	v_rcp_f32_e32 v5, v5
	v_cvt_f32_u32_e32 v6, s2
	s_add_i32 s1, s1, s0
	s_mul_i32 s0, s7, s14
	s_ashr_i32 s19, s18, 31
	s_lshl_b64 s[0:1], s[0:1], 3
	s_add_u32 s6, s10, s0
	s_addc_u32 s7, s11, s1
	s_lshl_b64 s[0:1], s[12:13], 3
	v_mul_f32_e32 v5, 0x5f7ffffc, v5
	v_rcp_iflag_f32_e32 v6, v6
	s_add_u32 s14, s6, s0
	v_mul_f32_e32 v7, 0x2f800000, v5
	s_addc_u32 s15, s7, s1
	s_add_i32 s0, s21, -2
	s_load_dword s6, s[4:5], 0x48
	s_load_dword s7, s[4:5], 0x54
	v_trunc_f32_e32 v7, v7
	v_cvt_f64_i32_e32 v[2:3], s0
	s_add_i32 s0, s21, -1
	v_mac_f32_e32 v5, 0xcf800000, v7
	s_mul_hi_i32 s1, s0, s21
	s_mul_i32 s0, s0, s21
	v_cvt_u32_f32_e32 v12, v5
	v_mul_f32_e32 v5, 0x4f7ffffe, v6
	s_ashr_i32 s22, s21, 31
	s_lshl_b64 s[4:5], s[0:1], 2
	v_cvt_u32_f32_e32 v13, v7
	v_cvt_u32_f32_e32 v14, v5
	s_mov_b32 s23, s21
	s_add_u32 s21, s4, -7
	s_addc_u32 s24, s5, -1
	s_lshr_b64 s[4:5], s[0:1], 1
	s_waitcnt lgkmcnt(0)
	s_and_b32 s0, s7, 0xffff
	s_mov_b32 s10, 0
	s_mul_hi_u32 s25, s0, s6
	s_mul_i32 s26, s0, s6
	s_mov_b64 s[6:7], 0
	s_brev_b32 s11, 8
	s_movk_i32 s27, 0xffe0
	v_mov_b32_e32 v16, 0xffffff80
	s_branch .LBB196_3
.LBB196_2:                              ;   in Loop: Header=BB196_3 Depth=1
	v_mov_b32_e32 v5, s25
	v_add_co_u32_e32 v0, vcc, s26, v0
	v_addc_co_u32_e32 v1, vcc, v1, v5, vcc
	v_cmp_le_u64_e32 vcc, s[16:17], v[0:1]
	s_or_b64 s[6:7], vcc, s[6:7]
	s_andn2_b64 exec, exec, s[6:7]
	s_cbranch_execz .LBB196_16
.LBB196_3:                              ; =>This Inner Loop Header: Depth=1
	v_or_b32_e32 v5, s3, v1
	v_cmp_ne_u64_e32 vcc, 0, v[4:5]
                                        ; implicit-def: $vgpr6_vgpr7
	s_and_saveexec_b64 s[0:1], vcc
	s_xor_b64 s[12:13], exec, s[0:1]
	s_cbranch_execz .LBB196_5
; %bb.4:                                ;   in Loop: Header=BB196_3 Depth=1
	s_sub_u32 s0, 0, s2
	s_subb_u32 s1, 0, s3
	v_mul_hi_u32 v6, s0, v12
	v_mul_lo_u32 v7, s0, v13
	v_mul_lo_u32 v5, s1, v12
	v_add_u32_e32 v6, v6, v7
	v_add_u32_e32 v5, v6, v5
	v_mul_lo_u32 v8, s0, v12
	v_mul_lo_u32 v7, v12, v5
	v_mul_hi_u32 v9, v12, v8
	v_mul_hi_u32 v6, v12, v5
	v_add_co_u32_e32 v7, vcc, v9, v7
	v_addc_co_u32_e32 v6, vcc, 0, v6, vcc
	v_mul_hi_u32 v10, v13, v8
	v_mul_lo_u32 v8, v13, v8
	v_add_co_u32_e32 v7, vcc, v7, v8
	v_mul_hi_u32 v9, v13, v5
	v_addc_co_u32_e32 v6, vcc, v6, v10, vcc
	v_addc_co_u32_e32 v7, vcc, 0, v9, vcc
	v_mul_lo_u32 v5, v13, v5
	v_add_co_u32_e32 v5, vcc, v6, v5
	v_addc_co_u32_e32 v6, vcc, 0, v7, vcc
	v_add_co_u32_e32 v5, vcc, v12, v5
	v_addc_co_u32_e32 v6, vcc, v13, v6, vcc
	v_mul_lo_u32 v7, s0, v6
	v_mul_hi_u32 v8, s0, v5
	v_add_u32_e32 v7, v8, v7
	v_mul_lo_u32 v8, s1, v5
	v_add_u32_e32 v7, v7, v8
	v_mul_lo_u32 v9, s0, v5
	v_mul_hi_u32 v10, v6, v9
	v_mul_lo_u32 v11, v6, v9
	v_mul_lo_u32 v18, v5, v7
	v_mul_hi_u32 v9, v5, v9
	v_mul_hi_u32 v17, v5, v7
	v_add_co_u32_e32 v9, vcc, v9, v18
	v_addc_co_u32_e32 v17, vcc, 0, v17, vcc
	v_add_co_u32_e32 v9, vcc, v9, v11
	v_mul_hi_u32 v8, v6, v7
	v_addc_co_u32_e32 v9, vcc, v17, v10, vcc
	v_addc_co_u32_e32 v8, vcc, 0, v8, vcc
	v_mul_lo_u32 v7, v6, v7
	v_add_co_u32_e32 v7, vcc, v9, v7
	v_addc_co_u32_e32 v8, vcc, 0, v8, vcc
	v_add_co_u32_e32 v5, vcc, v5, v7
	v_addc_co_u32_e32 v8, vcc, v6, v8, vcc
	v_mad_u64_u32 v[6:7], s[0:1], v0, v8, 0
	v_mul_hi_u32 v9, v0, v5
	v_add_co_u32_e32 v10, vcc, v9, v6
	v_addc_co_u32_e32 v11, vcc, 0, v7, vcc
	v_mad_u64_u32 v[6:7], s[0:1], v1, v8, 0
	v_mad_u64_u32 v[8:9], s[0:1], v1, v5, 0
	v_add_co_u32_e32 v5, vcc, v10, v8
	v_addc_co_u32_e32 v5, vcc, v11, v9, vcc
	v_addc_co_u32_e32 v7, vcc, 0, v7, vcc
	v_add_co_u32_e32 v5, vcc, v5, v6
	v_addc_co_u32_e32 v8, vcc, 0, v7, vcc
	v_mul_lo_u32 v9, s3, v5
	v_mul_lo_u32 v10, s2, v8
	v_mad_u64_u32 v[6:7], s[0:1], s2, v5, 0
	v_add3_u32 v7, v7, v10, v9
	v_sub_u32_e32 v9, v1, v7
	v_mov_b32_e32 v10, s3
	v_sub_co_u32_e32 v6, vcc, v0, v6
	v_subb_co_u32_e64 v9, s[0:1], v9, v10, vcc
	v_subrev_co_u32_e64 v10, s[0:1], s2, v6
	v_subbrev_co_u32_e64 v9, s[0:1], 0, v9, s[0:1]
	v_cmp_le_u32_e64 s[0:1], s3, v9
	v_cndmask_b32_e64 v11, 0, -1, s[0:1]
	v_cmp_le_u32_e64 s[0:1], s2, v10
	v_cndmask_b32_e64 v10, 0, -1, s[0:1]
	v_cmp_eq_u32_e64 s[0:1], s3, v9
	v_cndmask_b32_e64 v9, v11, v10, s[0:1]
	v_add_co_u32_e64 v10, s[0:1], 2, v5
	v_addc_co_u32_e64 v11, s[0:1], 0, v8, s[0:1]
	v_add_co_u32_e64 v17, s[0:1], 1, v5
	v_addc_co_u32_e64 v18, s[0:1], 0, v8, s[0:1]
	v_subb_co_u32_e32 v7, vcc, v1, v7, vcc
	v_cmp_ne_u32_e64 s[0:1], 0, v9
	v_cmp_le_u32_e32 vcc, s3, v7
	v_cndmask_b32_e64 v9, v18, v11, s[0:1]
	v_cndmask_b32_e64 v11, 0, -1, vcc
	v_cmp_le_u32_e32 vcc, s2, v6
	v_cndmask_b32_e64 v6, 0, -1, vcc
	v_cmp_eq_u32_e32 vcc, s3, v7
	v_cndmask_b32_e32 v6, v11, v6, vcc
	v_cmp_ne_u32_e32 vcc, 0, v6
	v_cndmask_b32_e64 v6, v17, v10, s[0:1]
	v_cndmask_b32_e32 v7, v8, v9, vcc
	v_cndmask_b32_e32 v6, v5, v6, vcc
.LBB196_5:                              ;   in Loop: Header=BB196_3 Depth=1
	s_andn2_saveexec_b64 s[0:1], s[12:13]
	s_cbranch_execz .LBB196_7
; %bb.6:                                ;   in Loop: Header=BB196_3 Depth=1
	s_sub_i32 s12, 0, s2
	v_mul_lo_u32 v5, s12, v14
	v_mul_hi_u32 v5, v14, v5
	v_add_u32_e32 v5, v14, v5
	v_mul_hi_u32 v5, v0, v5
	v_mul_lo_u32 v6, v5, s2
	v_sub_u32_e32 v6, v0, v6
	v_subrev_u32_e32 v7, s2, v6
	v_cmp_le_u32_e32 vcc, s2, v6
	v_cndmask_b32_e32 v6, v6, v7, vcc
	v_add_u32_e32 v7, 1, v5
	v_cndmask_b32_e32 v5, v5, v7, vcc
	v_add_u32_e32 v7, 1, v5
	v_cmp_le_u32_e32 vcc, s2, v6
	v_cndmask_b32_e32 v6, v5, v7, vcc
	v_mov_b32_e32 v7, v4
.LBB196_7:                              ;   in Loop: Header=BB196_3 Depth=1
	s_or_b64 exec, exec, s[0:1]
	v_mul_lo_u32 v5, v7, s2
	v_mul_lo_u32 v10, v6, s3
	v_mad_u64_u32 v[8:9], s[0:1], v6, s2, 0
	v_add3_u32 v5, v9, v10, v5
	v_sub_co_u32_e32 v8, vcc, v0, v8
	s_cmpk_lt_i32 s20, 0x7a
	v_subb_co_u32_e32 v9, vcc, v1, v5, vcc
	s_cbranch_scc1 .LBB196_10
; %bb.8:                                ;   in Loop: Header=BB196_3 Depth=1
	s_mov_b64 s[0:1], 0
	s_cmpk_eq_i32 s20, 0x7a
	s_mov_b64 s[12:13], 0
                                        ; implicit-def: $vgpr10_vgpr11
	s_cbranch_scc0 .LBB196_11
; %bb.9:                                ;   in Loop: Header=BB196_3 Depth=1
	v_lshlrev_b64 v[10:11], 3, v[8:9]
	v_mov_b32_e32 v5, s24
	v_sub_co_u32_e32 v17, vcc, s21, v10
	v_subb_co_u32_e32 v5, vcc, v5, v11, vcc
	v_cvt_f64_u32_e32 v[10:11], v5
	v_ldexp_f64 v[10:11], v[10:11], 32
	v_cvt_f64_u32_e32 v[18:19], v17
	v_add_f64 v[10:11], v[10:11], v[18:19]
	v_cmp_gt_f64_e32 vcc, s[10:11], v[10:11]
	v_cndmask_b32_e64 v5, 0, 1, vcc
	v_lshlrev_b32_e32 v5, 8, v5
	v_ldexp_f64 v[10:11], v[10:11], v5
	v_rsq_f64_e32 v[18:19], v[10:11]
	v_cndmask_b32_e32 v5, 0, v16, vcc
	v_cmp_class_f64_e32 vcc, v[10:11], v15
	v_mul_f64 v[20:21], v[10:11], v[18:19]
	v_mul_f64 v[18:19], v[18:19], 0.5
	v_fma_f64 v[22:23], -v[18:19], v[20:21], 0.5
	v_fmac_f64_e32 v[20:21], v[20:21], v[22:23]
	v_fma_f64 v[24:25], -v[20:21], v[20:21], v[10:11]
	v_fmac_f64_e32 v[18:19], v[18:19], v[22:23]
	v_fmac_f64_e32 v[20:21], v[24:25], v[18:19]
	v_fma_f64 v[22:23], -v[20:21], v[20:21], v[10:11]
	v_fmac_f64_e32 v[20:21], v[22:23], v[18:19]
	v_ldexp_f64 v[18:19], v[20:21], v5
	v_cndmask_b32_e32 v11, v19, v11, vcc
	v_cndmask_b32_e32 v10, v18, v10, vcc
	v_fma_f64 v[10:11], v[10:11], 0.5, -0.5
	v_floor_f64_e32 v[10:11], v[10:11]
	v_add_f64 v[10:11], v[2:3], -v[10:11]
	v_trunc_f64_e32 v[10:11], v[10:11]
	v_ldexp_f64 v[18:19], v[10:11], s27
	v_floor_f64_e32 v[18:19], v[18:19]
	v_fmac_f64_e32 v[10:11], 0xc1f00000, v[18:19]
	v_cvt_u32_f64_e32 v10, v[10:11]
	v_cvt_u32_f64_e32 v11, v[18:19]
	v_mov_b32_e32 v5, s5
	v_subrev_co_u32_e32 v18, vcc, s4, v8
	v_subb_co_u32_e32 v19, vcc, v9, v5, vcc
	v_mov_b32_e32 v5, s22
	v_sub_co_u32_e32 v17, vcc, s23, v10
	v_subb_co_u32_e32 v5, vcc, v5, v11, vcc
	v_add_co_u32_e32 v20, vcc, -1, v17
	v_addc_co_u32_e32 v21, vcc, -1, v5, vcc
	v_mul_lo_u32 v22, v21, v17
	v_mul_lo_u32 v5, v20, v5
	v_mad_u64_u32 v[20:21], s[12:13], v20, v17, 0
	v_add3_u32 v21, v21, v5, v22
	v_mul_lo_u32 v5, v7, s8
	v_mul_lo_u32 v17, v6, s9
	v_mad_u64_u32 v[22:23], s[12:13], v6, s8, 0
	v_add3_u32 v23, v23, v17, v5
	v_mul_lo_u32 v5, v10, s19
	v_mad_u64_u32 v[24:25], s[12:13], v10, s18, 0
	v_mul_lo_u32 v17, v11, s18
	v_lshlrev_b64 v[22:23], 3, v[22:23]
	v_add3_u32 v25, v25, v5, v17
	v_mov_b32_e32 v5, s15
	v_add_co_u32_e32 v17, vcc, s14, v22
	v_addc_co_u32_e32 v5, vcc, v5, v23, vcc
	v_lshlrev_b64 v[22:23], 3, v[24:25]
	v_add_co_u32_e32 v17, vcc, v17, v22
	v_addc_co_u32_e32 v5, vcc, v5, v23, vcc
	v_lshlrev_b64 v[18:19], 3, v[18:19]
	;; [unrolled: 3-line block ×4, first 2 shown]
	v_and_b32_e32 v10, -8, v10
	v_add_co_u32_e32 v10, vcc, v17, v10
	v_addc_co_u32_e32 v5, vcc, v5, v11, vcc
	v_add_co_u32_e32 v10, vcc, 8, v10
	v_addc_co_u32_e32 v11, vcc, 0, v5, vcc
	s_mov_b64 s[12:13], -1
	s_branch .LBB196_11
.LBB196_10:                             ;   in Loop: Header=BB196_3 Depth=1
	s_mov_b64 s[0:1], -1
	s_mov_b64 s[12:13], 0
                                        ; implicit-def: $vgpr10_vgpr11
.LBB196_11:                             ;   in Loop: Header=BB196_3 Depth=1
	s_and_b64 vcc, exec, s[0:1]
	s_cbranch_vccz .LBB196_14
; %bb.12:                               ;   in Loop: Header=BB196_3 Depth=1
	s_cmpk_eq_i32 s20, 0x79
                                        ; implicit-def: $vgpr10_vgpr11
	s_cbranch_scc0 .LBB196_14
; %bb.13:                               ;   in Loop: Header=BB196_3 Depth=1
	v_lshlrev_b64 v[10:11], 3, v[8:9]
	v_or_b32_e32 v5, 1, v10
	v_cvt_f64_u32_e32 v[10:11], v11
	v_ldexp_f64 v[10:11], v[10:11], 32
	v_cvt_f64_u32_e32 v[18:19], v5
	v_add_f64 v[10:11], v[10:11], v[18:19]
	v_cmp_gt_f64_e32 vcc, s[10:11], v[10:11]
	v_cndmask_b32_e64 v5, 0, 1, vcc
	v_lshlrev_b32_e32 v5, 8, v5
	v_ldexp_f64 v[10:11], v[10:11], v5
	v_rsq_f64_e32 v[18:19], v[10:11]
	v_cndmask_b32_e32 v5, 0, v16, vcc
	v_cmp_class_f64_e32 vcc, v[10:11], v15
	v_mul_lo_u32 v17, v6, s9
	v_mul_f64 v[20:21], v[10:11], v[18:19]
	v_mul_f64 v[18:19], v[18:19], 0.5
	v_fma_f64 v[22:23], -v[18:19], v[20:21], 0.5
	v_fmac_f64_e32 v[20:21], v[20:21], v[22:23]
	v_fma_f64 v[24:25], -v[20:21], v[20:21], v[10:11]
	v_fmac_f64_e32 v[18:19], v[18:19], v[22:23]
	v_fmac_f64_e32 v[20:21], v[24:25], v[18:19]
	v_fma_f64 v[22:23], -v[20:21], v[20:21], v[10:11]
	v_fmac_f64_e32 v[20:21], v[22:23], v[18:19]
	v_ldexp_f64 v[18:19], v[20:21], v5
	v_cndmask_b32_e32 v11, v19, v11, vcc
	v_cndmask_b32_e32 v10, v18, v10, vcc
	v_add_f64 v[10:11], v[10:11], -1.0
	v_mul_f64 v[10:11], v[10:11], 0.5
	v_trunc_f64_e32 v[10:11], v[10:11]
	v_ldexp_f64 v[18:19], v[10:11], s27
	v_floor_f64_e32 v[18:19], v[18:19]
	v_fmac_f64_e32 v[10:11], 0xc1f00000, v[18:19]
	v_cvt_u32_f64_e32 v10, v[10:11]
	v_cvt_u32_f64_e32 v11, v[18:19]
	v_mad_u64_u32 v[18:19], s[0:1], v10, v10, v[10:11]
	v_mul_lo_u32 v5, v10, v11
	v_add3_u32 v19, v5, v19, v5
	v_lshrrev_b64 v[18:19], 1, v[18:19]
	v_sub_co_u32_e32 v8, vcc, v8, v18
	v_mul_lo_u32 v5, v7, s8
	v_mad_u64_u32 v[6:7], s[0:1], v6, s8, 0
	v_subb_co_u32_e32 v9, vcc, v9, v19, vcc
	v_add3_u32 v7, v7, v17, v5
	v_pk_mov_b32 v[18:19], s[18:19], s[18:19] op_sel:[0,1]
	v_mul_lo_u32 v5, s19, v10
	v_mad_u64_u32 v[18:19], s[0:1], s18, v10, v[18:19]
	v_mul_lo_u32 v10, s18, v11
	v_lshlrev_b64 v[6:7], 3, v[6:7]
	v_add3_u32 v19, v5, v19, v10
	v_mov_b32_e32 v5, s15
	v_add_co_u32_e32 v10, vcc, s14, v6
	v_addc_co_u32_e32 v5, vcc, v5, v7, vcc
	v_lshlrev_b64 v[6:7], 3, v[18:19]
	v_add_co_u32_e32 v10, vcc, v10, v6
	v_addc_co_u32_e32 v5, vcc, v5, v7, vcc
	v_lshlrev_b64 v[6:7], 3, v[8:9]
	v_add_co_u32_e32 v10, vcc, v10, v6
	v_addc_co_u32_e32 v11, vcc, v5, v7, vcc
	s_mov_b64 s[12:13], -1
.LBB196_14:                             ;   in Loop: Header=BB196_3 Depth=1
	s_and_b64 vcc, exec, s[12:13]
	s_cbranch_vccz .LBB196_2
; %bb.15:                               ;   in Loop: Header=BB196_3 Depth=1
	v_mov_b32_e32 v5, v4
	global_store_dwordx2 v[10:11], v[4:5], off
	s_branch .LBB196_2
.LBB196_16:
	s_endpgm
	.section	.rodata,"a",@progbits
	.p2align	6, 0x0
	.amdhsa_kernel _ZL18rocblas_trtri_fillILi128E19rocblas_complex_numIfEPS1_EvP15_rocblas_handle13rocblas_fill_ililT1_llii
		.amdhsa_group_segment_fixed_size 0
		.amdhsa_private_segment_fixed_size 0
		.amdhsa_kernarg_size 328
		.amdhsa_user_sgpr_count 6
		.amdhsa_user_sgpr_private_segment_buffer 1
		.amdhsa_user_sgpr_dispatch_ptr 0
		.amdhsa_user_sgpr_queue_ptr 0
		.amdhsa_user_sgpr_kernarg_segment_ptr 1
		.amdhsa_user_sgpr_dispatch_id 0
		.amdhsa_user_sgpr_flat_scratch_init 0
		.amdhsa_user_sgpr_kernarg_preload_length 0
		.amdhsa_user_sgpr_kernarg_preload_offset 0
		.amdhsa_user_sgpr_private_segment_size 0
		.amdhsa_uses_dynamic_stack 0
		.amdhsa_system_sgpr_private_segment_wavefront_offset 0
		.amdhsa_system_sgpr_workgroup_id_x 1
		.amdhsa_system_sgpr_workgroup_id_y 0
		.amdhsa_system_sgpr_workgroup_id_z 1
		.amdhsa_system_sgpr_workgroup_info 0
		.amdhsa_system_vgpr_workitem_id 0
		.amdhsa_next_free_vgpr 26
		.amdhsa_next_free_sgpr 28
		.amdhsa_accum_offset 28
		.amdhsa_reserve_vcc 1
		.amdhsa_reserve_flat_scratch 0
		.amdhsa_float_round_mode_32 0
		.amdhsa_float_round_mode_16_64 0
		.amdhsa_float_denorm_mode_32 3
		.amdhsa_float_denorm_mode_16_64 3
		.amdhsa_dx10_clamp 1
		.amdhsa_ieee_mode 1
		.amdhsa_fp16_overflow 0
		.amdhsa_tg_split 0
		.amdhsa_exception_fp_ieee_invalid_op 0
		.amdhsa_exception_fp_denorm_src 0
		.amdhsa_exception_fp_ieee_div_zero 0
		.amdhsa_exception_fp_ieee_overflow 0
		.amdhsa_exception_fp_ieee_underflow 0
		.amdhsa_exception_fp_ieee_inexact 0
		.amdhsa_exception_int_div_zero 0
	.end_amdhsa_kernel
	.section	.text._ZL18rocblas_trtri_fillILi128E19rocblas_complex_numIfEPS1_EvP15_rocblas_handle13rocblas_fill_ililT1_llii,"axG",@progbits,_ZL18rocblas_trtri_fillILi128E19rocblas_complex_numIfEPS1_EvP15_rocblas_handle13rocblas_fill_ililT1_llii,comdat
.Lfunc_end196:
	.size	_ZL18rocblas_trtri_fillILi128E19rocblas_complex_numIfEPS1_EvP15_rocblas_handle13rocblas_fill_ililT1_llii, .Lfunc_end196-_ZL18rocblas_trtri_fillILi128E19rocblas_complex_numIfEPS1_EvP15_rocblas_handle13rocblas_fill_ililT1_llii
                                        ; -- End function
	.section	.AMDGPU.csdata,"",@progbits
; Kernel info:
; codeLenInByte = 1952
; NumSgprs: 32
; NumVgprs: 26
; NumAgprs: 0
; TotalNumVgprs: 26
; ScratchSize: 0
; MemoryBound: 0
; FloatMode: 240
; IeeeMode: 1
; LDSByteSize: 0 bytes/workgroup (compile time only)
; SGPRBlocks: 3
; VGPRBlocks: 3
; NumSGPRsForWavesPerEU: 32
; NumVGPRsForWavesPerEU: 26
; AccumOffset: 28
; Occupancy: 8
; WaveLimiterHint : 0
; COMPUTE_PGM_RSRC2:SCRATCH_EN: 0
; COMPUTE_PGM_RSRC2:USER_SGPR: 6
; COMPUTE_PGM_RSRC2:TRAP_HANDLER: 0
; COMPUTE_PGM_RSRC2:TGID_X_EN: 1
; COMPUTE_PGM_RSRC2:TGID_Y_EN: 0
; COMPUTE_PGM_RSRC2:TGID_Z_EN: 1
; COMPUTE_PGM_RSRC2:TIDIG_COMP_CNT: 0
; COMPUTE_PGM_RSRC3_GFX90A:ACCUM_OFFSET: 6
; COMPUTE_PGM_RSRC3_GFX90A:TG_SPLIT: 0
	.section	.text._ZL24rocblas_copy_matrix_trsmILi128ELi8E19rocblas_complex_numIfEPKS1_PS1_EviiiT2_ilT3_illli,"axG",@progbits,_ZL24rocblas_copy_matrix_trsmILi128ELi8E19rocblas_complex_numIfEPKS1_PS1_EviiiT2_ilT3_illli,comdat
	.globl	_ZL24rocblas_copy_matrix_trsmILi128ELi8E19rocblas_complex_numIfEPKS1_PS1_EviiiT2_ilT3_illli ; -- Begin function _ZL24rocblas_copy_matrix_trsmILi128ELi8E19rocblas_complex_numIfEPKS1_PS1_EviiiT2_ilT3_illli
	.p2align	8
	.type	_ZL24rocblas_copy_matrix_trsmILi128ELi8E19rocblas_complex_numIfEPKS1_PS1_EviiiT2_ilT3_illli,@function
_ZL24rocblas_copy_matrix_trsmILi128ELi8E19rocblas_complex_numIfEPKS1_PS1_EviiiT2_ilT3_illli: ; @_ZL24rocblas_copy_matrix_trsmILi128ELi8E19rocblas_complex_numIfEPKS1_PS1_EviiiT2_ilT3_illli
; %bb.0:
	s_load_dwordx2 s[0:1], s[4:5], 0x0
	v_and_b32_e32 v1, 0x3ff, v0
	v_mov_b32_e32 v3, 0
	v_bfe_u32 v0, v0, 10, 10
	v_lshl_add_u32 v2, s6, 7, v1
	v_lshl_add_u32 v0, s7, 3, v0
	v_mov_b32_e32 v1, v3
	s_waitcnt lgkmcnt(0)
	s_ashr_i32 s7, s1, 31
	s_mov_b32 s6, s1
	s_ashr_i32 s1, s0, 31
	v_cmp_gt_u64_e32 vcc, s[0:1], v[2:3]
	v_cmp_gt_u64_e64 s[0:1], s[6:7], v[0:1]
	s_mov_b32 s9, 0
	s_and_b64 s[0:1], vcc, s[0:1]
	s_and_saveexec_b64 s[2:3], s[0:1]
	s_cbranch_execz .LBB197_3
; %bb.1:
	s_load_dwordx2 s[16:17], s[4:5], 0x10
	s_load_dword s11, s[4:5], 0x18
	s_load_dwordx4 s[0:3], s[4:5], 0x20
	s_load_dword s20, s[4:5], 0x30
	s_load_dword s10, s[4:5], 0x5c
	s_load_dwordx4 s[12:15], s[4:5], 0x38
	s_load_dwordx2 s[18:19], s[4:5], 0x48
	s_waitcnt lgkmcnt(0)
	s_ashr_i32 s21, s11, 31
	s_ashr_i32 s22, s20, 31
	s_lshl_b32 s10, s10, 3
	s_mul_i32 s4, s13, s8
	s_mul_hi_u32 s5, s12, s8
	s_add_i32 s5, s5, s4
	s_mul_i32 s4, s12, s8
	v_mad_u64_u32 v[4:5], s[12:13], s20, v0, 0
	v_mov_b32_e32 v6, v5
	v_mad_u64_u32 v[6:7], s[12:13], s22, v0, v[6:7]
	s_lshl_b64 s[4:5], s[4:5], 3
	s_lshl_b64 s[12:13], s[18:19], 3
	v_mov_b32_e32 v5, v6
	s_add_u32 s4, s12, s4
	v_lshlrev_b64 v[4:5], 3, v[4:5]
	s_addc_u32 s5, s13, s5
	v_mov_b32_e32 v6, s5
	v_add_co_u32_e32 v7, vcc, s4, v4
	v_addc_co_u32_e32 v6, vcc, v6, v5, vcc
	v_lshlrev_b64 v[4:5], 3, v[2:3]
	v_add_co_u32_e32 v2, vcc, v7, v4
	v_addc_co_u32_e32 v3, vcc, v6, v5, vcc
	v_mov_b32_e32 v6, s3
	v_add_co_u32_e32 v2, vcc, s2, v2
	s_mul_i32 s1, s1, s8
	s_mul_hi_u32 s4, s0, s8
	v_addc_co_u32_e32 v3, vcc, v6, v3, vcc
	s_add_i32 s1, s4, s1
	v_mad_u64_u32 v[6:7], s[4:5], s11, v0, 0
	s_mul_i32 s22, s22, s10
	s_mul_hi_u32 s2, s20, s10
	v_mov_b32_e32 v8, v7
	s_add_i32 s3, s2, s22
	s_mul_i32 s2, s20, s10
	s_mul_i32 s0, s0, s8
	v_mad_u64_u32 v[8:9], s[4:5], s21, v0, v[8:9]
	s_lshl_b64 s[2:3], s[2:3], 3
	s_lshl_b64 s[0:1], s[0:1], 3
	;; [unrolled: 1-line block ×3, first 2 shown]
	v_mov_b32_e32 v7, v8
	s_add_u32 s0, s4, s0
	v_lshlrev_b64 v[6:7], 3, v[6:7]
	s_addc_u32 s1, s5, s1
	v_mov_b32_e32 v8, s1
	v_add_co_u32_e32 v6, vcc, s0, v6
	v_addc_co_u32_e32 v7, vcc, v8, v7, vcc
	v_add_co_u32_e32 v4, vcc, v6, v4
	s_mul_i32 s21, s21, s10
	s_mul_hi_u32 s0, s11, s10
	v_addc_co_u32_e32 v5, vcc, v7, v5, vcc
	s_add_i32 s1, s0, s21
	s_mul_i32 s0, s11, s10
	v_mov_b32_e32 v6, s17
	v_add_co_u32_e32 v4, vcc, s16, v4
	s_lshl_b64 s[0:1], s[0:1], 3
	v_addc_co_u32_e32 v5, vcc, v6, v5, vcc
	s_mov_b64 s[4:5], 0
	v_mov_b32_e32 v6, s9
	v_mov_b32_e32 v7, s3
	;; [unrolled: 1-line block ×3, first 2 shown]
.LBB197_2:                              ; =>This Inner Loop Header: Depth=1
	global_load_dwordx2 v[10:11], v[4:5], off
	v_add_co_u32_e32 v0, vcc, s10, v0
	v_addc_co_u32_e32 v1, vcc, v1, v6, vcc
	v_add_co_u32_e32 v4, vcc, s0, v4
	v_addc_co_u32_e32 v5, vcc, v5, v8, vcc
	v_cmp_le_u64_e32 vcc, s[6:7], v[0:1]
	s_or_b64 s[4:5], vcc, s[4:5]
	s_waitcnt vmcnt(0)
	global_store_dwordx2 v[2:3], v[10:11], off
	v_add_co_u32_e32 v2, vcc, s2, v2
	v_addc_co_u32_e32 v3, vcc, v3, v7, vcc
	s_andn2_b64 exec, exec, s[4:5]
	s_cbranch_execnz .LBB197_2
.LBB197_3:
	s_endpgm
	.section	.rodata,"a",@progbits
	.p2align	6, 0x0
	.amdhsa_kernel _ZL24rocblas_copy_matrix_trsmILi128ELi8E19rocblas_complex_numIfEPKS1_PS1_EviiiT2_ilT3_illli
		.amdhsa_group_segment_fixed_size 0
		.amdhsa_private_segment_fixed_size 0
		.amdhsa_kernarg_size 344
		.amdhsa_user_sgpr_count 6
		.amdhsa_user_sgpr_private_segment_buffer 1
		.amdhsa_user_sgpr_dispatch_ptr 0
		.amdhsa_user_sgpr_queue_ptr 0
		.amdhsa_user_sgpr_kernarg_segment_ptr 1
		.amdhsa_user_sgpr_dispatch_id 0
		.amdhsa_user_sgpr_flat_scratch_init 0
		.amdhsa_user_sgpr_kernarg_preload_length 0
		.amdhsa_user_sgpr_kernarg_preload_offset 0
		.amdhsa_user_sgpr_private_segment_size 0
		.amdhsa_uses_dynamic_stack 0
		.amdhsa_system_sgpr_private_segment_wavefront_offset 0
		.amdhsa_system_sgpr_workgroup_id_x 1
		.amdhsa_system_sgpr_workgroup_id_y 1
		.amdhsa_system_sgpr_workgroup_id_z 1
		.amdhsa_system_sgpr_workgroup_info 0
		.amdhsa_system_vgpr_workitem_id 1
		.amdhsa_next_free_vgpr 12
		.amdhsa_next_free_sgpr 23
		.amdhsa_accum_offset 12
		.amdhsa_reserve_vcc 1
		.amdhsa_reserve_flat_scratch 0
		.amdhsa_float_round_mode_32 0
		.amdhsa_float_round_mode_16_64 0
		.amdhsa_float_denorm_mode_32 3
		.amdhsa_float_denorm_mode_16_64 3
		.amdhsa_dx10_clamp 1
		.amdhsa_ieee_mode 1
		.amdhsa_fp16_overflow 0
		.amdhsa_tg_split 0
		.amdhsa_exception_fp_ieee_invalid_op 0
		.amdhsa_exception_fp_denorm_src 0
		.amdhsa_exception_fp_ieee_div_zero 0
		.amdhsa_exception_fp_ieee_overflow 0
		.amdhsa_exception_fp_ieee_underflow 0
		.amdhsa_exception_fp_ieee_inexact 0
		.amdhsa_exception_int_div_zero 0
	.end_amdhsa_kernel
	.section	.text._ZL24rocblas_copy_matrix_trsmILi128ELi8E19rocblas_complex_numIfEPKS1_PS1_EviiiT2_ilT3_illli,"axG",@progbits,_ZL24rocblas_copy_matrix_trsmILi128ELi8E19rocblas_complex_numIfEPKS1_PS1_EviiiT2_ilT3_illli,comdat
.Lfunc_end197:
	.size	_ZL24rocblas_copy_matrix_trsmILi128ELi8E19rocblas_complex_numIfEPKS1_PS1_EviiiT2_ilT3_illli, .Lfunc_end197-_ZL24rocblas_copy_matrix_trsmILi128ELi8E19rocblas_complex_numIfEPKS1_PS1_EviiiT2_ilT3_illli
                                        ; -- End function
	.section	.AMDGPU.csdata,"",@progbits
; Kernel info:
; codeLenInByte = 484
; NumSgprs: 27
; NumVgprs: 12
; NumAgprs: 0
; TotalNumVgprs: 12
; ScratchSize: 0
; MemoryBound: 0
; FloatMode: 240
; IeeeMode: 1
; LDSByteSize: 0 bytes/workgroup (compile time only)
; SGPRBlocks: 3
; VGPRBlocks: 1
; NumSGPRsForWavesPerEU: 27
; NumVGPRsForWavesPerEU: 12
; AccumOffset: 12
; Occupancy: 8
; WaveLimiterHint : 0
; COMPUTE_PGM_RSRC2:SCRATCH_EN: 0
; COMPUTE_PGM_RSRC2:USER_SGPR: 6
; COMPUTE_PGM_RSRC2:TRAP_HANDLER: 0
; COMPUTE_PGM_RSRC2:TGID_X_EN: 1
; COMPUTE_PGM_RSRC2:TGID_Y_EN: 1
; COMPUTE_PGM_RSRC2:TGID_Z_EN: 1
; COMPUTE_PGM_RSRC2:TIDIG_COMP_CNT: 1
; COMPUTE_PGM_RSRC3_GFX90A:ACCUM_OFFSET: 2
; COMPUTE_PGM_RSRC3_GFX90A:TG_SPLIT: 0
	.section	.text._ZL23rocblas_set_matrix_trsmILi128ELi8E19rocblas_complex_numIdEPS1_EvlliT2_llT1_li,"axG",@progbits,_ZL23rocblas_set_matrix_trsmILi128ELi8E19rocblas_complex_numIdEPS1_EvlliT2_llT1_li,comdat
	.globl	_ZL23rocblas_set_matrix_trsmILi128ELi8E19rocblas_complex_numIdEPS1_EvlliT2_llT1_li ; -- Begin function _ZL23rocblas_set_matrix_trsmILi128ELi8E19rocblas_complex_numIdEPS1_EvlliT2_llT1_li
	.p2align	8
	.type	_ZL23rocblas_set_matrix_trsmILi128ELi8E19rocblas_complex_numIdEPS1_EvlliT2_llT1_li,@function
_ZL23rocblas_set_matrix_trsmILi128ELi8E19rocblas_complex_numIdEPS1_EvlliT2_llT1_li: ; @_ZL23rocblas_set_matrix_trsmILi128ELi8E19rocblas_complex_numIdEPS1_EvlliT2_llT1_li
; %bb.0:
	s_load_dwordx4 s[0:3], s[4:5], 0x0
	v_and_b32_e32 v1, 0x3ff, v0
	v_mov_b32_e32 v3, 0
	v_bfe_u32 v0, v0, 10, 10
	v_lshl_add_u32 v2, s6, 7, v1
	v_lshl_add_u32 v0, s7, 3, v0
	v_mov_b32_e32 v1, v3
	s_waitcnt lgkmcnt(0)
	v_cmp_gt_u64_e32 vcc, s[0:1], v[2:3]
	v_cmp_gt_u64_e64 s[0:1], s[2:3], v[0:1]
	s_and_b64 s[0:1], vcc, s[0:1]
	s_and_saveexec_b64 s[2:3], s[0:1]
	s_cbranch_execz .LBB198_2
; %bb.1:
	s_load_dwordx2 s[6:7], s[4:5], 0x28
	s_load_dwordx4 s[0:3], s[4:5], 0x18
	s_load_dwordx2 s[10:11], s[4:5], 0x40
	s_waitcnt lgkmcnt(0)
	s_mul_i32 s5, s8, s7
	s_mul_hi_u32 s7, s8, s6
	s_mul_i32 s4, s8, s6
	s_add_i32 s5, s7, s5
	s_lshl_b64 s[4:5], s[4:5], 4
	s_add_u32 s4, s0, s4
	s_addc_u32 s5, s1, s5
	s_lshl_b64 s[0:1], s[10:11], 4
	s_add_u32 s4, s4, s0
	s_addc_u32 s5, s5, s1
	v_mad_u64_u32 v[4:5], s[0:1], v0, s2, 0
	v_mov_b32_e32 v6, v5
	v_mad_u64_u32 v[0:1], s[0:1], v0, s3, v[6:7]
	v_mov_b32_e32 v5, v0
	v_lshlrev_b64 v[0:1], 4, v[4:5]
	v_mov_b32_e32 v4, s5
	v_add_co_u32_e32 v5, vcc, s4, v0
	v_addc_co_u32_e32 v4, vcc, v4, v1, vcc
	v_lshlrev_b64 v[0:1], 4, v[2:3]
	v_add_co_u32_e32 v0, vcc, v5, v0
	v_addc_co_u32_e32 v1, vcc, v4, v1, vcc
	v_mov_b32_e32 v2, v3
	v_mov_b32_e32 v4, v3
	;; [unrolled: 1-line block ×3, first 2 shown]
	global_store_dwordx4 v[0:1], v[2:5], off
.LBB198_2:
	s_endpgm
	.section	.rodata,"a",@progbits
	.p2align	6, 0x0
	.amdhsa_kernel _ZL23rocblas_set_matrix_trsmILi128ELi8E19rocblas_complex_numIdEPS1_EvlliT2_llT1_li
		.amdhsa_group_segment_fixed_size 0
		.amdhsa_private_segment_fixed_size 0
		.amdhsa_kernarg_size 76
		.amdhsa_user_sgpr_count 6
		.amdhsa_user_sgpr_private_segment_buffer 1
		.amdhsa_user_sgpr_dispatch_ptr 0
		.amdhsa_user_sgpr_queue_ptr 0
		.amdhsa_user_sgpr_kernarg_segment_ptr 1
		.amdhsa_user_sgpr_dispatch_id 0
		.amdhsa_user_sgpr_flat_scratch_init 0
		.amdhsa_user_sgpr_kernarg_preload_length 0
		.amdhsa_user_sgpr_kernarg_preload_offset 0
		.amdhsa_user_sgpr_private_segment_size 0
		.amdhsa_uses_dynamic_stack 0
		.amdhsa_system_sgpr_private_segment_wavefront_offset 0
		.amdhsa_system_sgpr_workgroup_id_x 1
		.amdhsa_system_sgpr_workgroup_id_y 1
		.amdhsa_system_sgpr_workgroup_id_z 1
		.amdhsa_system_sgpr_workgroup_info 0
		.amdhsa_system_vgpr_workitem_id 1
		.amdhsa_next_free_vgpr 8
		.amdhsa_next_free_sgpr 12
		.amdhsa_accum_offset 8
		.amdhsa_reserve_vcc 1
		.amdhsa_reserve_flat_scratch 0
		.amdhsa_float_round_mode_32 0
		.amdhsa_float_round_mode_16_64 0
		.amdhsa_float_denorm_mode_32 3
		.amdhsa_float_denorm_mode_16_64 3
		.amdhsa_dx10_clamp 1
		.amdhsa_ieee_mode 1
		.amdhsa_fp16_overflow 0
		.amdhsa_tg_split 0
		.amdhsa_exception_fp_ieee_invalid_op 0
		.amdhsa_exception_fp_denorm_src 0
		.amdhsa_exception_fp_ieee_div_zero 0
		.amdhsa_exception_fp_ieee_overflow 0
		.amdhsa_exception_fp_ieee_underflow 0
		.amdhsa_exception_fp_ieee_inexact 0
		.amdhsa_exception_int_div_zero 0
	.end_amdhsa_kernel
	.section	.text._ZL23rocblas_set_matrix_trsmILi128ELi8E19rocblas_complex_numIdEPS1_EvlliT2_llT1_li,"axG",@progbits,_ZL23rocblas_set_matrix_trsmILi128ELi8E19rocblas_complex_numIdEPS1_EvlliT2_llT1_li,comdat
.Lfunc_end198:
	.size	_ZL23rocblas_set_matrix_trsmILi128ELi8E19rocblas_complex_numIdEPS1_EvlliT2_llT1_li, .Lfunc_end198-_ZL23rocblas_set_matrix_trsmILi128ELi8E19rocblas_complex_numIdEPS1_EvlliT2_llT1_li
                                        ; -- End function
	.section	.AMDGPU.csdata,"",@progbits
; Kernel info:
; codeLenInByte = 228
; NumSgprs: 16
; NumVgprs: 8
; NumAgprs: 0
; TotalNumVgprs: 8
; ScratchSize: 0
; MemoryBound: 0
; FloatMode: 240
; IeeeMode: 1
; LDSByteSize: 0 bytes/workgroup (compile time only)
; SGPRBlocks: 1
; VGPRBlocks: 0
; NumSGPRsForWavesPerEU: 16
; NumVGPRsForWavesPerEU: 8
; AccumOffset: 8
; Occupancy: 8
; WaveLimiterHint : 0
; COMPUTE_PGM_RSRC2:SCRATCH_EN: 0
; COMPUTE_PGM_RSRC2:USER_SGPR: 6
; COMPUTE_PGM_RSRC2:TRAP_HANDLER: 0
; COMPUTE_PGM_RSRC2:TGID_X_EN: 1
; COMPUTE_PGM_RSRC2:TGID_Y_EN: 1
; COMPUTE_PGM_RSRC2:TGID_Z_EN: 1
; COMPUTE_PGM_RSRC2:TIDIG_COMP_CNT: 1
; COMPUTE_PGM_RSRC3_GFX90A:ACCUM_OFFSET: 1
; COMPUTE_PGM_RSRC3_GFX90A:TG_SPLIT: 0
	.section	.text._ZL38rocblas_trsm_small_left_device_sharedBILi4ELi4ELb0E19rocblas_complex_numIdES1_PKS1_PS1_Ev13rocblas_fill_18rocblas_operation_17rocblas_diagonal_iiT3_T4_lilT5_lili,"axG",@progbits,_ZL38rocblas_trsm_small_left_device_sharedBILi4ELi4ELb0E19rocblas_complex_numIdES1_PKS1_PS1_Ev13rocblas_fill_18rocblas_operation_17rocblas_diagonal_iiT3_T4_lilT5_lili,comdat
	.globl	_ZL38rocblas_trsm_small_left_device_sharedBILi4ELi4ELb0E19rocblas_complex_numIdES1_PKS1_PS1_Ev13rocblas_fill_18rocblas_operation_17rocblas_diagonal_iiT3_T4_lilT5_lili ; -- Begin function _ZL38rocblas_trsm_small_left_device_sharedBILi4ELi4ELb0E19rocblas_complex_numIdES1_PKS1_PS1_Ev13rocblas_fill_18rocblas_operation_17rocblas_diagonal_iiT3_T4_lilT5_lili
	.p2align	8
	.type	_ZL38rocblas_trsm_small_left_device_sharedBILi4ELi4ELb0E19rocblas_complex_numIdES1_PKS1_PS1_Ev13rocblas_fill_18rocblas_operation_17rocblas_diagonal_iiT3_T4_lilT5_lili,@function
_ZL38rocblas_trsm_small_left_device_sharedBILi4ELi4ELb0E19rocblas_complex_numIdES1_PKS1_PS1_Ev13rocblas_fill_18rocblas_operation_17rocblas_diagonal_iiT3_T4_lilT5_lili: ; @_ZL38rocblas_trsm_small_left_device_sharedBILi4ELi4ELb0E19rocblas_complex_numIdES1_PKS1_PS1_Ev13rocblas_fill_18rocblas_operation_17rocblas_diagonal_iiT3_T4_lilT5_lili
; %bb.0:
	s_load_dwordx4 s[20:23], s[6:7], 0x4
	s_load_dwordx8 s[12:19], s[6:7], 0x18
	s_load_dwordx4 s[0:3], s[6:7], 0x40
	s_load_dwordx2 s[10:11], s[6:7], 0x50
	s_load_dword s37, s[6:7], 0x70
	v_and_b32_e32 v10, 0x3ff, v0
	s_waitcnt lgkmcnt(0)
	s_min_i32 s33, s22, 4
	s_mov_b32 s38, 0
	s_add_i32 s36, s33, -1
	v_cmp_gt_i32_e32 vcc, s33, v10
	s_and_saveexec_b64 s[24:25], vcc
	s_cbranch_execz .LBB199_15
; %bb.1:
	s_load_dword s26, s[6:7], 0x38
	s_mul_i32 s39, s1, s9
	s_mul_hi_u32 s40, s0, s9
	s_mul_i32 s28, s0, s9
	s_waitcnt lgkmcnt(0)
	s_ashr_i32 s27, s26, 31
	s_cmpk_eq_i32 s20, 0x71
	s_cselect_b64 vcc, -1, 0
	s_cmp_lt_u32 s36, 3
	s_cbranch_scc1 .LBB199_4
; %bb.2:
	s_add_i32 s29, s40, s39
	s_and_b32 s38, s33, -4
	s_lshl_b64 s[0:1], s[28:29], 4
	s_lshl_b64 s[30:31], s[18:19], 4
	s_add_u32 s0, s0, s30
	s_addc_u32 s1, s1, s31
	s_add_u32 s0, s16, s0
	v_lshlrev_b32_e32 v2, 4, v10
	s_addc_u32 s1, s17, s1
	v_mov_b32_e32 v3, s1
	v_add_co_u32_e64 v2, s[0:1], s0, v2
	v_addc_co_u32_e64 v3, s[0:1], 0, v3, s[0:1]
	v_add_co_u32_e64 v2, s[0:1], 8, v2
	s_lshl_b64 s[30:31], s[26:27], 6
	s_lshl_b64 s[34:35], s[26:27], 4
	v_lshlrev_b32_e32 v1, 4, v10
	v_addc_co_u32_e64 v3, s[0:1], 0, v3, s[0:1]
	s_mov_b32 s29, 0
	v_mov_b32_e32 v4, s35
	v_mov_b32_e32 v5, s31
.LBB199_3:                              ; =>This Inner Loop Header: Depth=1
	v_add_co_u32_e64 v20, s[0:1], s34, v2
	v_addc_co_u32_e64 v21, s[0:1], v3, v4, s[0:1]
	v_add_co_u32_e64 v22, s[0:1], s34, v20
	global_load_dwordx4 v[6:9], v[2:3], off offset:-8
	v_addc_co_u32_e64 v23, s[0:1], v21, v4, s[0:1]
	global_load_dwordx4 v[12:15], v[20:21], off offset:-8
	global_load_dwordx4 v[16:19], v[22:23], off offset:-8
	v_add_co_u32_e64 v20, s[0:1], s34, v22
	v_addc_co_u32_e64 v21, s[0:1], v23, v4, s[0:1]
	global_load_dwordx4 v[20:23], v[20:21], off offset:-8
	s_add_i32 s29, s29, 4
	v_add_co_u32_e64 v2, s[0:1], s30, v2
	s_cmp_eq_u32 s38, s29
	v_addc_co_u32_e64 v3, s[0:1], v3, v5, s[0:1]
	s_waitcnt vmcnt(3)
	v_xor_b32_e32 v11, 0x80000000, v9
	v_cndmask_b32_e32 v9, v9, v11, vcc
	ds_write_b128 v1, v[6:9]
	s_waitcnt vmcnt(1)
	v_xor_b32_e32 v6, 0x80000000, v19
	v_xor_b32_e32 v11, 0x80000000, v15
	v_cndmask_b32_e32 v19, v19, v6, vcc
	v_cndmask_b32_e32 v15, v15, v11, vcc
	ds_write_b128 v1, v[12:15] offset:64
	s_waitcnt vmcnt(0)
	v_xor_b32_e32 v6, 0x80000000, v23
	v_cndmask_b32_e32 v23, v23, v6, vcc
	ds_write_b128 v1, v[16:19] offset:128
	ds_write_b128 v1, v[20:23] offset:192
	v_add_u32_e32 v1, 0x100, v1
	s_cbranch_scc0 .LBB199_3
.LBB199_4:
	s_and_b32 s30, s33, 3
	s_cmp_eq_u32 s30, 0
	s_cbranch_scc1 .LBB199_7
; %bb.5:
	s_add_i32 s29, s40, s39
	s_lshl_b64 s[0:1], s[28:29], 4
	s_mul_i32 s28, s27, s38
	s_mul_hi_u32 s29, s26, s38
	s_add_i32 s29, s29, s28
	s_mul_i32 s28, s26, s38
	s_lshl_b64 s[28:29], s[28:29], 4
	s_add_u32 s28, s0, s28
	s_addc_u32 s29, s1, s29
	s_lshl_b64 s[0:1], s[18:19], 4
	s_add_u32 s0, s28, s0
	s_addc_u32 s1, s29, s1
	s_add_u32 s0, s16, s0
	v_lshlrev_b32_e32 v2, 4, v10
	s_addc_u32 s1, s17, s1
	v_lshl_or_b32 v1, s38, 6, v2
	v_mov_b32_e32 v3, s1
	v_add_co_u32_e64 v2, s[0:1], s0, v2
	v_addc_co_u32_e64 v3, s[0:1], 0, v3, s[0:1]
	v_add_co_u32_e64 v2, s[0:1], 8, v2
	s_lshl_b64 s[16:17], s[26:27], 4
	v_addc_co_u32_e64 v3, s[0:1], 0, v3, s[0:1]
	v_mov_b32_e32 v4, s17
.LBB199_6:                              ; =>This Inner Loop Header: Depth=1
	global_load_dwordx4 v[6:9], v[2:3], off offset:-8
	v_add_co_u32_e64 v2, s[0:1], s16, v2
	s_add_i32 s30, s30, -1
	v_addc_co_u32_e64 v3, s[0:1], v3, v4, s[0:1]
	s_cmp_lg_u32 s30, 0
	s_waitcnt vmcnt(0)
	v_xor_b32_e32 v5, 0x80000000, v9
	v_cndmask_b32_e32 v9, v9, v5, vcc
	ds_write_b128 v1, v[6:9]
	v_add_u32_e32 v1, 64, v1
	s_cbranch_scc1 .LBB199_6
.LBB199_7:
	v_mul_u32_u24_e32 v1, 5, v10
	s_cmpk_lg_i32 s21, 0x84
	v_lshlrev_b32_e32 v1, 4, v1
	s_cbranch_scc0 .LBB199_13
; %bb.8:
	ds_read_b128 v[2:5], v1
	s_waitcnt lgkmcnt(0)
	v_xor_b32_e32 v7, 0x80000000, v3
	v_cmp_gt_f64_e32 vcc, 0, v[2:3]
	v_xor_b32_e32 v8, 0x80000000, v5
	v_cndmask_b32_e32 v7, v3, v7, vcc
	v_cmp_gt_f64_e32 vcc, 0, v[4:5]
	v_mov_b32_e32 v6, v2
	v_cndmask_b32_e32 v9, v5, v8, vcc
	v_mov_b32_e32 v8, v4
	v_cmp_ngt_f64_e32 vcc, v[6:7], v[8:9]
                                        ; implicit-def: $vgpr8_vgpr9
	s_and_saveexec_b64 s[0:1], vcc
	s_xor_b64 s[0:1], exec, s[0:1]
	s_cbranch_execz .LBB199_10
; %bb.9:
	v_div_scale_f64 v[6:7], s[16:17], v[4:5], v[4:5], v[2:3]
	v_rcp_f64_e32 v[8:9], v[6:7]
	v_div_scale_f64 v[12:13], vcc, v[2:3], v[4:5], v[2:3]
	v_fma_f64 v[14:15], -v[6:7], v[8:9], 1.0
	v_fmac_f64_e32 v[8:9], v[8:9], v[14:15]
	v_fma_f64 v[14:15], -v[6:7], v[8:9], 1.0
	v_fmac_f64_e32 v[8:9], v[8:9], v[14:15]
	v_mul_f64 v[14:15], v[12:13], v[8:9]
	v_fma_f64 v[6:7], -v[6:7], v[14:15], v[12:13]
	v_div_fmas_f64 v[6:7], v[6:7], v[8:9], v[14:15]
	v_div_fixup_f64 v[8:9], v[6:7], v[4:5], v[2:3]
	v_fmac_f64_e32 v[4:5], v[2:3], v[8:9]
	v_div_scale_f64 v[2:3], s[16:17], v[4:5], v[4:5], 1.0
	v_rcp_f64_e32 v[6:7], v[2:3]
	v_fma_f64 v[12:13], -v[2:3], v[6:7], 1.0
	v_fmac_f64_e32 v[6:7], v[6:7], v[12:13]
	v_fma_f64 v[12:13], -v[2:3], v[6:7], 1.0
	v_fmac_f64_e32 v[6:7], v[6:7], v[12:13]
	v_div_scale_f64 v[12:13], vcc, 1.0, v[4:5], 1.0
	v_mul_f64 v[14:15], v[12:13], v[6:7]
	v_fma_f64 v[2:3], -v[2:3], v[14:15], v[12:13]
	s_nop 1
	v_div_fmas_f64 v[2:3], v[2:3], v[6:7], v[14:15]
	v_div_fixup_f64 v[2:3], v[2:3], v[4:5], 1.0
	v_add_f64 v[4:5], v[8:9], 0
	v_mul_f64 v[6:7], v[4:5], v[2:3]
	v_fma_f64 v[4:5], v[8:9], 0, -1.0
	v_mul_f64 v[8:9], v[4:5], v[2:3]
                                        ; implicit-def: $vgpr2_vgpr3
.LBB199_10:
	s_andn2_saveexec_b64 s[0:1], s[0:1]
	s_cbranch_execz .LBB199_12
; %bb.11:
	v_div_scale_f64 v[6:7], s[16:17], v[2:3], v[2:3], v[4:5]
	v_rcp_f64_e32 v[8:9], v[6:7]
	v_div_scale_f64 v[12:13], vcc, v[4:5], v[2:3], v[4:5]
	v_fma_f64 v[14:15], -v[6:7], v[8:9], 1.0
	v_fmac_f64_e32 v[8:9], v[8:9], v[14:15]
	v_fma_f64 v[14:15], -v[6:7], v[8:9], 1.0
	v_fmac_f64_e32 v[8:9], v[8:9], v[14:15]
	v_mul_f64 v[14:15], v[12:13], v[8:9]
	v_fma_f64 v[6:7], -v[6:7], v[14:15], v[12:13]
	v_div_fmas_f64 v[6:7], v[6:7], v[8:9], v[14:15]
	v_div_fixup_f64 v[8:9], v[6:7], v[2:3], v[4:5]
	v_fmac_f64_e32 v[2:3], v[4:5], v[8:9]
	v_div_scale_f64 v[4:5], s[16:17], v[2:3], v[2:3], 1.0
	v_rcp_f64_e32 v[6:7], v[4:5]
	v_fma_f64 v[12:13], -v[4:5], v[6:7], 1.0
	v_fmac_f64_e32 v[6:7], v[6:7], v[12:13]
	v_fma_f64 v[12:13], -v[4:5], v[6:7], 1.0
	v_fmac_f64_e32 v[6:7], v[6:7], v[12:13]
	v_div_scale_f64 v[12:13], vcc, 1.0, v[2:3], 1.0
	v_mul_f64 v[14:15], v[12:13], v[6:7]
	v_fma_f64 v[4:5], -v[4:5], v[14:15], v[12:13]
	s_nop 1
	v_div_fmas_f64 v[4:5], v[4:5], v[6:7], v[14:15]
	v_div_fixup_f64 v[2:3], v[4:5], v[2:3], 1.0
	v_fma_f64 v[4:5], v[8:9], 0, 1.0
	v_mul_f64 v[6:7], v[4:5], v[2:3]
	v_add_f64 v[4:5], -v[8:9], 0
	v_mul_f64 v[8:9], v[4:5], v[2:3]
.LBB199_12:
	s_or_b64 exec, exec, s[0:1]
	s_branch .LBB199_14
.LBB199_13:
	v_mov_b32_e32 v6, 0
	v_mov_b32_e32 v7, 0x3ff00000
	v_pk_mov_b32 v[8:9], 0, 0
.LBB199_14:
	ds_write_b128 v1, v[6:9]
.LBB199_15:
	s_or_b64 exec, exec, s[24:25]
	s_load_dword s18, s[6:7], 0x58
	s_load_dwordx2 s[0:1], s[6:7], 0x60
	s_add_i32 s37, s37, -1
	s_waitcnt lgkmcnt(0)
	s_ashr_i32 s19, s18, 31
	s_mul_i32 s1, s9, s1
	s_mul_hi_u32 s7, s9, s0
	s_mul_i32 s6, s9, s0
	s_lshl_b32 s0, s8, 2
	s_add_i32 s7, s7, s1
	s_sub_i32 s1, s23, s0
	s_cmp_ge_u32 s8, s37
	s_cselect_b32 s8, s1, 4
	s_ashr_i32 s1, s0, 31
	s_cmp_gt_i32 s22, 0
	v_cmp_gt_i32_e32 vcc, s8, v10
	s_cselect_b64 s[8:9], -1, 0
	s_and_b64 s[8:9], vcc, s[8:9]
	s_and_saveexec_b64 s[16:17], s[8:9]
	s_cbranch_execz .LBB199_18
; %bb.16:
	v_lshlrev_b32_e32 v2, 4, v10
	s_lshl_b64 s[24:25], s[0:1], 4
	s_lshl_b64 s[22:23], s[6:7], 4
	v_mov_b32_e32 v3, s25
	v_add_co_u32_e32 v4, vcc, s24, v2
	s_lshl_b64 s[24:25], s[10:11], 4
	s_add_u32 s1, s2, s24
	s_addc_u32 s21, s3, s25
	s_add_u32 s22, s1, s22
	s_addc_u32 s23, s21, s23
	v_or_b32_e32 v1, 0x100, v2
	v_addc_co_u32_e32 v5, vcc, 0, v3, vcc
	v_pk_mov_b32 v[2:3], s[22:23], s[22:23] op_sel:[0,1]
	v_mad_u64_u32 v[2:3], s[22:23], v4, s18, v[2:3]
	v_mul_lo_u32 v4, v4, s19
	v_mul_lo_u32 v5, v5, s18
	v_add3_u32 v3, v5, v3, v4
	v_add_co_u32_e32 v2, vcc, 8, v2
	v_addc_co_u32_e32 v3, vcc, 0, v3, vcc
	s_mov_b32 s1, s33
.LBB199_17:                             ; =>This Inner Loop Header: Depth=1
	global_load_dwordx4 v[4:7], v[2:3], off offset:-8
	s_add_i32 s1, s1, -1
	v_add_co_u32_e32 v2, vcc, 16, v2
	v_addc_co_u32_e32 v3, vcc, 0, v3, vcc
	s_cmp_lg_u32 s1, 0
	s_waitcnt vmcnt(0)
	v_mul_f64 v[12:13], s[14:15], v[6:7]
	v_mul_f64 v[8:9], s[12:13], v[6:7]
	v_fma_f64 v[6:7], s[12:13], v[4:5], -v[12:13]
	v_fmac_f64_e32 v[8:9], s[14:15], v[4:5]
	ds_write_b128 v1, v[6:9]
	v_add_u32_e32 v1, 64, v1
	s_cbranch_scc1 .LBB199_17
.LBB199_18:
	s_or_b64 exec, exec, s[16:17]
	s_load_dwordx2 s[4:5], s[4:5], 0x4
	v_bfe_u32 v1, v0, 10, 10
	v_bfe_u32 v0, v0, 20, 10
	v_mov_b32_e32 v2, 0x200
	s_waitcnt lgkmcnt(0)
	s_lshr_b32 s1, s4, 16
	s_mul_i32 s1, s1, s5
	v_mul_u32_u24_e32 v1, s5, v1
	v_mul_u32_u24_e32 v3, s1, v10
	v_add3_u32 v0, v3, v1, v0
	v_lshl_add_u32 v4, v0, 6, v2
	s_cmpk_eq_i32 s20, 0x6f
	s_mov_b64 s[4:5], -1
	; wave barrier
	s_cbranch_scc1 .LBB199_40
; %bb.19:
	v_mov_b32_e32 v0, 0x100
	s_mov_b32 s5, 0
	v_lshl_or_b32 v5, v10, 4, v0
	v_lshlrev_b32_e32 v6, 4, v10
	s_mov_b32 s4, s5
	s_mov_b32 s1, s5
	s_branch .LBB199_21
.LBB199_20:                             ;   in Loop: Header=BB199_21 Depth=1
	s_cmp_ge_i32 s1, s33
	s_cselect_b64 s[12:13], -1, 0
	s_add_i32 s4, s4, 1
	s_cmp_eq_u32 s4, 3
	s_cselect_b64 s[14:15], -1, 0
	s_or_b64 s[12:13], s[12:13], s[14:15]
	s_andn2_b64 vcc, exec, s[12:13]
	s_cbranch_vccz .LBB199_39
.LBB199_21:                             ; =>This Loop Header: Depth=1
                                        ;     Child Loop BB199_24 Depth 2
                                        ;       Child Loop BB199_25 Depth 3
                                        ;       Child Loop BB199_28 Depth 3
                                        ;         Child Loop BB199_29 Depth 4
                                        ;       Child Loop BB199_33 Depth 3
                                        ;         Child Loop BB199_35 Depth 4
	s_lshl_b64 s[12:13], s[4:5], 2
	s_getpc_b64 s[14:15]
	s_add_u32 s14, s14, __const._ZL38rocblas_trsm_small_left_device_sharedBILi4ELi4ELb0E19rocblas_complex_numIdES1_PKS1_PS1_Ev13rocblas_fill_18rocblas_operation_17rocblas_diagonal_iiT3_T4_lilT5_lili.step_sizes@rel32@lo+4
	s_addc_u32 s15, s15, __const._ZL38rocblas_trsm_small_left_device_sharedBILi4ELi4ELb0E19rocblas_complex_numIdES1_PKS1_PS1_Ev13rocblas_fill_18rocblas_operation_17rocblas_diagonal_iiT3_T4_lilT5_lili.step_sizes@rel32@hi+12
	s_add_u32 s12, s12, s14
	s_addc_u32 s13, s13, s15
	s_load_dword s14, s[12:13], 0x0
	s_waitcnt lgkmcnt(0)
	s_add_i32 s15, s14, -1
	s_add_i32 s12, s15, s1
	s_cmp_ge_i32 s12, s33
	s_cbranch_scc1 .LBB199_20
; %bb.22:                               ;   in Loop: Header=BB199_21 Depth=1
	s_lshl_b32 s17, s1, 6
	s_max_i32 s16, s14, 1
	v_add_u32_e32 v7, s17, v5
	s_lshl_b32 s19, s14, 6
	s_mul_i32 s20, s1, 0x50
	s_mul_i32 s21, s14, 0x50
	s_branch .LBB199_24
.LBB199_23:                             ;   in Loop: Header=BB199_24 Depth=2
	s_add_i32 s1, s1, s14
	s_add_i32 s12, s15, s1
	;; [unrolled: 1-line block ×4, first 2 shown]
	s_cmp_ge_i32 s12, s33
	v_add_u32_e32 v7, s19, v7
	s_cbranch_scc1 .LBB199_20
.LBB199_24:                             ;   Parent Loop BB199_21 Depth=1
                                        ; =>  This Loop Header: Depth=2
                                        ;       Child Loop BB199_25 Depth 3
                                        ;       Child Loop BB199_28 Depth 3
                                        ;         Child Loop BB199_29 Depth 4
                                        ;       Child Loop BB199_33 Depth 3
                                        ;         Child Loop BB199_35 Depth 4
	v_mov_b32_e32 v0, v4
	v_mov_b32_e32 v1, v7
	s_mov_b32 s12, s16
.LBB199_25:                             ;   Parent Loop BB199_21 Depth=1
                                        ;     Parent Loop BB199_24 Depth=2
                                        ; =>    This Inner Loop Header: Depth=3
	ds_read_b128 v[12:15], v1
	s_add_i32 s12, s12, -1
	v_add_u32_e32 v1, 64, v1
	s_cmp_eq_u32 s12, 0
	s_waitcnt lgkmcnt(0)
	ds_write_b128 v0, v[12:15]
	v_add_u32_e32 v0, 16, v0
	s_cbranch_scc0 .LBB199_25
; %bb.26:                               ;   in Loop: Header=BB199_24 Depth=2
	s_cmp_lt_i32 s1, 1
	s_cbranch_scc1 .LBB199_31
; %bb.27:                               ;   in Loop: Header=BB199_24 Depth=2
	s_mov_b32 s12, 0
	s_mov_b32 s13, s17
.LBB199_28:                             ;   Parent Loop BB199_21 Depth=1
                                        ;     Parent Loop BB199_24 Depth=2
                                        ; =>    This Loop Header: Depth=3
                                        ;         Child Loop BB199_29 Depth 4
	v_lshl_or_b32 v0, s12, 6, v6
	ds_read_b128 v[0:3], v0 offset:256
	v_mov_b32_e32 v8, v4
	s_mov_b32 s22, s13
	s_mov_b32 s23, s16
.LBB199_29:                             ;   Parent Loop BB199_21 Depth=1
                                        ;     Parent Loop BB199_24 Depth=2
                                        ;       Parent Loop BB199_28 Depth=3
                                        ; =>      This Inner Loop Header: Depth=4
	v_mov_b32_e32 v9, s22
	ds_read_b128 v[16:19], v9
	ds_read_b128 v[12:15], v8
	s_add_i32 s23, s23, -1
	s_add_i32 s22, s22, 64
	s_cmp_eq_u32 s23, 0
	s_waitcnt lgkmcnt(1)
	v_mul_f64 v[20:21], v[2:3], v[18:19]
	v_mul_f64 v[18:19], v[0:1], v[18:19]
	v_fma_f64 v[20:21], v[0:1], v[16:17], -v[20:21]
	v_fmac_f64_e32 v[18:19], v[2:3], v[16:17]
	s_waitcnt lgkmcnt(0)
	v_add_f64 v[12:13], v[12:13], -v[20:21]
	v_add_f64 v[14:15], v[14:15], -v[18:19]
	ds_write_b128 v8, v[12:15]
	v_add_u32_e32 v8, 16, v8
	s_cbranch_scc0 .LBB199_29
; %bb.30:                               ;   in Loop: Header=BB199_28 Depth=3
	s_add_i32 s12, s12, 1
	s_add_i32 s13, s13, 16
	s_cmp_ge_i32 s12, s1
	s_cbranch_scc0 .LBB199_28
.LBB199_31:                             ;   in Loop: Header=BB199_24 Depth=2
	s_lshl_b32 s22, s1, 2
	s_mov_b32 s23, 0
	s_mov_b32 s24, s20
	s_branch .LBB199_33
.LBB199_32:                             ;   in Loop: Header=BB199_33 Depth=3
	s_mul_i32 s12, s26, 0x50
	v_mov_b32_e32 v9, s12
	ds_read_b128 v[12:15], v9
	s_add_i32 s23, s23, 1
	s_add_i32 s24, s24, 64
	v_add_lshl_u32 v9, s25, v10, 4
	s_cmp_eq_u32 s23, s16
	s_waitcnt lgkmcnt(0)
	v_mul_f64 v[16:17], v[14:15], v[2:3]
	v_mul_f64 v[18:19], v[12:13], v[2:3]
	v_fma_f64 v[16:17], v[12:13], v[0:1], -v[16:17]
	v_fmac_f64_e32 v[18:19], v[14:15], v[0:1]
	ds_write_b128 v8, v[16:19]
	ds_write_b128 v9, v[16:19] offset:256
	s_cbranch_scc1 .LBB199_23
.LBB199_33:                             ;   Parent Loop BB199_21 Depth=1
                                        ;     Parent Loop BB199_24 Depth=2
                                        ; =>    This Loop Header: Depth=3
                                        ;         Child Loop BB199_35 Depth 4
	s_cmp_lg_u32 s23, 0
	v_lshl_add_u32 v8, s23, 4, v4
	s_cbranch_scc0 .LBB199_37
; %bb.34:                               ;   in Loop: Header=BB199_33 Depth=3
	ds_read_b128 v[0:3], v8
	s_add_i32 s26, s23, s1
	s_lshl_b32 s25, s26, 2
	s_mov_b32 s12, 0
	s_mov_b32 s13, s24
	v_mov_b32_e32 v9, v4
.LBB199_35:                             ;   Parent Loop BB199_21 Depth=1
                                        ;     Parent Loop BB199_24 Depth=2
                                        ;       Parent Loop BB199_33 Depth=3
                                        ; =>      This Inner Loop Header: Depth=4
	v_mov_b32_e32 v11, s13
	ds_read_b128 v[12:15], v9
	ds_read_b128 v[16:19], v11
	s_add_i32 s12, s12, 1
	s_add_i32 s13, s13, 16
	v_add_u32_e32 v9, 16, v9
	s_cmp_ge_u32 s12, s23
	s_waitcnt lgkmcnt(0)
	v_mul_f64 v[20:21], v[18:19], v[14:15]
	v_mul_f64 v[14:15], v[16:17], v[14:15]
	v_fma_f64 v[16:17], v[16:17], v[12:13], -v[20:21]
	v_fmac_f64_e32 v[14:15], v[18:19], v[12:13]
	v_add_f64 v[0:1], v[0:1], -v[16:17]
	v_add_f64 v[2:3], v[2:3], -v[14:15]
	ds_write_b128 v8, v[0:3]
	s_cbranch_scc0 .LBB199_35
; %bb.36:                               ;   in Loop: Header=BB199_33 Depth=3
	s_branch .LBB199_32
.LBB199_37:                             ;   in Loop: Header=BB199_33 Depth=3
                                        ; implicit-def: $vgpr0_vgpr1
                                        ; implicit-def: $sgpr26
                                        ; implicit-def: $sgpr25
	s_cbranch_execz .LBB199_32
; %bb.38:                               ;   in Loop: Header=BB199_33 Depth=3
	ds_read_b128 v[0:3], v4
	s_mov_b32 s25, s22
	s_mov_b32 s26, s1
	s_branch .LBB199_32
.LBB199_39:
	s_mov_b64 s[4:5], 0
.LBB199_40:
	s_and_b64 vcc, exec, s[4:5]
	s_cbranch_vccz .LBB199_60
; %bb.41:
	v_mov_b32_e32 v0, 0x100
	s_lshl_b32 s1, s33, 6
	s_mov_b32 s5, 0
	v_lshl_or_b32 v5, v10, 4, v0
	s_sub_i32 s1, s1, 64
	v_lshlrev_b32_e32 v6, 4, v10
	s_mov_b32 s4, s5
	s_mov_b32 s14, s36
	s_branch .LBB199_43
.LBB199_42:                             ;   in Loop: Header=BB199_43 Depth=1
	s_cmp_lt_i32 s14, 0
	s_cselect_b64 s[12:13], -1, 0
	s_add_i32 s4, s4, 1
	s_cmp_eq_u32 s4, 3
	s_cselect_b64 s[16:17], -1, 0
	s_or_b64 s[12:13], s[12:13], s[16:17]
	s_and_b64 vcc, exec, s[12:13]
	s_cbranch_vccnz .LBB199_60
.LBB199_43:                             ; =>This Loop Header: Depth=1
                                        ;     Child Loop BB199_46 Depth 2
                                        ;       Child Loop BB199_47 Depth 3
                                        ;       Child Loop BB199_49 Depth 3
                                        ;         Child Loop BB199_50 Depth 4
                                        ;       Child Loop BB199_54 Depth 3
                                        ;         Child Loop BB199_56 Depth 4
	s_lshl_b64 s[12:13], s[4:5], 2
	s_getpc_b64 s[16:17]
	s_add_u32 s16, s16, __const._ZL38rocblas_trsm_small_left_device_sharedBILi4ELi4ELb0E19rocblas_complex_numIdES1_PKS1_PS1_Ev13rocblas_fill_18rocblas_operation_17rocblas_diagonal_iiT3_T4_lilT5_lili.step_sizes@rel32@lo+4
	s_addc_u32 s17, s17, __const._ZL38rocblas_trsm_small_left_device_sharedBILi4ELi4ELb0E19rocblas_complex_numIdES1_PKS1_PS1_Ev13rocblas_fill_18rocblas_operation_17rocblas_diagonal_iiT3_T4_lilT5_lili.step_sizes@rel32@hi+12
	s_add_u32 s12, s12, s16
	s_addc_u32 s13, s13, s17
	s_load_dword s15, s[12:13], 0x0
	s_waitcnt lgkmcnt(0)
	s_add_i32 s16, s15, -1
	s_cmp_lt_i32 s14, s16
	s_cbranch_scc1 .LBB199_42
; %bb.44:                               ;   in Loop: Header=BB199_43 Depth=1
	s_lshl_b32 s12, s15, 6
	s_sub_i32 s19, 0, s12
	s_lshl_b32 s12, s14, 4
	s_add_i32 s20, s1, s12
	s_lshl_b32 s12, s15, 4
	s_max_i32 s17, s15, 1
	v_lshl_add_u32 v7, s14, 6, v5
	s_sub_i32 s21, 0, s12
	s_mul_i32 s22, s14, 0x50
	s_mul_i32 s23, s15, 0xffffffb0
	s_branch .LBB199_46
.LBB199_45:                             ;   in Loop: Header=BB199_46 Depth=2
	s_sub_i32 s14, s14, s15
	s_add_i32 s20, s20, s21
	s_add_i32 s22, s22, s23
	s_cmp_lt_i32 s14, s16
	v_add_u32_e32 v7, s19, v7
	s_cbranch_scc1 .LBB199_42
.LBB199_46:                             ;   Parent Loop BB199_43 Depth=1
                                        ; =>  This Loop Header: Depth=2
                                        ;       Child Loop BB199_47 Depth 3
                                        ;       Child Loop BB199_49 Depth 3
                                        ;         Child Loop BB199_50 Depth 4
                                        ;       Child Loop BB199_54 Depth 3
                                        ;         Child Loop BB199_56 Depth 4
	v_mov_b32_e32 v0, v4
	v_mov_b32_e32 v1, v7
	s_mov_b32 s12, s17
.LBB199_47:                             ;   Parent Loop BB199_43 Depth=1
                                        ;     Parent Loop BB199_46 Depth=2
                                        ; =>    This Inner Loop Header: Depth=3
	ds_read_b128 v[12:15], v1
	s_add_i32 s12, s12, -1
	v_subrev_u32_e32 v1, 64, v1
	s_cmp_eq_u32 s12, 0
	s_waitcnt lgkmcnt(0)
	ds_write_b128 v0, v[12:15]
	v_add_u32_e32 v0, 16, v0
	s_cbranch_scc0 .LBB199_47
; %bb.48:                               ;   in Loop: Header=BB199_46 Depth=2
	s_cmp_le_i32 s36, s14
	s_mov_b32 s12, s20
	s_mov_b32 s13, s36
	s_cbranch_scc1 .LBB199_52
.LBB199_49:                             ;   Parent Loop BB199_43 Depth=1
                                        ;     Parent Loop BB199_46 Depth=2
                                        ; =>    This Loop Header: Depth=3
                                        ;         Child Loop BB199_50 Depth 4
	v_lshl_or_b32 v0, s13, 6, v6
	ds_read_b128 v[0:3], v0 offset:256
	v_mov_b32_e32 v8, v4
	s_mov_b32 s24, s17
	s_mov_b32 s25, s12
.LBB199_50:                             ;   Parent Loop BB199_43 Depth=1
                                        ;     Parent Loop BB199_46 Depth=2
                                        ;       Parent Loop BB199_49 Depth=3
                                        ; =>      This Inner Loop Header: Depth=4
	v_mov_b32_e32 v9, s25
	ds_read_b128 v[16:19], v9
	ds_read_b128 v[12:15], v8
	s_add_i32 s25, s25, -16
	s_add_i32 s24, s24, -1
	s_cmp_eq_u32 s24, 0
	s_waitcnt lgkmcnt(1)
	v_mul_f64 v[20:21], v[2:3], v[18:19]
	v_mul_f64 v[18:19], v[0:1], v[18:19]
	v_fma_f64 v[20:21], v[0:1], v[16:17], -v[20:21]
	v_fmac_f64_e32 v[18:19], v[2:3], v[16:17]
	s_waitcnt lgkmcnt(0)
	v_add_f64 v[12:13], v[12:13], -v[20:21]
	v_add_f64 v[14:15], v[14:15], -v[18:19]
	ds_write_b128 v8, v[12:15]
	v_add_u32_e32 v8, 16, v8
	s_cbranch_scc0 .LBB199_50
; %bb.51:                               ;   in Loop: Header=BB199_49 Depth=3
	s_add_i32 s13, s13, -1
	s_sub_i32 s12, s12, 64
	s_cmp_le_i32 s13, s14
	s_cbranch_scc0 .LBB199_49
.LBB199_52:                             ;   in Loop: Header=BB199_46 Depth=2
	s_mov_b32 s24, 0
	s_mov_b32 s25, s22
	s_branch .LBB199_54
.LBB199_53:                             ;   in Loop: Header=BB199_54 Depth=3
	s_mul_i32 s12, s26, 0x50
	v_mov_b32_e32 v9, s12
	ds_read_b128 v[12:15], v9
	s_add_i32 s24, s24, 1
	s_add_i32 s25, s25, -16
	v_lshl_or_b32 v9, s26, 6, v6
	s_cmp_eq_u32 s24, s17
	s_waitcnt lgkmcnt(0)
	v_mul_f64 v[16:17], v[14:15], v[2:3]
	v_mul_f64 v[18:19], v[12:13], v[2:3]
	v_fma_f64 v[16:17], v[12:13], v[0:1], -v[16:17]
	v_fmac_f64_e32 v[18:19], v[14:15], v[0:1]
	ds_write_b128 v8, v[16:19]
	ds_write_b128 v9, v[16:19] offset:256
	s_cbranch_scc1 .LBB199_45
.LBB199_54:                             ;   Parent Loop BB199_43 Depth=1
                                        ;     Parent Loop BB199_46 Depth=2
                                        ; =>    This Loop Header: Depth=3
                                        ;         Child Loop BB199_56 Depth 4
	s_cmp_lg_u32 s24, 0
	v_lshl_add_u32 v8, s24, 4, v4
	s_cbranch_scc0 .LBB199_58
; %bb.55:                               ;   in Loop: Header=BB199_54 Depth=3
	ds_read_b128 v[0:3], v8
	s_sub_i32 s26, s14, s24
	s_mov_b32 s12, 0
	v_mov_b32_e32 v9, v4
	s_mov_b32 s13, s25
.LBB199_56:                             ;   Parent Loop BB199_43 Depth=1
                                        ;     Parent Loop BB199_46 Depth=2
                                        ;       Parent Loop BB199_54 Depth=3
                                        ; =>      This Inner Loop Header: Depth=4
	v_mov_b32_e32 v11, s13
	ds_read_b128 v[12:15], v9
	ds_read_b128 v[16:19], v11
	s_add_i32 s12, s12, 1
	s_sub_i32 s13, s13, 64
	v_add_u32_e32 v9, 16, v9
	s_cmp_ge_u32 s12, s24
	s_waitcnt lgkmcnt(0)
	v_mul_f64 v[20:21], v[18:19], v[14:15]
	v_mul_f64 v[14:15], v[16:17], v[14:15]
	v_fma_f64 v[16:17], v[16:17], v[12:13], -v[20:21]
	v_fmac_f64_e32 v[14:15], v[18:19], v[12:13]
	v_add_f64 v[0:1], v[0:1], -v[16:17]
	v_add_f64 v[2:3], v[2:3], -v[14:15]
	ds_write_b128 v8, v[0:3]
	s_cbranch_scc0 .LBB199_56
; %bb.57:                               ;   in Loop: Header=BB199_54 Depth=3
	s_branch .LBB199_53
.LBB199_58:                             ;   in Loop: Header=BB199_54 Depth=3
                                        ; implicit-def: $vgpr0_vgpr1
                                        ; implicit-def: $sgpr26
	s_cbranch_execz .LBB199_53
; %bb.59:                               ;   in Loop: Header=BB199_54 Depth=3
	ds_read_b128 v[0:3], v4
	s_mov_b32 s26, s14
	s_branch .LBB199_53
.LBB199_60:
	s_waitcnt lgkmcnt(0)
	; wave barrier
	s_waitcnt lgkmcnt(0)
	s_and_saveexec_b64 s[4:5], s[8:9]
	s_cbranch_execz .LBB199_63
; %bb.61:
	s_lshl_b64 s[4:5], s[6:7], 4
	s_add_u32 s1, s2, s4
	s_addc_u32 s4, s3, s5
	s_lshl_b64 s[2:3], s[10:11], 4
	s_add_u32 s2, s1, s2
	s_mul_hi_i32 s1, s18, s0
	s_mul_i32 s0, s18, s0
	s_addc_u32 s3, s4, s3
	s_lshl_b64 s[0:1], s[0:1], 4
	s_add_u32 s2, s2, s0
	s_addc_u32 s3, s3, s1
	v_mad_i64_i32 v[0:1], s[0:1], s18, v10, 0
	v_lshlrev_b64 v[0:1], 4, v[0:1]
	v_mov_b32_e32 v2, s3
	v_add_co_u32_e32 v0, vcc, s2, v0
	v_addc_co_u32_e32 v1, vcc, v2, v1, vcc
	v_mov_b32_e32 v2, 0x100
	v_lshl_or_b32 v2, v10, 4, v2
.LBB199_62:                             ; =>This Inner Loop Header: Depth=1
	ds_read2_b64 v[4:7], v2 offset1:1
	s_add_i32 s33, s33, -1
	v_add_u32_e32 v2, 64, v2
	s_cmp_lg_u32 s33, 0
	s_waitcnt lgkmcnt(0)
	global_store_dwordx4 v[0:1], v[4:7], off
	v_add_co_u32_e32 v0, vcc, 16, v0
	v_addc_co_u32_e32 v1, vcc, 0, v1, vcc
	s_cbranch_scc1 .LBB199_62
.LBB199_63:
	s_endpgm
	.section	.rodata,"a",@progbits
	.p2align	6, 0x0
	.amdhsa_kernel _ZL38rocblas_trsm_small_left_device_sharedBILi4ELi4ELb0E19rocblas_complex_numIdES1_PKS1_PS1_Ev13rocblas_fill_18rocblas_operation_17rocblas_diagonal_iiT3_T4_lilT5_lili
		.amdhsa_group_segment_fixed_size 768
		.amdhsa_private_segment_fixed_size 0
		.amdhsa_kernarg_size 368
		.amdhsa_user_sgpr_count 8
		.amdhsa_user_sgpr_private_segment_buffer 1
		.amdhsa_user_sgpr_dispatch_ptr 1
		.amdhsa_user_sgpr_queue_ptr 0
		.amdhsa_user_sgpr_kernarg_segment_ptr 1
		.amdhsa_user_sgpr_dispatch_id 0
		.amdhsa_user_sgpr_flat_scratch_init 0
		.amdhsa_user_sgpr_kernarg_preload_length 0
		.amdhsa_user_sgpr_kernarg_preload_offset 0
		.amdhsa_user_sgpr_private_segment_size 0
		.amdhsa_uses_dynamic_stack 0
		.amdhsa_system_sgpr_private_segment_wavefront_offset 0
		.amdhsa_system_sgpr_workgroup_id_x 1
		.amdhsa_system_sgpr_workgroup_id_y 0
		.amdhsa_system_sgpr_workgroup_id_z 1
		.amdhsa_system_sgpr_workgroup_info 0
		.amdhsa_system_vgpr_workitem_id 2
		.amdhsa_next_free_vgpr 24
		.amdhsa_next_free_sgpr 41
		.amdhsa_accum_offset 24
		.amdhsa_reserve_vcc 1
		.amdhsa_reserve_flat_scratch 0
		.amdhsa_float_round_mode_32 0
		.amdhsa_float_round_mode_16_64 0
		.amdhsa_float_denorm_mode_32 3
		.amdhsa_float_denorm_mode_16_64 3
		.amdhsa_dx10_clamp 1
		.amdhsa_ieee_mode 1
		.amdhsa_fp16_overflow 0
		.amdhsa_tg_split 0
		.amdhsa_exception_fp_ieee_invalid_op 0
		.amdhsa_exception_fp_denorm_src 0
		.amdhsa_exception_fp_ieee_div_zero 0
		.amdhsa_exception_fp_ieee_overflow 0
		.amdhsa_exception_fp_ieee_underflow 0
		.amdhsa_exception_fp_ieee_inexact 0
		.amdhsa_exception_int_div_zero 0
	.end_amdhsa_kernel
	.section	.text._ZL38rocblas_trsm_small_left_device_sharedBILi4ELi4ELb0E19rocblas_complex_numIdES1_PKS1_PS1_Ev13rocblas_fill_18rocblas_operation_17rocblas_diagonal_iiT3_T4_lilT5_lili,"axG",@progbits,_ZL38rocblas_trsm_small_left_device_sharedBILi4ELi4ELb0E19rocblas_complex_numIdES1_PKS1_PS1_Ev13rocblas_fill_18rocblas_operation_17rocblas_diagonal_iiT3_T4_lilT5_lili,comdat
.Lfunc_end199:
	.size	_ZL38rocblas_trsm_small_left_device_sharedBILi4ELi4ELb0E19rocblas_complex_numIdES1_PKS1_PS1_Ev13rocblas_fill_18rocblas_operation_17rocblas_diagonal_iiT3_T4_lilT5_lili, .Lfunc_end199-_ZL38rocblas_trsm_small_left_device_sharedBILi4ELi4ELb0E19rocblas_complex_numIdES1_PKS1_PS1_Ev13rocblas_fill_18rocblas_operation_17rocblas_diagonal_iiT3_T4_lilT5_lili
                                        ; -- End function
	.section	.AMDGPU.csdata,"",@progbits
; Kernel info:
; codeLenInByte = 3008
; NumSgprs: 45
; NumVgprs: 24
; NumAgprs: 0
; TotalNumVgprs: 24
; ScratchSize: 0
; MemoryBound: 0
; FloatMode: 240
; IeeeMode: 1
; LDSByteSize: 768 bytes/workgroup (compile time only)
; SGPRBlocks: 5
; VGPRBlocks: 2
; NumSGPRsForWavesPerEU: 45
; NumVGPRsForWavesPerEU: 24
; AccumOffset: 24
; Occupancy: 8
; WaveLimiterHint : 0
; COMPUTE_PGM_RSRC2:SCRATCH_EN: 0
; COMPUTE_PGM_RSRC2:USER_SGPR: 8
; COMPUTE_PGM_RSRC2:TRAP_HANDLER: 0
; COMPUTE_PGM_RSRC2:TGID_X_EN: 1
; COMPUTE_PGM_RSRC2:TGID_Y_EN: 0
; COMPUTE_PGM_RSRC2:TGID_Z_EN: 1
; COMPUTE_PGM_RSRC2:TIDIG_COMP_CNT: 2
; COMPUTE_PGM_RSRC3_GFX90A:ACCUM_OFFSET: 5
; COMPUTE_PGM_RSRC3_GFX90A:TG_SPLIT: 0
	.section	.text._ZL30rocblas_trsm_small_left_deviceILi4ELi4ELb0E19rocblas_complex_numIdES1_PKS1_PS1_Ev13rocblas_fill_18rocblas_operation_17rocblas_diagonal_iiT3_T4_lilT5_lili,"axG",@progbits,_ZL30rocblas_trsm_small_left_deviceILi4ELi4ELb0E19rocblas_complex_numIdES1_PKS1_PS1_Ev13rocblas_fill_18rocblas_operation_17rocblas_diagonal_iiT3_T4_lilT5_lili,comdat
	.globl	_ZL30rocblas_trsm_small_left_deviceILi4ELi4ELb0E19rocblas_complex_numIdES1_PKS1_PS1_Ev13rocblas_fill_18rocblas_operation_17rocblas_diagonal_iiT3_T4_lilT5_lili ; -- Begin function _ZL30rocblas_trsm_small_left_deviceILi4ELi4ELb0E19rocblas_complex_numIdES1_PKS1_PS1_Ev13rocblas_fill_18rocblas_operation_17rocblas_diagonal_iiT3_T4_lilT5_lili
	.p2align	8
	.type	_ZL30rocblas_trsm_small_left_deviceILi4ELi4ELb0E19rocblas_complex_numIdES1_PKS1_PS1_Ev13rocblas_fill_18rocblas_operation_17rocblas_diagonal_iiT3_T4_lilT5_lili,@function
_ZL30rocblas_trsm_small_left_deviceILi4ELi4ELb0E19rocblas_complex_numIdES1_PKS1_PS1_Ev13rocblas_fill_18rocblas_operation_17rocblas_diagonal_iiT3_T4_lilT5_lili: ; @_ZL30rocblas_trsm_small_left_deviceILi4ELi4ELb0E19rocblas_complex_numIdES1_PKS1_PS1_Ev13rocblas_fill_18rocblas_operation_17rocblas_diagonal_iiT3_T4_lilT5_lili
; %bb.0:
	s_load_dwordx4 s[20:23], s[6:7], 0x4
	s_load_dwordx8 s[12:19], s[6:7], 0x18
	s_load_dwordx4 s[0:3], s[6:7], 0x40
	s_load_dwordx2 s[10:11], s[6:7], 0x50
	s_load_dword s37, s[6:7], 0x70
	v_and_b32_e32 v1, 0x3ff, v0
	s_waitcnt lgkmcnt(0)
	s_min_i32 s36, s22, 4
	s_mov_b32 s38, 0
	s_add_i32 s33, s36, -1
	v_cmp_gt_i32_e32 vcc, s36, v1
	s_and_saveexec_b64 s[24:25], vcc
	s_cbranch_execz .LBB200_15
; %bb.1:
	s_load_dword s26, s[6:7], 0x38
	v_lshlrev_b32_e32 v4, 4, v1
	s_mul_i32 s22, s1, s9
	s_mul_hi_u32 s39, s0, s9
	s_mul_i32 s28, s0, s9
	s_waitcnt lgkmcnt(0)
	s_ashr_i32 s27, s26, 31
	s_cmpk_eq_i32 s20, 0x71
	s_cselect_b64 vcc, -1, 0
	s_cmp_lt_u32 s33, 3
	s_cbranch_scc1 .LBB200_4
; %bb.2:
	s_add_i32 s29, s39, s22
	s_and_b32 s38, s36, -4
	s_lshl_b64 s[0:1], s[28:29], 4
	s_lshl_b64 s[30:31], s[18:19], 4
	s_add_u32 s0, s0, s30
	s_addc_u32 s1, s1, s31
	s_add_u32 s0, s16, s0
	v_lshlrev_b32_e32 v2, 4, v1
	s_addc_u32 s1, s17, s1
	v_mov_b32_e32 v3, s1
	v_add_co_u32_e64 v2, s[0:1], s0, v2
	v_addc_co_u32_e64 v3, s[0:1], 0, v3, s[0:1]
	v_add_co_u32_e64 v2, s[0:1], 8, v2
	s_lshl_b64 s[30:31], s[26:27], 6
	s_lshl_b64 s[34:35], s[26:27], 4
	v_addc_co_u32_e64 v3, s[0:1], 0, v3, s[0:1]
	s_mov_b32 s29, 0
	v_mov_b32_e32 v5, s35
	v_mov_b32_e32 v6, s31
	;; [unrolled: 1-line block ×3, first 2 shown]
.LBB200_3:                              ; =>This Inner Loop Header: Depth=1
	v_add_co_u32_e64 v20, s[0:1], s34, v2
	v_addc_co_u32_e64 v21, s[0:1], v3, v5, s[0:1]
	v_add_co_u32_e64 v22, s[0:1], s34, v20
	global_load_dwordx4 v[8:11], v[2:3], off offset:-8
	v_addc_co_u32_e64 v23, s[0:1], v21, v5, s[0:1]
	global_load_dwordx4 v[12:15], v[20:21], off offset:-8
	global_load_dwordx4 v[16:19], v[22:23], off offset:-8
	v_add_co_u32_e64 v20, s[0:1], s34, v22
	v_addc_co_u32_e64 v21, s[0:1], v23, v5, s[0:1]
	global_load_dwordx4 v[20:23], v[20:21], off offset:-8
	s_add_i32 s29, s29, 4
	v_add_co_u32_e64 v2, s[0:1], s30, v2
	s_cmp_eq_u32 s38, s29
	v_addc_co_u32_e64 v3, s[0:1], v3, v6, s[0:1]
	s_waitcnt vmcnt(3)
	v_xor_b32_e32 v24, 0x80000000, v11
	v_cndmask_b32_e32 v11, v11, v24, vcc
	ds_write_b128 v7, v[8:11]
	s_waitcnt vmcnt(1)
	v_xor_b32_e32 v8, 0x80000000, v19
	v_xor_b32_e32 v24, 0x80000000, v15
	v_cndmask_b32_e32 v19, v19, v8, vcc
	v_cndmask_b32_e32 v15, v15, v24, vcc
	ds_write_b128 v7, v[12:15] offset:64
	s_waitcnt vmcnt(0)
	v_xor_b32_e32 v8, 0x80000000, v23
	v_cndmask_b32_e32 v23, v23, v8, vcc
	ds_write_b128 v7, v[16:19] offset:128
	ds_write_b128 v7, v[20:23] offset:192
	v_add_u32_e32 v7, 0x100, v7
	s_cbranch_scc0 .LBB200_3
.LBB200_4:
	s_and_b32 s30, s36, 3
	s_cmp_eq_u32 s30, 0
	s_cbranch_scc1 .LBB200_7
; %bb.5:
	s_add_i32 s29, s39, s22
	s_lshl_b64 s[0:1], s[28:29], 4
	s_mul_i32 s22, s27, s38
	s_mul_hi_u32 s28, s26, s38
	s_add_i32 s29, s28, s22
	s_mul_i32 s28, s26, s38
	s_lshl_b64 s[28:29], s[28:29], 4
	s_add_u32 s22, s0, s28
	s_addc_u32 s28, s1, s29
	s_lshl_b64 s[0:1], s[18:19], 4
	s_add_u32 s0, s22, s0
	s_addc_u32 s1, s28, s1
	s_add_u32 s0, s16, s0
	s_addc_u32 s1, s17, s1
	v_mov_b32_e32 v2, s1
	v_add_co_u32_e64 v3, s[0:1], s0, v4
	v_lshl_or_b32 v5, s38, 6, v4
	v_addc_co_u32_e64 v4, s[0:1], 0, v2, s[0:1]
	v_add_co_u32_e64 v2, s[0:1], 8, v3
	s_lshl_b64 s[16:17], s[26:27], 4
	v_addc_co_u32_e64 v3, s[0:1], 0, v4, s[0:1]
	v_mov_b32_e32 v4, s17
.LBB200_6:                              ; =>This Inner Loop Header: Depth=1
	global_load_dwordx4 v[6:9], v[2:3], off offset:-8
	v_add_co_u32_e64 v2, s[0:1], s16, v2
	s_add_i32 s30, s30, -1
	v_addc_co_u32_e64 v3, s[0:1], v3, v4, s[0:1]
	s_cmp_lg_u32 s30, 0
	s_waitcnt vmcnt(0)
	v_xor_b32_e32 v10, 0x80000000, v9
	v_cndmask_b32_e32 v9, v9, v10, vcc
	ds_write_b128 v5, v[6:9]
	v_add_u32_e32 v5, 64, v5
	s_cbranch_scc1 .LBB200_6
.LBB200_7:
	v_mul_u32_u24_e32 v2, 5, v1
	s_cmpk_lg_i32 s21, 0x84
	v_lshlrev_b32_e32 v10, 4, v2
	s_cbranch_scc0 .LBB200_13
; %bb.8:
	ds_read_b128 v[2:5], v10
	s_waitcnt lgkmcnt(0)
	v_xor_b32_e32 v7, 0x80000000, v3
	v_cmp_gt_f64_e32 vcc, 0, v[2:3]
	v_xor_b32_e32 v8, 0x80000000, v5
	v_cndmask_b32_e32 v7, v3, v7, vcc
	v_cmp_gt_f64_e32 vcc, 0, v[4:5]
	v_mov_b32_e32 v6, v2
	v_cndmask_b32_e32 v9, v5, v8, vcc
	v_mov_b32_e32 v8, v4
	v_cmp_ngt_f64_e32 vcc, v[6:7], v[8:9]
                                        ; implicit-def: $vgpr8_vgpr9
	s_and_saveexec_b64 s[0:1], vcc
	s_xor_b64 s[0:1], exec, s[0:1]
	s_cbranch_execz .LBB200_10
; %bb.9:
	v_div_scale_f64 v[6:7], s[16:17], v[4:5], v[4:5], v[2:3]
	v_rcp_f64_e32 v[8:9], v[6:7]
	v_div_scale_f64 v[12:13], vcc, v[2:3], v[4:5], v[2:3]
	v_fma_f64 v[14:15], -v[6:7], v[8:9], 1.0
	v_fmac_f64_e32 v[8:9], v[8:9], v[14:15]
	v_fma_f64 v[14:15], -v[6:7], v[8:9], 1.0
	v_fmac_f64_e32 v[8:9], v[8:9], v[14:15]
	v_mul_f64 v[14:15], v[12:13], v[8:9]
	v_fma_f64 v[6:7], -v[6:7], v[14:15], v[12:13]
	v_div_fmas_f64 v[6:7], v[6:7], v[8:9], v[14:15]
	v_div_fixup_f64 v[8:9], v[6:7], v[4:5], v[2:3]
	v_fmac_f64_e32 v[4:5], v[2:3], v[8:9]
	v_div_scale_f64 v[2:3], s[16:17], v[4:5], v[4:5], 1.0
	v_rcp_f64_e32 v[6:7], v[2:3]
	v_fma_f64 v[12:13], -v[2:3], v[6:7], 1.0
	v_fmac_f64_e32 v[6:7], v[6:7], v[12:13]
	v_fma_f64 v[12:13], -v[2:3], v[6:7], 1.0
	v_fmac_f64_e32 v[6:7], v[6:7], v[12:13]
	v_div_scale_f64 v[12:13], vcc, 1.0, v[4:5], 1.0
	v_mul_f64 v[14:15], v[12:13], v[6:7]
	v_fma_f64 v[2:3], -v[2:3], v[14:15], v[12:13]
	s_nop 1
	v_div_fmas_f64 v[2:3], v[2:3], v[6:7], v[14:15]
	v_div_fixup_f64 v[2:3], v[2:3], v[4:5], 1.0
	v_add_f64 v[4:5], v[8:9], 0
	v_mul_f64 v[6:7], v[4:5], v[2:3]
	v_fma_f64 v[4:5], v[8:9], 0, -1.0
	v_mul_f64 v[8:9], v[4:5], v[2:3]
                                        ; implicit-def: $vgpr2_vgpr3
.LBB200_10:
	s_andn2_saveexec_b64 s[0:1], s[0:1]
	s_cbranch_execz .LBB200_12
; %bb.11:
	v_div_scale_f64 v[6:7], s[16:17], v[2:3], v[2:3], v[4:5]
	v_rcp_f64_e32 v[8:9], v[6:7]
	v_div_scale_f64 v[12:13], vcc, v[4:5], v[2:3], v[4:5]
	v_fma_f64 v[14:15], -v[6:7], v[8:9], 1.0
	v_fmac_f64_e32 v[8:9], v[8:9], v[14:15]
	v_fma_f64 v[14:15], -v[6:7], v[8:9], 1.0
	v_fmac_f64_e32 v[8:9], v[8:9], v[14:15]
	v_mul_f64 v[14:15], v[12:13], v[8:9]
	v_fma_f64 v[6:7], -v[6:7], v[14:15], v[12:13]
	v_div_fmas_f64 v[6:7], v[6:7], v[8:9], v[14:15]
	v_div_fixup_f64 v[8:9], v[6:7], v[2:3], v[4:5]
	v_fmac_f64_e32 v[2:3], v[4:5], v[8:9]
	v_div_scale_f64 v[4:5], s[16:17], v[2:3], v[2:3], 1.0
	v_rcp_f64_e32 v[6:7], v[4:5]
	v_fma_f64 v[12:13], -v[4:5], v[6:7], 1.0
	v_fmac_f64_e32 v[6:7], v[6:7], v[12:13]
	v_fma_f64 v[12:13], -v[4:5], v[6:7], 1.0
	v_fmac_f64_e32 v[6:7], v[6:7], v[12:13]
	v_div_scale_f64 v[12:13], vcc, 1.0, v[2:3], 1.0
	v_mul_f64 v[14:15], v[12:13], v[6:7]
	v_fma_f64 v[4:5], -v[4:5], v[14:15], v[12:13]
	s_nop 1
	v_div_fmas_f64 v[4:5], v[4:5], v[6:7], v[14:15]
	v_div_fixup_f64 v[2:3], v[4:5], v[2:3], 1.0
	v_fma_f64 v[4:5], v[8:9], 0, 1.0
	v_mul_f64 v[6:7], v[4:5], v[2:3]
	v_add_f64 v[4:5], -v[8:9], 0
	v_mul_f64 v[8:9], v[4:5], v[2:3]
.LBB200_12:
	s_or_b64 exec, exec, s[0:1]
	s_branch .LBB200_14
.LBB200_13:
	v_mov_b32_e32 v6, 0
	v_mov_b32_e32 v7, 0x3ff00000
	v_pk_mov_b32 v[8:9], 0, 0
.LBB200_14:
	ds_write_b128 v10, v[6:9]
.LBB200_15:
	s_or_b64 exec, exec, s[24:25]
	s_lshl_b32 s16, s8, 2
	s_add_i32 s37, s37, -1
	s_sub_i32 s0, s23, s16
	s_cmp_ge_u32 s8, s37
	s_cselect_b32 s0, s0, 4
	v_cmp_gt_i32_e32 vcc, s0, v1
	s_waitcnt lgkmcnt(0)
	; wave barrier
	s_waitcnt lgkmcnt(0)
	s_and_saveexec_b64 s[0:1], vcc
	s_cbranch_execz .LBB200_58
; %bb.16:
	s_load_dwordx2 s[0:1], s[4:5], 0x4
	s_load_dword s8, s[6:7], 0x58
	s_load_dwordx2 s[18:19], s[6:7], 0x60
	v_bfe_u32 v2, v0, 10, 10
	v_bfe_u32 v0, v0, 20, 10
	s_waitcnt lgkmcnt(0)
	s_lshr_b32 s0, s0, 16
	s_mul_i32 s0, s0, s1
	v_mul_u32_u24_e32 v2, s1, v2
	v_mul_u32_u24_e32 v3, s0, v1
	s_mul_i32 s0, s9, s19
	s_mul_hi_u32 s1, s9, s18
	s_add_i32 s1, s1, s0
	s_mul_i32 s0, s9, s18
	s_lshl_b64 s[0:1], s[0:1], 4
	s_add_u32 s6, s2, s0
	v_add3_u32 v0, v3, v2, v0
	v_mov_b32_e32 v2, 0x100
	s_addc_u32 s7, s3, s1
	s_lshl_b64 s[4:5], s[10:11], 4
	v_lshl_add_u32 v8, v0, 6, v2
	s_add_u32 s9, s6, s4
	v_add_u32_e32 v0, s16, v1
	s_addc_u32 s10, s7, s5
	v_mad_i64_i32 v[0:1], s[6:7], s8, v0, 0
	v_lshlrev_b64 v[4:5], 4, v[0:1]
	v_mov_b32_e32 v0, s10
	v_add_co_u32_e32 v9, vcc, s9, v4
	v_addc_co_u32_e32 v10, vcc, v0, v5, vcc
	s_cmpk_eq_i32 s20, 0x6f
	s_mov_b64 s[6:7], -1
	s_cbranch_scc1 .LBB200_38
; %bb.17:
	s_add_u32 s6, s2, s4
	s_addc_u32 s7, s3, s5
	s_add_u32 s6, s6, s0
	s_addc_u32 s7, s7, s1
	v_mov_b32_e32 v0, s7
	v_add_co_u32_e32 v1, vcc, s6, v4
	v_addc_co_u32_e32 v0, vcc, v0, v5, vcc
	v_add_co_u32_e32 v11, vcc, 8, v1
	s_mov_b32 s7, 0
	v_addc_co_u32_e32 v12, vcc, 0, v0, vcc
	s_mov_b32 s8, s7
	s_mov_b32 s10, s7
	s_branch .LBB200_19
.LBB200_18:                             ;   in Loop: Header=BB200_19 Depth=1
	s_cmp_ge_i32 s10, s36
	s_cselect_b64 s[16:17], -1, 0
	s_add_i32 s8, s8, 1
	s_cmp_eq_u32 s8, 3
	s_cselect_b64 s[18:19], -1, 0
	s_or_b64 s[16:17], s[16:17], s[18:19]
	s_andn2_b64 vcc, exec, s[16:17]
	s_cbranch_vccz .LBB200_37
.LBB200_19:                             ; =>This Loop Header: Depth=1
                                        ;     Child Loop BB200_22 Depth 2
                                        ;       Child Loop BB200_23 Depth 3
                                        ;       Child Loop BB200_26 Depth 3
                                        ;         Child Loop BB200_27 Depth 4
                                        ;       Child Loop BB200_31 Depth 3
                                        ;         Child Loop BB200_33 Depth 4
	s_mov_b32 s9, s7
	s_lshl_b64 s[16:17], s[8:9], 2
	s_getpc_b64 s[18:19]
	s_add_u32 s18, s18, __const._ZL30rocblas_trsm_small_left_deviceILi4ELi4ELb0E19rocblas_complex_numIdES1_PKS1_PS1_Ev13rocblas_fill_18rocblas_operation_17rocblas_diagonal_iiT3_T4_lilT5_lili.step_sizes@rel32@lo+4
	s_addc_u32 s19, s19, __const._ZL30rocblas_trsm_small_left_deviceILi4ELi4ELb0E19rocblas_complex_numIdES1_PKS1_PS1_Ev13rocblas_fill_18rocblas_operation_17rocblas_diagonal_iiT3_T4_lilT5_lili.step_sizes@rel32@hi+12
	s_add_u32 s16, s16, s18
	s_addc_u32 s17, s17, s19
	s_load_dword s16, s[16:17], 0x0
	s_waitcnt lgkmcnt(0)
	s_add_i32 s9, s16, -1
	s_add_i32 s6, s9, s10
	s_cmp_ge_i32 s6, s36
	s_cbranch_scc1 .LBB200_18
; %bb.20:                               ;   in Loop: Header=BB200_19 Depth=1
	s_ashr_i32 s11, s10, 31
	s_lshl_b64 s[18:19], s[10:11], 4
	v_mov_b32_e32 v0, s19
	v_add_co_u32_e32 v6, vcc, s18, v11
	s_ashr_i32 s17, s16, 31
	s_max_i32 s24, s16, 1
	v_addc_co_u32_e32 v7, vcc, v12, v0, vcc
	s_lshl_b64 s[18:19], s[16:17], 4
	s_lshl_b32 s11, s10, 6
	s_lshl_b32 s17, s16, 6
	s_mul_i32 s25, s10, 0x50
	s_mul_i32 s26, s16, 0x50
	s_branch .LBB200_22
.LBB200_21:                             ;   in Loop: Header=BB200_22 Depth=2
	s_add_i32 s10, s10, s16
	s_add_i32 s6, s9, s10
	v_mov_b32_e32 v0, s19
	s_add_i32 s11, s11, s17
	s_add_i32 s25, s25, s26
	v_add_co_u32_e32 v6, vcc, s18, v6
	s_cmp_ge_i32 s6, s36
	v_addc_co_u32_e32 v7, vcc, v7, v0, vcc
	s_cbranch_scc1 .LBB200_18
.LBB200_22:                             ;   Parent Loop BB200_19 Depth=1
                                        ; =>  This Loop Header: Depth=2
                                        ;       Child Loop BB200_23 Depth 3
                                        ;       Child Loop BB200_26 Depth 3
                                        ;         Child Loop BB200_27 Depth 4
                                        ;       Child Loop BB200_31 Depth 3
                                        ;         Child Loop BB200_33 Depth 4
	v_mov_b32_e32 v2, v8
	v_pk_mov_b32 v[0:1], v[6:7], v[6:7] op_sel:[0,1]
	s_mov_b32 s6, s24
.LBB200_23:                             ;   Parent Loop BB200_19 Depth=1
                                        ;     Parent Loop BB200_22 Depth=2
                                        ; =>    This Inner Loop Header: Depth=3
	global_load_dwordx4 v[14:17], v[0:1], off offset:-8
	s_add_i32 s6, s6, -1
	v_add_co_u32_e32 v0, vcc, 16, v0
	v_addc_co_u32_e32 v1, vcc, 0, v1, vcc
	s_cmp_eq_u32 s6, 0
	s_waitcnt vmcnt(0)
	v_mul_f64 v[20:21], s[14:15], v[16:17]
	v_mul_f64 v[18:19], s[12:13], v[16:17]
	v_fma_f64 v[16:17], s[12:13], v[14:15], -v[20:21]
	v_fmac_f64_e32 v[18:19], s[14:15], v[14:15]
	ds_write_b128 v2, v[16:19]
	v_add_u32_e32 v2, 16, v2
	s_cbranch_scc0 .LBB200_23
; %bb.24:                               ;   in Loop: Header=BB200_22 Depth=2
	s_cmp_lt_i32 s10, 1
	s_cbranch_scc1 .LBB200_29
; %bb.25:                               ;   in Loop: Header=BB200_22 Depth=2
	s_mov_b32 s6, 0
	s_mov_b32 s20, s11
.LBB200_26:                             ;   Parent Loop BB200_19 Depth=1
                                        ;     Parent Loop BB200_22 Depth=2
                                        ; =>    This Loop Header: Depth=3
                                        ;         Child Loop BB200_27 Depth 4
	s_lshl_b64 s[22:23], s[6:7], 4
	v_mov_b32_e32 v1, s23
	v_add_co_u32_e32 v0, vcc, s22, v9
	v_addc_co_u32_e32 v1, vcc, v10, v1, vcc
	global_load_dwordx4 v[0:3], v[0:1], off
	v_mov_b32_e32 v13, v8
	s_mov_b32 s21, s20
	s_mov_b32 s22, s24
.LBB200_27:                             ;   Parent Loop BB200_19 Depth=1
                                        ;     Parent Loop BB200_22 Depth=2
                                        ;       Parent Loop BB200_26 Depth=3
                                        ; =>      This Inner Loop Header: Depth=4
	v_mov_b32_e32 v18, s21
	ds_read_b128 v[18:21], v18
	ds_read_b128 v[14:17], v13
	s_add_i32 s22, s22, -1
	s_add_i32 s21, s21, 64
	s_cmp_eq_u32 s22, 0
	s_waitcnt vmcnt(0) lgkmcnt(1)
	v_mul_f64 v[22:23], v[2:3], v[20:21]
	v_mul_f64 v[20:21], v[0:1], v[20:21]
	v_fma_f64 v[22:23], v[0:1], v[18:19], -v[22:23]
	v_fmac_f64_e32 v[20:21], v[2:3], v[18:19]
	s_waitcnt lgkmcnt(0)
	v_add_f64 v[14:15], v[14:15], -v[22:23]
	v_add_f64 v[16:17], v[16:17], -v[20:21]
	ds_write_b128 v13, v[14:17]
	v_add_u32_e32 v13, 16, v13
	s_cbranch_scc0 .LBB200_27
; %bb.28:                               ;   in Loop: Header=BB200_26 Depth=3
	s_add_i32 s6, s6, 1
	s_add_i32 s20, s20, 16
	s_cmp_ge_i32 s6, s10
	s_cbranch_scc0 .LBB200_26
.LBB200_29:                             ;   in Loop: Header=BB200_22 Depth=2
	s_mov_b32 s6, 0
	s_mov_b32 s27, s25
	s_branch .LBB200_31
.LBB200_30:                             ;   in Loop: Header=BB200_31 Depth=3
	s_mul_i32 s21, s20, 0x50
	v_mov_b32_e32 v14, s21
	ds_read_b128 v[14:17], v14
	s_ashr_i32 s21, s20, 31
	s_lshl_b64 s[20:21], s[20:21], 4
	s_add_i32 s6, s6, 1
	s_add_i32 s27, s27, 64
	s_waitcnt lgkmcnt(0)
	v_mul_f64 v[18:19], v[16:17], v[2:3]
	v_mul_f64 v[20:21], v[14:15], v[2:3]
	v_fma_f64 v[18:19], v[14:15], v[0:1], -v[18:19]
	v_fmac_f64_e32 v[20:21], v[16:17], v[0:1]
	v_mov_b32_e32 v1, s21
	v_add_co_u32_e32 v0, vcc, s20, v9
	v_addc_co_u32_e32 v1, vcc, v10, v1, vcc
	s_cmp_eq_u32 s6, s24
	ds_write_b128 v13, v[18:21]
	global_store_dwordx4 v[0:1], v[18:21], off
	s_cbranch_scc1 .LBB200_21
.LBB200_31:                             ;   Parent Loop BB200_19 Depth=1
                                        ;     Parent Loop BB200_22 Depth=2
                                        ; =>    This Loop Header: Depth=3
                                        ;         Child Loop BB200_33 Depth 4
	s_cmp_lg_u32 s6, 0
	v_lshl_add_u32 v13, s6, 4, v8
	s_cbranch_scc0 .LBB200_35
; %bb.32:                               ;   in Loop: Header=BB200_31 Depth=3
	ds_read_b128 v[0:3], v13
	s_add_i32 s20, s6, s10
	s_mov_b32 s21, 0
	s_mov_b32 s22, s27
	v_mov_b32_e32 v14, v8
.LBB200_33:                             ;   Parent Loop BB200_19 Depth=1
                                        ;     Parent Loop BB200_22 Depth=2
                                        ;       Parent Loop BB200_31 Depth=3
                                        ; =>      This Inner Loop Header: Depth=4
	v_mov_b32_e32 v15, s22
	ds_read_b128 v[16:19], v14
	ds_read_b128 v[20:23], v15
	s_add_i32 s21, s21, 1
	s_add_i32 s22, s22, 16
	v_add_u32_e32 v14, 16, v14
	s_cmp_ge_u32 s21, s6
	s_waitcnt lgkmcnt(0)
	v_mul_f64 v[24:25], v[22:23], v[18:19]
	v_mul_f64 v[18:19], v[20:21], v[18:19]
	v_fma_f64 v[20:21], v[20:21], v[16:17], -v[24:25]
	v_fmac_f64_e32 v[18:19], v[22:23], v[16:17]
	v_add_f64 v[0:1], v[0:1], -v[20:21]
	v_add_f64 v[2:3], v[2:3], -v[18:19]
	ds_write_b128 v13, v[0:3]
	s_cbranch_scc0 .LBB200_33
; %bb.34:                               ;   in Loop: Header=BB200_31 Depth=3
	s_branch .LBB200_30
.LBB200_35:                             ;   in Loop: Header=BB200_31 Depth=3
                                        ; implicit-def: $vgpr0_vgpr1
                                        ; implicit-def: $sgpr20
	s_cbranch_execz .LBB200_30
; %bb.36:                               ;   in Loop: Header=BB200_31 Depth=3
	ds_read_b128 v[0:3], v8
	s_mov_b32 s20, s10
	s_branch .LBB200_30
.LBB200_37:
	s_mov_b64 s[6:7], 0
.LBB200_38:
	s_and_b64 vcc, exec, s[6:7]
	s_cbranch_vccz .LBB200_58
; %bb.39:
	s_add_u32 s2, s2, s4
	s_addc_u32 s3, s3, s5
	s_add_u32 s0, s2, s0
	s_addc_u32 s1, s3, s1
	v_mov_b32_e32 v0, s1
	v_add_co_u32_e32 v1, vcc, s0, v4
	v_addc_co_u32_e32 v0, vcc, v0, v5, vcc
	v_add_co_u32_e32 v4, vcc, 8, v1
	s_lshl_b32 s0, s36, 6
	s_mov_b32 s1, 0
	v_addc_co_u32_e32 v5, vcc, 0, v0, vcc
	s_sub_i32 s10, s0, 64
	s_mov_b32 s2, s33
	s_mov_b32 s0, s1
	s_branch .LBB200_41
.LBB200_40:                             ;   in Loop: Header=BB200_41 Depth=1
	s_cmp_lt_i32 s2, 0
	s_cselect_b64 s[4:5], -1, 0
	s_add_i32 s0, s0, 1
	s_cmp_eq_u32 s0, 3
	s_cselect_b64 s[6:7], -1, 0
	s_or_b64 s[4:5], s[4:5], s[6:7]
	s_and_b64 vcc, exec, s[4:5]
	s_cbranch_vccnz .LBB200_58
.LBB200_41:                             ; =>This Loop Header: Depth=1
                                        ;     Child Loop BB200_44 Depth 2
                                        ;       Child Loop BB200_45 Depth 3
                                        ;       Child Loop BB200_47 Depth 3
                                        ;         Child Loop BB200_48 Depth 4
                                        ;       Child Loop BB200_52 Depth 3
                                        ;         Child Loop BB200_54 Depth 4
	s_lshl_b64 s[4:5], s[0:1], 2
	s_getpc_b64 s[6:7]
	s_add_u32 s6, s6, __const._ZL30rocblas_trsm_small_left_deviceILi4ELi4ELb0E19rocblas_complex_numIdES1_PKS1_PS1_Ev13rocblas_fill_18rocblas_operation_17rocblas_diagonal_iiT3_T4_lilT5_lili.step_sizes@rel32@lo+4
	s_addc_u32 s7, s7, __const._ZL30rocblas_trsm_small_left_deviceILi4ELi4ELb0E19rocblas_complex_numIdES1_PKS1_PS1_Ev13rocblas_fill_18rocblas_operation_17rocblas_diagonal_iiT3_T4_lilT5_lili.step_sizes@rel32@hi+12
	s_add_u32 s4, s4, s6
	s_addc_u32 s5, s5, s7
	s_load_dword s11, s[4:5], 0x0
	s_waitcnt lgkmcnt(0)
	s_add_i32 s16, s11, -1
	s_cmp_lt_i32 s2, s16
	s_cbranch_scc1 .LBB200_40
; %bb.42:                               ;   in Loop: Header=BB200_41 Depth=1
	s_lshl_b32 s3, s2, 4
	s_add_i32 s18, s10, s3
	s_lshl_b32 s3, s11, 4
	s_max_i32 s17, s11, 1
	s_sub_i32 s19, 0, s3
	s_mul_i32 s20, s2, 0x50
	s_mul_i32 s21, s11, 0xffffffb0
	s_branch .LBB200_44
.LBB200_43:                             ;   in Loop: Header=BB200_44 Depth=2
	s_sub_i32 s2, s2, s11
	s_add_i32 s18, s18, s19
	s_add_i32 s20, s20, s21
	s_cmp_lt_i32 s2, s16
	s_cbranch_scc1 .LBB200_40
.LBB200_44:                             ;   Parent Loop BB200_41 Depth=1
                                        ; =>  This Loop Header: Depth=2
                                        ;       Child Loop BB200_45 Depth 3
                                        ;       Child Loop BB200_47 Depth 3
                                        ;         Child Loop BB200_48 Depth 4
                                        ;       Child Loop BB200_52 Depth 3
                                        ;         Child Loop BB200_54 Depth 4
	s_ashr_i32 s3, s2, 31
	s_lshl_b64 s[4:5], s[2:3], 4
	v_mov_b32_e32 v1, s5
	v_add_co_u32_e32 v0, vcc, s4, v4
	v_addc_co_u32_e32 v1, vcc, v5, v1, vcc
	v_mov_b32_e32 v2, v8
	s_mov_b32 s4, s17
.LBB200_45:                             ;   Parent Loop BB200_41 Depth=1
                                        ;     Parent Loop BB200_44 Depth=2
                                        ; =>    This Inner Loop Header: Depth=3
	global_load_dwordx4 v[12:15], v[0:1], off offset:-8
	s_add_i32 s4, s4, -1
	v_add_co_u32_e32 v0, vcc, -16, v0
	v_addc_co_u32_e32 v1, vcc, -1, v1, vcc
	s_cmp_eq_u32 s4, 0
	s_waitcnt vmcnt(0)
	v_mul_f64 v[6:7], s[14:15], v[14:15]
	v_mul_f64 v[16:17], s[12:13], v[14:15]
	v_fma_f64 v[14:15], s[12:13], v[12:13], -v[6:7]
	v_fmac_f64_e32 v[16:17], s[14:15], v[12:13]
	ds_write_b128 v2, v[14:17]
	v_add_u32_e32 v2, 16, v2
	s_cbranch_scc0 .LBB200_45
; %bb.46:                               ;   in Loop: Header=BB200_44 Depth=2
	s_cmp_le_i32 s33, s2
	s_mov_b32 s6, s18
	s_mov_b32 s4, s33
	s_cbranch_scc1 .LBB200_50
.LBB200_47:                             ;   Parent Loop BB200_41 Depth=1
                                        ;     Parent Loop BB200_44 Depth=2
                                        ; =>    This Loop Header: Depth=3
                                        ;         Child Loop BB200_48 Depth 4
	s_ashr_i32 s5, s4, 31
	s_lshl_b64 s[8:9], s[4:5], 4
	v_mov_b32_e32 v1, s9
	v_add_co_u32_e32 v0, vcc, s8, v9
	v_addc_co_u32_e32 v1, vcc, v10, v1, vcc
	global_load_dwordx4 v[0:3], v[0:1], off
	v_mov_b32_e32 v6, v8
	s_mov_b32 s5, s17
	s_mov_b32 s7, s6
.LBB200_48:                             ;   Parent Loop BB200_41 Depth=1
                                        ;     Parent Loop BB200_44 Depth=2
                                        ;       Parent Loop BB200_47 Depth=3
                                        ; =>      This Inner Loop Header: Depth=4
	v_mov_b32_e32 v7, s7
	ds_read_b128 v[16:19], v7
	ds_read_b128 v[12:15], v6
	s_add_i32 s7, s7, -16
	s_add_i32 s5, s5, -1
	s_cmp_eq_u32 s5, 0
	s_waitcnt vmcnt(0) lgkmcnt(1)
	v_mul_f64 v[20:21], v[2:3], v[18:19]
	v_mul_f64 v[18:19], v[0:1], v[18:19]
	v_fma_f64 v[20:21], v[0:1], v[16:17], -v[20:21]
	v_fmac_f64_e32 v[18:19], v[2:3], v[16:17]
	s_waitcnt lgkmcnt(0)
	v_add_f64 v[12:13], v[12:13], -v[20:21]
	v_add_f64 v[14:15], v[14:15], -v[18:19]
	ds_write_b128 v6, v[12:15]
	v_add_u32_e32 v6, 16, v6
	s_cbranch_scc0 .LBB200_48
; %bb.49:                               ;   in Loop: Header=BB200_47 Depth=3
	s_add_i32 s4, s4, -1
	s_sub_i32 s6, s6, 64
	s_cmp_le_i32 s4, s2
	s_cbranch_scc0 .LBB200_47
.LBB200_50:                             ;   in Loop: Header=BB200_44 Depth=2
	s_mov_b32 s22, 0
	s_mov_b32 s23, s20
	s_branch .LBB200_52
.LBB200_51:                             ;   in Loop: Header=BB200_52 Depth=3
	s_mulk_i32 s6, 0x50
	v_mov_b32_e32 v7, s6
	ds_read_b128 v[12:15], v7
	s_lshl_b64 s[4:5], s[4:5], 4
	v_mov_b32_e32 v7, s5
	s_add_i32 s22, s22, 1
	s_add_i32 s23, s23, -16
	s_waitcnt lgkmcnt(0)
	v_mul_f64 v[16:17], v[14:15], v[2:3]
	v_mul_f64 v[18:19], v[12:13], v[2:3]
	v_fma_f64 v[16:17], v[12:13], v[0:1], -v[16:17]
	v_fmac_f64_e32 v[18:19], v[14:15], v[0:1]
	v_add_co_u32_e32 v0, vcc, s4, v9
	v_addc_co_u32_e32 v1, vcc, v10, v7, vcc
	s_cmp_eq_u32 s22, s17
	ds_write_b128 v6, v[16:19]
	global_store_dwordx4 v[0:1], v[16:19], off
	s_cbranch_scc1 .LBB200_43
.LBB200_52:                             ;   Parent Loop BB200_41 Depth=1
                                        ;     Parent Loop BB200_44 Depth=2
                                        ; =>    This Loop Header: Depth=3
                                        ;         Child Loop BB200_54 Depth 4
	s_cmp_lg_u32 s22, 0
	v_lshl_add_u32 v6, s22, 4, v8
	s_cbranch_scc0 .LBB200_56
; %bb.53:                               ;   in Loop: Header=BB200_52 Depth=3
	ds_read_b128 v[0:3], v6
	s_mov_b32 s4, 0
	v_mov_b32_e32 v7, v8
	s_mov_b32 s5, s23
.LBB200_54:                             ;   Parent Loop BB200_41 Depth=1
                                        ;     Parent Loop BB200_44 Depth=2
                                        ;       Parent Loop BB200_52 Depth=3
                                        ; =>      This Inner Loop Header: Depth=4
	v_mov_b32_e32 v11, s5
	ds_read_b128 v[12:15], v7
	ds_read_b128 v[16:19], v11
	s_add_i32 s4, s4, 1
	s_sub_i32 s5, s5, 64
	v_add_u32_e32 v7, 16, v7
	s_cmp_ge_u32 s4, s22
	s_waitcnt lgkmcnt(0)
	v_mul_f64 v[20:21], v[18:19], v[14:15]
	v_mul_f64 v[14:15], v[16:17], v[14:15]
	v_fma_f64 v[16:17], v[16:17], v[12:13], -v[20:21]
	v_fmac_f64_e32 v[14:15], v[18:19], v[12:13]
	v_add_f64 v[0:1], v[0:1], -v[16:17]
	v_add_f64 v[2:3], v[2:3], -v[14:15]
	ds_write_b128 v6, v[0:3]
	s_cbranch_scc0 .LBB200_54
; %bb.55:                               ;   in Loop: Header=BB200_52 Depth=3
	s_sub_i32 s6, s2, s22
	s_ashr_i32 s7, s6, 31
	s_mov_b64 s[4:5], s[6:7]
	s_branch .LBB200_51
.LBB200_56:                             ;   in Loop: Header=BB200_52 Depth=3
                                        ; implicit-def: $vgpr0_vgpr1
                                        ; implicit-def: $sgpr6
                                        ; implicit-def: $sgpr4_sgpr5
	s_cbranch_execz .LBB200_51
; %bb.57:                               ;   in Loop: Header=BB200_52 Depth=3
	ds_read_b128 v[0:3], v8
	s_mov_b64 s[4:5], s[2:3]
	s_mov_b32 s6, s2
	s_branch .LBB200_51
.LBB200_58:
	s_endpgm
	.section	.rodata,"a",@progbits
	.p2align	6, 0x0
	.amdhsa_kernel _ZL30rocblas_trsm_small_left_deviceILi4ELi4ELb0E19rocblas_complex_numIdES1_PKS1_PS1_Ev13rocblas_fill_18rocblas_operation_17rocblas_diagonal_iiT3_T4_lilT5_lili
		.amdhsa_group_segment_fixed_size 512
		.amdhsa_private_segment_fixed_size 0
		.amdhsa_kernarg_size 368
		.amdhsa_user_sgpr_count 8
		.amdhsa_user_sgpr_private_segment_buffer 1
		.amdhsa_user_sgpr_dispatch_ptr 1
		.amdhsa_user_sgpr_queue_ptr 0
		.amdhsa_user_sgpr_kernarg_segment_ptr 1
		.amdhsa_user_sgpr_dispatch_id 0
		.amdhsa_user_sgpr_flat_scratch_init 0
		.amdhsa_user_sgpr_kernarg_preload_length 0
		.amdhsa_user_sgpr_kernarg_preload_offset 0
		.amdhsa_user_sgpr_private_segment_size 0
		.amdhsa_uses_dynamic_stack 0
		.amdhsa_system_sgpr_private_segment_wavefront_offset 0
		.amdhsa_system_sgpr_workgroup_id_x 1
		.amdhsa_system_sgpr_workgroup_id_y 0
		.amdhsa_system_sgpr_workgroup_id_z 1
		.amdhsa_system_sgpr_workgroup_info 0
		.amdhsa_system_vgpr_workitem_id 2
		.amdhsa_next_free_vgpr 26
		.amdhsa_next_free_sgpr 40
		.amdhsa_accum_offset 28
		.amdhsa_reserve_vcc 1
		.amdhsa_reserve_flat_scratch 0
		.amdhsa_float_round_mode_32 0
		.amdhsa_float_round_mode_16_64 0
		.amdhsa_float_denorm_mode_32 3
		.amdhsa_float_denorm_mode_16_64 3
		.amdhsa_dx10_clamp 1
		.amdhsa_ieee_mode 1
		.amdhsa_fp16_overflow 0
		.amdhsa_tg_split 0
		.amdhsa_exception_fp_ieee_invalid_op 0
		.amdhsa_exception_fp_denorm_src 0
		.amdhsa_exception_fp_ieee_div_zero 0
		.amdhsa_exception_fp_ieee_overflow 0
		.amdhsa_exception_fp_ieee_underflow 0
		.amdhsa_exception_fp_ieee_inexact 0
		.amdhsa_exception_int_div_zero 0
	.end_amdhsa_kernel
	.section	.text._ZL30rocblas_trsm_small_left_deviceILi4ELi4ELb0E19rocblas_complex_numIdES1_PKS1_PS1_Ev13rocblas_fill_18rocblas_operation_17rocblas_diagonal_iiT3_T4_lilT5_lili,"axG",@progbits,_ZL30rocblas_trsm_small_left_deviceILi4ELi4ELb0E19rocblas_complex_numIdES1_PKS1_PS1_Ev13rocblas_fill_18rocblas_operation_17rocblas_diagonal_iiT3_T4_lilT5_lili,comdat
.Lfunc_end200:
	.size	_ZL30rocblas_trsm_small_left_deviceILi4ELi4ELb0E19rocblas_complex_numIdES1_PKS1_PS1_Ev13rocblas_fill_18rocblas_operation_17rocblas_diagonal_iiT3_T4_lilT5_lili, .Lfunc_end200-_ZL30rocblas_trsm_small_left_deviceILi4ELi4ELb0E19rocblas_complex_numIdES1_PKS1_PS1_Ev13rocblas_fill_18rocblas_operation_17rocblas_diagonal_iiT3_T4_lilT5_lili
                                        ; -- End function
	.section	.AMDGPU.csdata,"",@progbits
; Kernel info:
; codeLenInByte = 2888
; NumSgprs: 44
; NumVgprs: 26
; NumAgprs: 0
; TotalNumVgprs: 26
; ScratchSize: 0
; MemoryBound: 0
; FloatMode: 240
; IeeeMode: 1
; LDSByteSize: 512 bytes/workgroup (compile time only)
; SGPRBlocks: 5
; VGPRBlocks: 3
; NumSGPRsForWavesPerEU: 44
; NumVGPRsForWavesPerEU: 26
; AccumOffset: 28
; Occupancy: 8
; WaveLimiterHint : 0
; COMPUTE_PGM_RSRC2:SCRATCH_EN: 0
; COMPUTE_PGM_RSRC2:USER_SGPR: 8
; COMPUTE_PGM_RSRC2:TRAP_HANDLER: 0
; COMPUTE_PGM_RSRC2:TGID_X_EN: 1
; COMPUTE_PGM_RSRC2:TGID_Y_EN: 0
; COMPUTE_PGM_RSRC2:TGID_Z_EN: 1
; COMPUTE_PGM_RSRC2:TIDIG_COMP_CNT: 2
; COMPUTE_PGM_RSRC3_GFX90A:ACCUM_OFFSET: 6
; COMPUTE_PGM_RSRC3_GFX90A:TG_SPLIT: 0
	.section	.text._ZL38rocblas_trsm_small_left_device_sharedBILi4ELi4ELb1E19rocblas_complex_numIdES1_PKS1_PS1_Ev13rocblas_fill_18rocblas_operation_17rocblas_diagonal_iiT3_T4_lilT5_lili,"axG",@progbits,_ZL38rocblas_trsm_small_left_device_sharedBILi4ELi4ELb1E19rocblas_complex_numIdES1_PKS1_PS1_Ev13rocblas_fill_18rocblas_operation_17rocblas_diagonal_iiT3_T4_lilT5_lili,comdat
	.globl	_ZL38rocblas_trsm_small_left_device_sharedBILi4ELi4ELb1E19rocblas_complex_numIdES1_PKS1_PS1_Ev13rocblas_fill_18rocblas_operation_17rocblas_diagonal_iiT3_T4_lilT5_lili ; -- Begin function _ZL38rocblas_trsm_small_left_device_sharedBILi4ELi4ELb1E19rocblas_complex_numIdES1_PKS1_PS1_Ev13rocblas_fill_18rocblas_operation_17rocblas_diagonal_iiT3_T4_lilT5_lili
	.p2align	8
	.type	_ZL38rocblas_trsm_small_left_device_sharedBILi4ELi4ELb1E19rocblas_complex_numIdES1_PKS1_PS1_Ev13rocblas_fill_18rocblas_operation_17rocblas_diagonal_iiT3_T4_lilT5_lili,@function
_ZL38rocblas_trsm_small_left_device_sharedBILi4ELi4ELb1E19rocblas_complex_numIdES1_PKS1_PS1_Ev13rocblas_fill_18rocblas_operation_17rocblas_diagonal_iiT3_T4_lilT5_lili: ; @_ZL38rocblas_trsm_small_left_device_sharedBILi4ELi4ELb1E19rocblas_complex_numIdES1_PKS1_PS1_Ev13rocblas_fill_18rocblas_operation_17rocblas_diagonal_iiT3_T4_lilT5_lili
; %bb.0:
	s_load_dwordx4 s[20:23], s[6:7], 0x4
	s_load_dwordx8 s[12:19], s[6:7], 0x18
	s_load_dwordx4 s[0:3], s[6:7], 0x40
	s_load_dwordx2 s[10:11], s[6:7], 0x50
	s_load_dword s37, s[6:7], 0x70
	v_and_b32_e32 v10, 0x3ff, v0
	s_waitcnt lgkmcnt(0)
	s_min_i32 s33, s22, 4
	s_mov_b32 s38, 0
	s_add_i32 s36, s33, -1
	v_cmp_gt_i32_e32 vcc, s33, v10
	s_and_saveexec_b64 s[24:25], vcc
	s_cbranch_execz .LBB201_15
; %bb.1:
	s_load_dword s26, s[6:7], 0x38
	s_mul_i32 s39, s1, s9
	s_mul_hi_u32 s40, s0, s9
	s_mul_i32 s28, s0, s9
	s_waitcnt lgkmcnt(0)
	s_ashr_i32 s27, s26, 31
	s_cmpk_eq_i32 s20, 0x71
	s_cselect_b64 vcc, -1, 0
	s_cmp_lt_u32 s36, 3
	s_cbranch_scc1 .LBB201_4
; %bb.2:
	s_add_i32 s29, s40, s39
	s_and_b32 s38, s33, -4
	s_lshl_b64 s[0:1], s[28:29], 4
	s_lshl_b64 s[30:31], s[18:19], 4
	s_add_u32 s0, s0, s30
	s_addc_u32 s1, s1, s31
	s_add_u32 s0, s16, s0
	v_lshlrev_b32_e32 v2, 4, v10
	s_addc_u32 s1, s17, s1
	v_mov_b32_e32 v3, s1
	v_add_co_u32_e64 v2, s[0:1], s0, v2
	v_addc_co_u32_e64 v3, s[0:1], 0, v3, s[0:1]
	v_add_co_u32_e64 v2, s[0:1], 8, v2
	s_lshl_b64 s[30:31], s[26:27], 6
	s_lshl_b64 s[34:35], s[26:27], 4
	v_lshlrev_b32_e32 v1, 4, v10
	v_addc_co_u32_e64 v3, s[0:1], 0, v3, s[0:1]
	s_mov_b32 s29, 0
	v_mov_b32_e32 v4, s35
	v_mov_b32_e32 v5, s31
.LBB201_3:                              ; =>This Inner Loop Header: Depth=1
	v_add_co_u32_e64 v20, s[0:1], s34, v2
	v_addc_co_u32_e64 v21, s[0:1], v3, v4, s[0:1]
	v_add_co_u32_e64 v22, s[0:1], s34, v20
	global_load_dwordx4 v[6:9], v[2:3], off offset:-8
	v_addc_co_u32_e64 v23, s[0:1], v21, v4, s[0:1]
	global_load_dwordx4 v[12:15], v[20:21], off offset:-8
	global_load_dwordx4 v[16:19], v[22:23], off offset:-8
	v_add_co_u32_e64 v20, s[0:1], s34, v22
	v_addc_co_u32_e64 v21, s[0:1], v23, v4, s[0:1]
	global_load_dwordx4 v[20:23], v[20:21], off offset:-8
	s_add_i32 s29, s29, 4
	v_add_co_u32_e64 v2, s[0:1], s30, v2
	s_cmp_eq_u32 s38, s29
	v_addc_co_u32_e64 v3, s[0:1], v3, v5, s[0:1]
	s_waitcnt vmcnt(3)
	v_xor_b32_e32 v11, 0x80000000, v9
	v_cndmask_b32_e32 v9, v9, v11, vcc
	ds_write_b128 v1, v[6:9]
	s_waitcnt vmcnt(1)
	v_xor_b32_e32 v6, 0x80000000, v19
	v_xor_b32_e32 v11, 0x80000000, v15
	v_cndmask_b32_e32 v19, v19, v6, vcc
	v_cndmask_b32_e32 v15, v15, v11, vcc
	ds_write_b128 v1, v[12:15] offset:64
	s_waitcnt vmcnt(0)
	v_xor_b32_e32 v6, 0x80000000, v23
	v_cndmask_b32_e32 v23, v23, v6, vcc
	ds_write_b128 v1, v[16:19] offset:128
	ds_write_b128 v1, v[20:23] offset:192
	v_add_u32_e32 v1, 0x100, v1
	s_cbranch_scc0 .LBB201_3
.LBB201_4:
	s_and_b32 s30, s33, 3
	s_cmp_eq_u32 s30, 0
	s_cbranch_scc1 .LBB201_7
; %bb.5:
	s_add_i32 s29, s40, s39
	s_lshl_b64 s[0:1], s[28:29], 4
	s_mul_i32 s28, s27, s38
	s_mul_hi_u32 s29, s26, s38
	s_add_i32 s29, s29, s28
	s_mul_i32 s28, s26, s38
	s_lshl_b64 s[28:29], s[28:29], 4
	s_add_u32 s28, s0, s28
	s_addc_u32 s29, s1, s29
	s_lshl_b64 s[0:1], s[18:19], 4
	s_add_u32 s0, s28, s0
	s_addc_u32 s1, s29, s1
	s_add_u32 s0, s16, s0
	v_lshlrev_b32_e32 v2, 4, v10
	s_addc_u32 s1, s17, s1
	v_lshl_or_b32 v1, s38, 6, v2
	v_mov_b32_e32 v3, s1
	v_add_co_u32_e64 v2, s[0:1], s0, v2
	v_addc_co_u32_e64 v3, s[0:1], 0, v3, s[0:1]
	v_add_co_u32_e64 v2, s[0:1], 8, v2
	s_lshl_b64 s[16:17], s[26:27], 4
	v_addc_co_u32_e64 v3, s[0:1], 0, v3, s[0:1]
	v_mov_b32_e32 v4, s17
.LBB201_6:                              ; =>This Inner Loop Header: Depth=1
	global_load_dwordx4 v[6:9], v[2:3], off offset:-8
	v_add_co_u32_e64 v2, s[0:1], s16, v2
	s_add_i32 s30, s30, -1
	v_addc_co_u32_e64 v3, s[0:1], v3, v4, s[0:1]
	s_cmp_lg_u32 s30, 0
	s_waitcnt vmcnt(0)
	v_xor_b32_e32 v5, 0x80000000, v9
	v_cndmask_b32_e32 v9, v9, v5, vcc
	ds_write_b128 v1, v[6:9]
	v_add_u32_e32 v1, 64, v1
	s_cbranch_scc1 .LBB201_6
.LBB201_7:
	v_mul_u32_u24_e32 v1, 5, v10
	s_cmpk_lg_i32 s21, 0x84
	v_lshlrev_b32_e32 v1, 4, v1
	s_cbranch_scc0 .LBB201_13
; %bb.8:
	ds_read_b128 v[2:5], v1
	s_waitcnt lgkmcnt(0)
	v_xor_b32_e32 v7, 0x80000000, v3
	v_cmp_gt_f64_e32 vcc, 0, v[2:3]
	v_xor_b32_e32 v8, 0x80000000, v5
	v_cndmask_b32_e32 v7, v3, v7, vcc
	v_cmp_gt_f64_e32 vcc, 0, v[4:5]
	v_mov_b32_e32 v6, v2
	v_cndmask_b32_e32 v9, v5, v8, vcc
	v_mov_b32_e32 v8, v4
	v_cmp_ngt_f64_e32 vcc, v[6:7], v[8:9]
                                        ; implicit-def: $vgpr8_vgpr9
	s_and_saveexec_b64 s[0:1], vcc
	s_xor_b64 s[0:1], exec, s[0:1]
	s_cbranch_execz .LBB201_10
; %bb.9:
	v_div_scale_f64 v[6:7], s[16:17], v[4:5], v[4:5], v[2:3]
	v_rcp_f64_e32 v[8:9], v[6:7]
	v_div_scale_f64 v[12:13], vcc, v[2:3], v[4:5], v[2:3]
	v_fma_f64 v[14:15], -v[6:7], v[8:9], 1.0
	v_fmac_f64_e32 v[8:9], v[8:9], v[14:15]
	v_fma_f64 v[14:15], -v[6:7], v[8:9], 1.0
	v_fmac_f64_e32 v[8:9], v[8:9], v[14:15]
	v_mul_f64 v[14:15], v[12:13], v[8:9]
	v_fma_f64 v[6:7], -v[6:7], v[14:15], v[12:13]
	v_div_fmas_f64 v[6:7], v[6:7], v[8:9], v[14:15]
	v_div_fixup_f64 v[8:9], v[6:7], v[4:5], v[2:3]
	v_fmac_f64_e32 v[4:5], v[2:3], v[8:9]
	v_div_scale_f64 v[2:3], s[16:17], v[4:5], v[4:5], 1.0
	v_rcp_f64_e32 v[6:7], v[2:3]
	v_fma_f64 v[12:13], -v[2:3], v[6:7], 1.0
	v_fmac_f64_e32 v[6:7], v[6:7], v[12:13]
	v_fma_f64 v[12:13], -v[2:3], v[6:7], 1.0
	v_fmac_f64_e32 v[6:7], v[6:7], v[12:13]
	v_div_scale_f64 v[12:13], vcc, 1.0, v[4:5], 1.0
	v_mul_f64 v[14:15], v[12:13], v[6:7]
	v_fma_f64 v[2:3], -v[2:3], v[14:15], v[12:13]
	s_nop 1
	v_div_fmas_f64 v[2:3], v[2:3], v[6:7], v[14:15]
	v_div_fixup_f64 v[2:3], v[2:3], v[4:5], 1.0
	v_add_f64 v[4:5], v[8:9], 0
	v_mul_f64 v[6:7], v[4:5], v[2:3]
	v_fma_f64 v[4:5], v[8:9], 0, -1.0
	v_mul_f64 v[8:9], v[4:5], v[2:3]
                                        ; implicit-def: $vgpr2_vgpr3
.LBB201_10:
	s_andn2_saveexec_b64 s[0:1], s[0:1]
	s_cbranch_execz .LBB201_12
; %bb.11:
	v_div_scale_f64 v[6:7], s[16:17], v[2:3], v[2:3], v[4:5]
	v_rcp_f64_e32 v[8:9], v[6:7]
	v_div_scale_f64 v[12:13], vcc, v[4:5], v[2:3], v[4:5]
	v_fma_f64 v[14:15], -v[6:7], v[8:9], 1.0
	v_fmac_f64_e32 v[8:9], v[8:9], v[14:15]
	v_fma_f64 v[14:15], -v[6:7], v[8:9], 1.0
	v_fmac_f64_e32 v[8:9], v[8:9], v[14:15]
	v_mul_f64 v[14:15], v[12:13], v[8:9]
	v_fma_f64 v[6:7], -v[6:7], v[14:15], v[12:13]
	v_div_fmas_f64 v[6:7], v[6:7], v[8:9], v[14:15]
	v_div_fixup_f64 v[8:9], v[6:7], v[2:3], v[4:5]
	v_fmac_f64_e32 v[2:3], v[4:5], v[8:9]
	v_div_scale_f64 v[4:5], s[16:17], v[2:3], v[2:3], 1.0
	v_rcp_f64_e32 v[6:7], v[4:5]
	v_fma_f64 v[12:13], -v[4:5], v[6:7], 1.0
	v_fmac_f64_e32 v[6:7], v[6:7], v[12:13]
	v_fma_f64 v[12:13], -v[4:5], v[6:7], 1.0
	v_fmac_f64_e32 v[6:7], v[6:7], v[12:13]
	v_div_scale_f64 v[12:13], vcc, 1.0, v[2:3], 1.0
	v_mul_f64 v[14:15], v[12:13], v[6:7]
	v_fma_f64 v[4:5], -v[4:5], v[14:15], v[12:13]
	s_nop 1
	v_div_fmas_f64 v[4:5], v[4:5], v[6:7], v[14:15]
	v_div_fixup_f64 v[2:3], v[4:5], v[2:3], 1.0
	v_fma_f64 v[4:5], v[8:9], 0, 1.0
	v_mul_f64 v[6:7], v[4:5], v[2:3]
	v_add_f64 v[4:5], -v[8:9], 0
	v_mul_f64 v[8:9], v[4:5], v[2:3]
.LBB201_12:
	s_or_b64 exec, exec, s[0:1]
	s_branch .LBB201_14
.LBB201_13:
	v_mov_b32_e32 v6, 0
	v_mov_b32_e32 v7, 0x3ff00000
	v_pk_mov_b32 v[8:9], 0, 0
.LBB201_14:
	ds_write_b128 v1, v[6:9]
.LBB201_15:
	s_or_b64 exec, exec, s[24:25]
	s_load_dword s18, s[6:7], 0x58
	s_load_dwordx2 s[0:1], s[6:7], 0x60
	s_add_i32 s37, s37, -1
	s_waitcnt lgkmcnt(0)
	s_ashr_i32 s19, s18, 31
	s_mul_i32 s1, s9, s1
	s_mul_hi_u32 s7, s9, s0
	s_mul_i32 s6, s9, s0
	s_lshl_b32 s0, s8, 2
	s_add_i32 s7, s7, s1
	s_sub_i32 s1, s23, s0
	s_cmp_ge_u32 s8, s37
	s_cselect_b32 s8, s1, 4
	s_ashr_i32 s1, s0, 31
	s_cmp_gt_i32 s22, 0
	v_cmp_gt_i32_e32 vcc, s8, v10
	s_cselect_b64 s[8:9], -1, 0
	s_and_b64 s[8:9], vcc, s[8:9]
	s_and_saveexec_b64 s[16:17], s[8:9]
	s_cbranch_execz .LBB201_18
; %bb.16:
	v_lshlrev_b32_e32 v2, 4, v10
	s_lshl_b64 s[24:25], s[0:1], 4
	s_lshl_b64 s[22:23], s[6:7], 4
	v_mov_b32_e32 v3, s25
	v_add_co_u32_e32 v4, vcc, s24, v2
	s_lshl_b64 s[24:25], s[10:11], 4
	s_add_u32 s1, s2, s24
	s_addc_u32 s21, s3, s25
	s_add_u32 s22, s1, s22
	s_addc_u32 s23, s21, s23
	v_or_b32_e32 v1, 0x100, v2
	v_addc_co_u32_e32 v5, vcc, 0, v3, vcc
	v_pk_mov_b32 v[2:3], s[22:23], s[22:23] op_sel:[0,1]
	v_mad_u64_u32 v[2:3], s[22:23], v4, s18, v[2:3]
	v_mul_lo_u32 v4, v4, s19
	v_mul_lo_u32 v5, v5, s18
	v_add3_u32 v3, v5, v3, v4
	v_add_co_u32_e32 v2, vcc, 8, v2
	v_addc_co_u32_e32 v3, vcc, 0, v3, vcc
	s_mov_b32 s1, s33
.LBB201_17:                             ; =>This Inner Loop Header: Depth=1
	global_load_dwordx4 v[4:7], v[2:3], off offset:-8
	s_add_i32 s1, s1, -1
	v_add_co_u32_e32 v2, vcc, 16, v2
	v_addc_co_u32_e32 v3, vcc, 0, v3, vcc
	s_cmp_lg_u32 s1, 0
	s_waitcnt vmcnt(0)
	v_mul_f64 v[12:13], s[14:15], v[6:7]
	v_mul_f64 v[8:9], s[12:13], v[6:7]
	v_fma_f64 v[6:7], s[12:13], v[4:5], -v[12:13]
	v_fmac_f64_e32 v[8:9], s[14:15], v[4:5]
	ds_write_b128 v1, v[6:9]
	v_add_u32_e32 v1, 64, v1
	s_cbranch_scc1 .LBB201_17
.LBB201_18:
	s_or_b64 exec, exec, s[16:17]
	s_load_dwordx2 s[4:5], s[4:5], 0x4
	v_bfe_u32 v1, v0, 10, 10
	v_bfe_u32 v0, v0, 20, 10
	v_mov_b32_e32 v2, 0x200
	s_waitcnt lgkmcnt(0)
	s_lshr_b32 s1, s4, 16
	s_mul_i32 s1, s1, s5
	v_mul_u32_u24_e32 v1, s5, v1
	v_mul_u32_u24_e32 v3, s1, v10
	v_add3_u32 v0, v3, v1, v0
	v_lshl_add_u32 v4, v0, 6, v2
	s_cmpk_eq_i32 s20, 0x6f
	s_mov_b64 s[4:5], -1
	; wave barrier
	s_cbranch_scc1 .LBB201_39
; %bb.19:
	v_mov_b32_e32 v0, 0x100
	s_lshl_b32 s1, s33, 4
	s_mov_b32 s5, 0
	v_lshl_or_b32 v5, v10, 4, v0
	s_add_i32 s1, s1, -16
	v_lshlrev_b32_e32 v6, 4, v10
	s_mov_b32 s4, s5
	s_mov_b32 s14, s36
	s_branch .LBB201_21
.LBB201_20:                             ;   in Loop: Header=BB201_21 Depth=1
	s_cmp_lt_i32 s14, 0
	s_cselect_b64 s[12:13], -1, 0
	s_add_i32 s4, s4, 1
	s_cmp_eq_u32 s4, 3
	s_cselect_b64 s[16:17], -1, 0
	s_or_b64 s[12:13], s[12:13], s[16:17]
	s_andn2_b64 vcc, exec, s[12:13]
	s_cbranch_vccz .LBB201_38
.LBB201_21:                             ; =>This Loop Header: Depth=1
                                        ;     Child Loop BB201_24 Depth 2
                                        ;       Child Loop BB201_25 Depth 3
                                        ;       Child Loop BB201_27 Depth 3
                                        ;         Child Loop BB201_28 Depth 4
                                        ;       Child Loop BB201_32 Depth 3
                                        ;         Child Loop BB201_34 Depth 4
	s_lshl_b64 s[12:13], s[4:5], 2
	s_getpc_b64 s[16:17]
	s_add_u32 s16, s16, __const._ZL38rocblas_trsm_small_left_device_sharedBILi4ELi4ELb1E19rocblas_complex_numIdES1_PKS1_PS1_Ev13rocblas_fill_18rocblas_operation_17rocblas_diagonal_iiT3_T4_lilT5_lili.step_sizes@rel32@lo+4
	s_addc_u32 s17, s17, __const._ZL38rocblas_trsm_small_left_device_sharedBILi4ELi4ELb1E19rocblas_complex_numIdES1_PKS1_PS1_Ev13rocblas_fill_18rocblas_operation_17rocblas_diagonal_iiT3_T4_lilT5_lili.step_sizes@rel32@hi+12
	s_add_u32 s12, s12, s16
	s_addc_u32 s13, s13, s17
	s_load_dword s15, s[12:13], 0x0
	s_waitcnt lgkmcnt(0)
	s_add_i32 s16, s15, -1
	s_cmp_lt_i32 s14, s16
	s_cbranch_scc1 .LBB201_20
; %bb.22:                               ;   in Loop: Header=BB201_21 Depth=1
	s_lshl_b32 s12, s14, 6
	s_lshl_b32 s13, s15, 6
	s_max_i32 s17, s15, 1
	v_add_u32_e32 v7, s12, v5
	s_sub_i32 s19, 0, s13
	s_add_i32 s20, s1, s12
	s_mul_i32 s21, s14, 0x50
	s_mul_i32 s22, s15, 0xffffffb0
	s_branch .LBB201_24
.LBB201_23:                             ;   in Loop: Header=BB201_24 Depth=2
	s_sub_i32 s14, s14, s15
	s_add_i32 s20, s20, s19
	s_add_i32 s21, s21, s22
	s_cmp_lt_i32 s14, s16
	v_add_u32_e32 v7, s19, v7
	s_cbranch_scc1 .LBB201_20
.LBB201_24:                             ;   Parent Loop BB201_21 Depth=1
                                        ; =>  This Loop Header: Depth=2
                                        ;       Child Loop BB201_25 Depth 3
                                        ;       Child Loop BB201_27 Depth 3
                                        ;         Child Loop BB201_28 Depth 4
                                        ;       Child Loop BB201_32 Depth 3
                                        ;         Child Loop BB201_34 Depth 4
	v_mov_b32_e32 v0, v4
	v_mov_b32_e32 v1, v7
	s_mov_b32 s12, s17
.LBB201_25:                             ;   Parent Loop BB201_21 Depth=1
                                        ;     Parent Loop BB201_24 Depth=2
                                        ; =>    This Inner Loop Header: Depth=3
	ds_read_b128 v[12:15], v1
	s_add_i32 s12, s12, -1
	v_subrev_u32_e32 v1, 64, v1
	s_cmp_eq_u32 s12, 0
	s_waitcnt lgkmcnt(0)
	ds_write_b128 v0, v[12:15]
	v_add_u32_e32 v0, 16, v0
	s_cbranch_scc0 .LBB201_25
; %bb.26:                               ;   in Loop: Header=BB201_24 Depth=2
	s_cmp_le_i32 s36, s14
	s_mov_b32 s12, s20
	s_mov_b32 s13, s36
	s_cbranch_scc1 .LBB201_30
.LBB201_27:                             ;   Parent Loop BB201_21 Depth=1
                                        ;     Parent Loop BB201_24 Depth=2
                                        ; =>    This Loop Header: Depth=3
                                        ;         Child Loop BB201_28 Depth 4
	v_lshl_or_b32 v0, s13, 6, v6
	ds_read_b128 v[0:3], v0 offset:256
	v_mov_b32_e32 v8, v4
	s_mov_b32 s23, s12
	s_mov_b32 s24, s17
.LBB201_28:                             ;   Parent Loop BB201_21 Depth=1
                                        ;     Parent Loop BB201_24 Depth=2
                                        ;       Parent Loop BB201_27 Depth=3
                                        ; =>      This Inner Loop Header: Depth=4
	v_mov_b32_e32 v9, s23
	ds_read_b128 v[16:19], v9
	ds_read_b128 v[12:15], v8
	s_add_i32 s24, s24, -1
	s_sub_i32 s23, s23, 64
	s_cmp_eq_u32 s24, 0
	s_waitcnt lgkmcnt(1)
	v_mul_f64 v[20:21], v[2:3], v[18:19]
	v_mul_f64 v[18:19], v[0:1], v[18:19]
	v_fma_f64 v[20:21], v[0:1], v[16:17], -v[20:21]
	v_fmac_f64_e32 v[18:19], v[2:3], v[16:17]
	s_waitcnt lgkmcnt(0)
	v_add_f64 v[12:13], v[12:13], -v[20:21]
	v_add_f64 v[14:15], v[14:15], -v[18:19]
	ds_write_b128 v8, v[12:15]
	v_add_u32_e32 v8, 16, v8
	s_cbranch_scc0 .LBB201_28
; %bb.29:                               ;   in Loop: Header=BB201_27 Depth=3
	s_add_i32 s13, s13, -1
	s_add_i32 s12, s12, -16
	s_cmp_le_i32 s13, s14
	s_cbranch_scc0 .LBB201_27
.LBB201_30:                             ;   in Loop: Header=BB201_24 Depth=2
	s_lshl_b32 s23, s14, 2
	s_mov_b32 s24, 0
	s_mov_b32 s25, s21
	s_branch .LBB201_32
.LBB201_31:                             ;   in Loop: Header=BB201_32 Depth=3
	s_mul_i32 s12, s27, 0x50
	v_mov_b32_e32 v9, s12
	ds_read_b128 v[12:15], v9
	s_add_i32 s24, s24, 1
	s_sub_i32 s25, s25, 64
	v_add_lshl_u32 v9, s26, v10, 4
	s_cmp_eq_u32 s24, s17
	s_waitcnt lgkmcnt(0)
	v_mul_f64 v[16:17], v[14:15], v[2:3]
	v_mul_f64 v[18:19], v[12:13], v[2:3]
	v_fma_f64 v[16:17], v[12:13], v[0:1], -v[16:17]
	v_fmac_f64_e32 v[18:19], v[14:15], v[0:1]
	ds_write_b128 v8, v[16:19]
	ds_write_b128 v9, v[16:19] offset:256
	s_cbranch_scc1 .LBB201_23
.LBB201_32:                             ;   Parent Loop BB201_21 Depth=1
                                        ;     Parent Loop BB201_24 Depth=2
                                        ; =>    This Loop Header: Depth=3
                                        ;         Child Loop BB201_34 Depth 4
	s_cmp_lg_u32 s24, 0
	v_lshl_add_u32 v8, s24, 4, v4
	s_cbranch_scc0 .LBB201_36
; %bb.33:                               ;   in Loop: Header=BB201_32 Depth=3
	ds_read_b128 v[0:3], v8
	s_sub_i32 s27, s14, s24
	s_lshl_b32 s26, s27, 2
	s_mov_b32 s12, 0
	v_mov_b32_e32 v9, v4
	s_mov_b32 s13, s25
.LBB201_34:                             ;   Parent Loop BB201_21 Depth=1
                                        ;     Parent Loop BB201_24 Depth=2
                                        ;       Parent Loop BB201_32 Depth=3
                                        ; =>      This Inner Loop Header: Depth=4
	v_mov_b32_e32 v11, s13
	ds_read_b128 v[12:15], v9
	ds_read_b128 v[16:19], v11
	s_add_i32 s12, s12, 1
	s_add_i32 s13, s13, -16
	v_add_u32_e32 v9, 16, v9
	s_cmp_ge_u32 s12, s24
	s_waitcnt lgkmcnt(0)
	v_mul_f64 v[20:21], v[18:19], v[14:15]
	v_mul_f64 v[14:15], v[16:17], v[14:15]
	v_fma_f64 v[16:17], v[16:17], v[12:13], -v[20:21]
	v_fmac_f64_e32 v[14:15], v[18:19], v[12:13]
	v_add_f64 v[0:1], v[0:1], -v[16:17]
	v_add_f64 v[2:3], v[2:3], -v[14:15]
	ds_write_b128 v8, v[0:3]
	s_cbranch_scc0 .LBB201_34
; %bb.35:                               ;   in Loop: Header=BB201_32 Depth=3
	s_branch .LBB201_31
.LBB201_36:                             ;   in Loop: Header=BB201_32 Depth=3
                                        ; implicit-def: $vgpr0_vgpr1
                                        ; implicit-def: $sgpr27
                                        ; implicit-def: $sgpr26
	s_cbranch_execz .LBB201_31
; %bb.37:                               ;   in Loop: Header=BB201_32 Depth=3
	ds_read_b128 v[0:3], v4
	s_mov_b32 s26, s23
	s_mov_b32 s27, s14
	s_branch .LBB201_31
.LBB201_38:
	s_mov_b64 s[4:5], 0
.LBB201_39:
	s_and_b64 vcc, exec, s[4:5]
	s_cbranch_vccz .LBB201_60
; %bb.40:
	v_mov_b32_e32 v0, 0x100
	s_mov_b32 s5, 0
	v_lshl_or_b32 v5, v10, 4, v0
	v_lshlrev_b32_e32 v6, 4, v10
	s_mov_b32 s4, s5
	s_mov_b32 s1, s5
	s_branch .LBB201_42
.LBB201_41:                             ;   in Loop: Header=BB201_42 Depth=1
	s_cmp_ge_i32 s1, s33
	s_cselect_b64 s[12:13], -1, 0
	s_add_i32 s4, s4, 1
	s_cmp_eq_u32 s4, 3
	s_cselect_b64 s[14:15], -1, 0
	s_or_b64 s[12:13], s[12:13], s[14:15]
	s_and_b64 vcc, exec, s[12:13]
	s_cbranch_vccnz .LBB201_60
.LBB201_42:                             ; =>This Loop Header: Depth=1
                                        ;     Child Loop BB201_45 Depth 2
                                        ;       Child Loop BB201_46 Depth 3
                                        ;       Child Loop BB201_49 Depth 3
                                        ;         Child Loop BB201_50 Depth 4
                                        ;       Child Loop BB201_54 Depth 3
                                        ;         Child Loop BB201_56 Depth 4
	s_lshl_b64 s[12:13], s[4:5], 2
	s_getpc_b64 s[14:15]
	s_add_u32 s14, s14, __const._ZL38rocblas_trsm_small_left_device_sharedBILi4ELi4ELb1E19rocblas_complex_numIdES1_PKS1_PS1_Ev13rocblas_fill_18rocblas_operation_17rocblas_diagonal_iiT3_T4_lilT5_lili.step_sizes@rel32@lo+4
	s_addc_u32 s15, s15, __const._ZL38rocblas_trsm_small_left_device_sharedBILi4ELi4ELb1E19rocblas_complex_numIdES1_PKS1_PS1_Ev13rocblas_fill_18rocblas_operation_17rocblas_diagonal_iiT3_T4_lilT5_lili.step_sizes@rel32@hi+12
	s_add_u32 s12, s12, s14
	s_addc_u32 s13, s13, s15
	s_load_dword s14, s[12:13], 0x0
	s_waitcnt lgkmcnt(0)
	s_add_i32 s15, s14, -1
	s_add_i32 s12, s15, s1
	s_cmp_ge_i32 s12, s33
	s_cbranch_scc1 .LBB201_41
; %bb.43:                               ;   in Loop: Header=BB201_42 Depth=1
	s_max_i32 s16, s14, 1
	v_lshl_add_u32 v7, s1, 6, v5
	s_lshl_b32 s17, s14, 6
	s_lshl_b32 s19, s1, 4
	;; [unrolled: 1-line block ×3, first 2 shown]
	s_mul_i32 s21, s1, 0x50
	s_mul_i32 s22, s14, 0x50
	s_branch .LBB201_45
.LBB201_44:                             ;   in Loop: Header=BB201_45 Depth=2
	s_add_i32 s1, s1, s14
	s_add_i32 s12, s15, s1
	;; [unrolled: 1-line block ×4, first 2 shown]
	s_cmp_ge_i32 s12, s33
	v_add_u32_e32 v7, s17, v7
	s_cbranch_scc1 .LBB201_41
.LBB201_45:                             ;   Parent Loop BB201_42 Depth=1
                                        ; =>  This Loop Header: Depth=2
                                        ;       Child Loop BB201_46 Depth 3
                                        ;       Child Loop BB201_49 Depth 3
                                        ;         Child Loop BB201_50 Depth 4
                                        ;       Child Loop BB201_54 Depth 3
                                        ;         Child Loop BB201_56 Depth 4
	v_mov_b32_e32 v0, v4
	v_mov_b32_e32 v1, v7
	s_mov_b32 s12, s16
.LBB201_46:                             ;   Parent Loop BB201_42 Depth=1
                                        ;     Parent Loop BB201_45 Depth=2
                                        ; =>    This Inner Loop Header: Depth=3
	ds_read_b128 v[12:15], v1
	s_add_i32 s12, s12, -1
	v_add_u32_e32 v1, 64, v1
	s_cmp_eq_u32 s12, 0
	s_waitcnt lgkmcnt(0)
	ds_write_b128 v0, v[12:15]
	v_add_u32_e32 v0, 16, v0
	s_cbranch_scc0 .LBB201_46
; %bb.47:                               ;   in Loop: Header=BB201_45 Depth=2
	s_cmp_lt_i32 s1, 1
	s_cbranch_scc1 .LBB201_52
; %bb.48:                               ;   in Loop: Header=BB201_45 Depth=2
	s_mov_b32 s12, 0
	s_mov_b32 s13, s19
.LBB201_49:                             ;   Parent Loop BB201_42 Depth=1
                                        ;     Parent Loop BB201_45 Depth=2
                                        ; =>    This Loop Header: Depth=3
                                        ;         Child Loop BB201_50 Depth 4
	v_lshl_or_b32 v0, s12, 6, v6
	ds_read_b128 v[0:3], v0 offset:256
	v_mov_b32_e32 v8, v4
	s_mov_b32 s23, s13
	s_mov_b32 s24, s16
.LBB201_50:                             ;   Parent Loop BB201_42 Depth=1
                                        ;     Parent Loop BB201_45 Depth=2
                                        ;       Parent Loop BB201_49 Depth=3
                                        ; =>      This Inner Loop Header: Depth=4
	v_mov_b32_e32 v9, s23
	ds_read_b128 v[16:19], v9
	ds_read_b128 v[12:15], v8
	s_add_i32 s24, s24, -1
	s_add_i32 s23, s23, 16
	s_cmp_eq_u32 s24, 0
	s_waitcnt lgkmcnt(1)
	v_mul_f64 v[20:21], v[2:3], v[18:19]
	v_mul_f64 v[18:19], v[0:1], v[18:19]
	v_fma_f64 v[20:21], v[0:1], v[16:17], -v[20:21]
	v_fmac_f64_e32 v[18:19], v[2:3], v[16:17]
	s_waitcnt lgkmcnt(0)
	v_add_f64 v[12:13], v[12:13], -v[20:21]
	v_add_f64 v[14:15], v[14:15], -v[18:19]
	ds_write_b128 v8, v[12:15]
	v_add_u32_e32 v8, 16, v8
	s_cbranch_scc0 .LBB201_50
; %bb.51:                               ;   in Loop: Header=BB201_49 Depth=3
	s_add_i32 s12, s12, 1
	s_add_i32 s13, s13, 64
	s_cmp_ge_i32 s12, s1
	s_cbranch_scc0 .LBB201_49
.LBB201_52:                             ;   in Loop: Header=BB201_45 Depth=2
	s_mov_b32 s23, 0
	s_mov_b32 s24, s21
	s_branch .LBB201_54
.LBB201_53:                             ;   in Loop: Header=BB201_54 Depth=3
	s_mul_i32 s12, s25, 0x50
	v_mov_b32_e32 v9, s12
	ds_read_b128 v[12:15], v9
	s_add_i32 s23, s23, 1
	s_add_i32 s24, s24, 16
	v_lshl_or_b32 v9, s25, 6, v6
	s_cmp_eq_u32 s23, s16
	s_waitcnt lgkmcnt(0)
	v_mul_f64 v[16:17], v[14:15], v[2:3]
	v_mul_f64 v[18:19], v[12:13], v[2:3]
	v_fma_f64 v[16:17], v[12:13], v[0:1], -v[16:17]
	v_fmac_f64_e32 v[18:19], v[14:15], v[0:1]
	ds_write_b128 v8, v[16:19]
	ds_write_b128 v9, v[16:19] offset:256
	s_cbranch_scc1 .LBB201_44
.LBB201_54:                             ;   Parent Loop BB201_42 Depth=1
                                        ;     Parent Loop BB201_45 Depth=2
                                        ; =>    This Loop Header: Depth=3
                                        ;         Child Loop BB201_56 Depth 4
	s_cmp_lg_u32 s23, 0
	v_lshl_add_u32 v8, s23, 4, v4
	s_cbranch_scc0 .LBB201_58
; %bb.55:                               ;   in Loop: Header=BB201_54 Depth=3
	ds_read_b128 v[0:3], v8
	s_add_i32 s25, s23, s1
	s_mov_b32 s12, 0
	v_mov_b32_e32 v9, v4
	s_mov_b32 s13, s24
.LBB201_56:                             ;   Parent Loop BB201_42 Depth=1
                                        ;     Parent Loop BB201_45 Depth=2
                                        ;       Parent Loop BB201_54 Depth=3
                                        ; =>      This Inner Loop Header: Depth=4
	v_mov_b32_e32 v11, s13
	ds_read_b128 v[12:15], v9
	ds_read_b128 v[16:19], v11
	s_add_i32 s12, s12, 1
	s_add_i32 s13, s13, 64
	v_add_u32_e32 v9, 16, v9
	s_cmp_ge_u32 s12, s23
	s_waitcnt lgkmcnt(0)
	v_mul_f64 v[20:21], v[18:19], v[14:15]
	v_mul_f64 v[14:15], v[16:17], v[14:15]
	v_fma_f64 v[16:17], v[16:17], v[12:13], -v[20:21]
	v_fmac_f64_e32 v[14:15], v[18:19], v[12:13]
	v_add_f64 v[0:1], v[0:1], -v[16:17]
	v_add_f64 v[2:3], v[2:3], -v[14:15]
	ds_write_b128 v8, v[0:3]
	s_cbranch_scc0 .LBB201_56
; %bb.57:                               ;   in Loop: Header=BB201_54 Depth=3
	s_branch .LBB201_53
.LBB201_58:                             ;   in Loop: Header=BB201_54 Depth=3
                                        ; implicit-def: $vgpr0_vgpr1
                                        ; implicit-def: $sgpr25
	s_cbranch_execz .LBB201_53
; %bb.59:                               ;   in Loop: Header=BB201_54 Depth=3
	ds_read_b128 v[0:3], v4
	s_mov_b32 s25, s1
	s_branch .LBB201_53
.LBB201_60:
	s_waitcnt lgkmcnt(0)
	; wave barrier
	s_waitcnt lgkmcnt(0)
	s_and_saveexec_b64 s[4:5], s[8:9]
	s_cbranch_execz .LBB201_63
; %bb.61:
	s_lshl_b64 s[4:5], s[6:7], 4
	s_add_u32 s1, s2, s4
	s_addc_u32 s4, s3, s5
	s_lshl_b64 s[2:3], s[10:11], 4
	s_add_u32 s2, s1, s2
	s_mul_hi_i32 s1, s18, s0
	s_mul_i32 s0, s18, s0
	s_addc_u32 s3, s4, s3
	s_lshl_b64 s[0:1], s[0:1], 4
	s_add_u32 s2, s2, s0
	s_addc_u32 s3, s3, s1
	v_mad_i64_i32 v[0:1], s[0:1], s18, v10, 0
	v_lshlrev_b64 v[0:1], 4, v[0:1]
	v_mov_b32_e32 v2, s3
	v_add_co_u32_e32 v0, vcc, s2, v0
	v_addc_co_u32_e32 v1, vcc, v2, v1, vcc
	v_mov_b32_e32 v2, 0x100
	v_lshl_or_b32 v2, v10, 4, v2
.LBB201_62:                             ; =>This Inner Loop Header: Depth=1
	ds_read2_b64 v[4:7], v2 offset1:1
	s_add_i32 s33, s33, -1
	v_add_u32_e32 v2, 64, v2
	s_cmp_lg_u32 s33, 0
	s_waitcnt lgkmcnt(0)
	global_store_dwordx4 v[0:1], v[4:7], off
	v_add_co_u32_e32 v0, vcc, 16, v0
	v_addc_co_u32_e32 v1, vcc, 0, v1, vcc
	s_cbranch_scc1 .LBB201_62
.LBB201_63:
	s_endpgm
	.section	.rodata,"a",@progbits
	.p2align	6, 0x0
	.amdhsa_kernel _ZL38rocblas_trsm_small_left_device_sharedBILi4ELi4ELb1E19rocblas_complex_numIdES1_PKS1_PS1_Ev13rocblas_fill_18rocblas_operation_17rocblas_diagonal_iiT3_T4_lilT5_lili
		.amdhsa_group_segment_fixed_size 768
		.amdhsa_private_segment_fixed_size 0
		.amdhsa_kernarg_size 368
		.amdhsa_user_sgpr_count 8
		.amdhsa_user_sgpr_private_segment_buffer 1
		.amdhsa_user_sgpr_dispatch_ptr 1
		.amdhsa_user_sgpr_queue_ptr 0
		.amdhsa_user_sgpr_kernarg_segment_ptr 1
		.amdhsa_user_sgpr_dispatch_id 0
		.amdhsa_user_sgpr_flat_scratch_init 0
		.amdhsa_user_sgpr_kernarg_preload_length 0
		.amdhsa_user_sgpr_kernarg_preload_offset 0
		.amdhsa_user_sgpr_private_segment_size 0
		.amdhsa_uses_dynamic_stack 0
		.amdhsa_system_sgpr_private_segment_wavefront_offset 0
		.amdhsa_system_sgpr_workgroup_id_x 1
		.amdhsa_system_sgpr_workgroup_id_y 0
		.amdhsa_system_sgpr_workgroup_id_z 1
		.amdhsa_system_sgpr_workgroup_info 0
		.amdhsa_system_vgpr_workitem_id 2
		.amdhsa_next_free_vgpr 24
		.amdhsa_next_free_sgpr 41
		.amdhsa_accum_offset 24
		.amdhsa_reserve_vcc 1
		.amdhsa_reserve_flat_scratch 0
		.amdhsa_float_round_mode_32 0
		.amdhsa_float_round_mode_16_64 0
		.amdhsa_float_denorm_mode_32 3
		.amdhsa_float_denorm_mode_16_64 3
		.amdhsa_dx10_clamp 1
		.amdhsa_ieee_mode 1
		.amdhsa_fp16_overflow 0
		.amdhsa_tg_split 0
		.amdhsa_exception_fp_ieee_invalid_op 0
		.amdhsa_exception_fp_denorm_src 0
		.amdhsa_exception_fp_ieee_div_zero 0
		.amdhsa_exception_fp_ieee_overflow 0
		.amdhsa_exception_fp_ieee_underflow 0
		.amdhsa_exception_fp_ieee_inexact 0
		.amdhsa_exception_int_div_zero 0
	.end_amdhsa_kernel
	.section	.text._ZL38rocblas_trsm_small_left_device_sharedBILi4ELi4ELb1E19rocblas_complex_numIdES1_PKS1_PS1_Ev13rocblas_fill_18rocblas_operation_17rocblas_diagonal_iiT3_T4_lilT5_lili,"axG",@progbits,_ZL38rocblas_trsm_small_left_device_sharedBILi4ELi4ELb1E19rocblas_complex_numIdES1_PKS1_PS1_Ev13rocblas_fill_18rocblas_operation_17rocblas_diagonal_iiT3_T4_lilT5_lili,comdat
.Lfunc_end201:
	.size	_ZL38rocblas_trsm_small_left_device_sharedBILi4ELi4ELb1E19rocblas_complex_numIdES1_PKS1_PS1_Ev13rocblas_fill_18rocblas_operation_17rocblas_diagonal_iiT3_T4_lilT5_lili, .Lfunc_end201-_ZL38rocblas_trsm_small_left_device_sharedBILi4ELi4ELb1E19rocblas_complex_numIdES1_PKS1_PS1_Ev13rocblas_fill_18rocblas_operation_17rocblas_diagonal_iiT3_T4_lilT5_lili
                                        ; -- End function
	.section	.AMDGPU.csdata,"",@progbits
; Kernel info:
; codeLenInByte = 3004
; NumSgprs: 45
; NumVgprs: 24
; NumAgprs: 0
; TotalNumVgprs: 24
; ScratchSize: 0
; MemoryBound: 0
; FloatMode: 240
; IeeeMode: 1
; LDSByteSize: 768 bytes/workgroup (compile time only)
; SGPRBlocks: 5
; VGPRBlocks: 2
; NumSGPRsForWavesPerEU: 45
; NumVGPRsForWavesPerEU: 24
; AccumOffset: 24
; Occupancy: 8
; WaveLimiterHint : 0
; COMPUTE_PGM_RSRC2:SCRATCH_EN: 0
; COMPUTE_PGM_RSRC2:USER_SGPR: 8
; COMPUTE_PGM_RSRC2:TRAP_HANDLER: 0
; COMPUTE_PGM_RSRC2:TGID_X_EN: 1
; COMPUTE_PGM_RSRC2:TGID_Y_EN: 0
; COMPUTE_PGM_RSRC2:TGID_Z_EN: 1
; COMPUTE_PGM_RSRC2:TIDIG_COMP_CNT: 2
; COMPUTE_PGM_RSRC3_GFX90A:ACCUM_OFFSET: 5
; COMPUTE_PGM_RSRC3_GFX90A:TG_SPLIT: 0
	.section	.text._ZL30rocblas_trsm_small_left_deviceILi4ELi4ELb1E19rocblas_complex_numIdES1_PKS1_PS1_Ev13rocblas_fill_18rocblas_operation_17rocblas_diagonal_iiT3_T4_lilT5_lili,"axG",@progbits,_ZL30rocblas_trsm_small_left_deviceILi4ELi4ELb1E19rocblas_complex_numIdES1_PKS1_PS1_Ev13rocblas_fill_18rocblas_operation_17rocblas_diagonal_iiT3_T4_lilT5_lili,comdat
	.globl	_ZL30rocblas_trsm_small_left_deviceILi4ELi4ELb1E19rocblas_complex_numIdES1_PKS1_PS1_Ev13rocblas_fill_18rocblas_operation_17rocblas_diagonal_iiT3_T4_lilT5_lili ; -- Begin function _ZL30rocblas_trsm_small_left_deviceILi4ELi4ELb1E19rocblas_complex_numIdES1_PKS1_PS1_Ev13rocblas_fill_18rocblas_operation_17rocblas_diagonal_iiT3_T4_lilT5_lili
	.p2align	8
	.type	_ZL30rocblas_trsm_small_left_deviceILi4ELi4ELb1E19rocblas_complex_numIdES1_PKS1_PS1_Ev13rocblas_fill_18rocblas_operation_17rocblas_diagonal_iiT3_T4_lilT5_lili,@function
_ZL30rocblas_trsm_small_left_deviceILi4ELi4ELb1E19rocblas_complex_numIdES1_PKS1_PS1_Ev13rocblas_fill_18rocblas_operation_17rocblas_diagonal_iiT3_T4_lilT5_lili: ; @_ZL30rocblas_trsm_small_left_deviceILi4ELi4ELb1E19rocblas_complex_numIdES1_PKS1_PS1_Ev13rocblas_fill_18rocblas_operation_17rocblas_diagonal_iiT3_T4_lilT5_lili
; %bb.0:
	s_load_dwordx4 s[20:23], s[6:7], 0x4
	s_load_dwordx8 s[12:19], s[6:7], 0x18
	s_load_dwordx4 s[0:3], s[6:7], 0x40
	s_load_dwordx2 s[10:11], s[6:7], 0x50
	s_load_dword s36, s[6:7], 0x70
	v_and_b32_e32 v1, 0x3ff, v0
	s_waitcnt lgkmcnt(0)
	s_min_i32 s22, s22, 4
	s_mov_b32 s37, 0
	s_add_i32 s33, s22, -1
	v_cmp_gt_i32_e32 vcc, s22, v1
	s_and_saveexec_b64 s[24:25], vcc
	s_cbranch_execz .LBB202_15
; %bb.1:
	s_load_dword s26, s[6:7], 0x38
	v_lshlrev_b32_e32 v4, 4, v1
	s_mul_i32 s38, s1, s9
	s_mul_hi_u32 s39, s0, s9
	s_mul_i32 s28, s0, s9
	s_waitcnt lgkmcnt(0)
	s_ashr_i32 s27, s26, 31
	s_cmpk_eq_i32 s20, 0x71
	s_cselect_b64 vcc, -1, 0
	s_cmp_lt_u32 s33, 3
	s_cbranch_scc1 .LBB202_4
; %bb.2:
	s_add_i32 s29, s39, s38
	s_and_b32 s37, s22, -4
	s_lshl_b64 s[0:1], s[28:29], 4
	s_lshl_b64 s[30:31], s[18:19], 4
	s_add_u32 s0, s0, s30
	s_addc_u32 s1, s1, s31
	s_add_u32 s0, s16, s0
	v_lshlrev_b32_e32 v2, 4, v1
	s_addc_u32 s1, s17, s1
	v_mov_b32_e32 v3, s1
	v_add_co_u32_e64 v2, s[0:1], s0, v2
	v_addc_co_u32_e64 v3, s[0:1], 0, v3, s[0:1]
	v_add_co_u32_e64 v2, s[0:1], 8, v2
	s_lshl_b64 s[30:31], s[26:27], 6
	s_lshl_b64 s[34:35], s[26:27], 4
	v_addc_co_u32_e64 v3, s[0:1], 0, v3, s[0:1]
	s_mov_b32 s29, 0
	v_mov_b32_e32 v5, s35
	v_mov_b32_e32 v6, s31
	;; [unrolled: 1-line block ×3, first 2 shown]
.LBB202_3:                              ; =>This Inner Loop Header: Depth=1
	v_add_co_u32_e64 v20, s[0:1], s34, v2
	v_addc_co_u32_e64 v21, s[0:1], v3, v5, s[0:1]
	v_add_co_u32_e64 v22, s[0:1], s34, v20
	global_load_dwordx4 v[8:11], v[2:3], off offset:-8
	v_addc_co_u32_e64 v23, s[0:1], v21, v5, s[0:1]
	global_load_dwordx4 v[12:15], v[20:21], off offset:-8
	global_load_dwordx4 v[16:19], v[22:23], off offset:-8
	v_add_co_u32_e64 v20, s[0:1], s34, v22
	v_addc_co_u32_e64 v21, s[0:1], v23, v5, s[0:1]
	global_load_dwordx4 v[20:23], v[20:21], off offset:-8
	s_add_i32 s29, s29, 4
	v_add_co_u32_e64 v2, s[0:1], s30, v2
	s_cmp_eq_u32 s37, s29
	v_addc_co_u32_e64 v3, s[0:1], v3, v6, s[0:1]
	s_waitcnt vmcnt(3)
	v_xor_b32_e32 v24, 0x80000000, v11
	v_cndmask_b32_e32 v11, v11, v24, vcc
	ds_write_b128 v7, v[8:11]
	s_waitcnt vmcnt(1)
	v_xor_b32_e32 v8, 0x80000000, v19
	v_xor_b32_e32 v24, 0x80000000, v15
	v_cndmask_b32_e32 v19, v19, v8, vcc
	v_cndmask_b32_e32 v15, v15, v24, vcc
	ds_write_b128 v7, v[12:15] offset:64
	s_waitcnt vmcnt(0)
	v_xor_b32_e32 v8, 0x80000000, v23
	v_cndmask_b32_e32 v23, v23, v8, vcc
	ds_write_b128 v7, v[16:19] offset:128
	ds_write_b128 v7, v[20:23] offset:192
	v_add_u32_e32 v7, 0x100, v7
	s_cbranch_scc0 .LBB202_3
.LBB202_4:
	s_and_b32 s30, s22, 3
	s_cmp_eq_u32 s30, 0
	s_cbranch_scc1 .LBB202_7
; %bb.5:
	s_add_i32 s29, s39, s38
	s_lshl_b64 s[0:1], s[28:29], 4
	s_mul_i32 s28, s27, s37
	s_mul_hi_u32 s29, s26, s37
	s_add_i32 s29, s29, s28
	s_mul_i32 s28, s26, s37
	s_lshl_b64 s[28:29], s[28:29], 4
	s_add_u32 s28, s0, s28
	s_addc_u32 s29, s1, s29
	s_lshl_b64 s[0:1], s[18:19], 4
	s_add_u32 s0, s28, s0
	s_addc_u32 s1, s29, s1
	s_add_u32 s0, s16, s0
	s_addc_u32 s1, s17, s1
	v_mov_b32_e32 v2, s1
	v_add_co_u32_e64 v3, s[0:1], s0, v4
	v_lshl_or_b32 v5, s37, 6, v4
	v_addc_co_u32_e64 v4, s[0:1], 0, v2, s[0:1]
	v_add_co_u32_e64 v2, s[0:1], 8, v3
	s_lshl_b64 s[16:17], s[26:27], 4
	v_addc_co_u32_e64 v3, s[0:1], 0, v4, s[0:1]
	v_mov_b32_e32 v4, s17
.LBB202_6:                              ; =>This Inner Loop Header: Depth=1
	global_load_dwordx4 v[6:9], v[2:3], off offset:-8
	v_add_co_u32_e64 v2, s[0:1], s16, v2
	s_add_i32 s30, s30, -1
	v_addc_co_u32_e64 v3, s[0:1], v3, v4, s[0:1]
	s_cmp_lg_u32 s30, 0
	s_waitcnt vmcnt(0)
	v_xor_b32_e32 v10, 0x80000000, v9
	v_cndmask_b32_e32 v9, v9, v10, vcc
	ds_write_b128 v5, v[6:9]
	v_add_u32_e32 v5, 64, v5
	s_cbranch_scc1 .LBB202_6
.LBB202_7:
	v_mul_u32_u24_e32 v2, 5, v1
	s_cmpk_lg_i32 s21, 0x84
	v_lshlrev_b32_e32 v10, 4, v2
	s_cbranch_scc0 .LBB202_13
; %bb.8:
	ds_read_b128 v[2:5], v10
	s_waitcnt lgkmcnt(0)
	v_xor_b32_e32 v7, 0x80000000, v3
	v_cmp_gt_f64_e32 vcc, 0, v[2:3]
	v_xor_b32_e32 v8, 0x80000000, v5
	v_cndmask_b32_e32 v7, v3, v7, vcc
	v_cmp_gt_f64_e32 vcc, 0, v[4:5]
	v_mov_b32_e32 v6, v2
	v_cndmask_b32_e32 v9, v5, v8, vcc
	v_mov_b32_e32 v8, v4
	v_cmp_ngt_f64_e32 vcc, v[6:7], v[8:9]
                                        ; implicit-def: $vgpr8_vgpr9
	s_and_saveexec_b64 s[0:1], vcc
	s_xor_b64 s[0:1], exec, s[0:1]
	s_cbranch_execz .LBB202_10
; %bb.9:
	v_div_scale_f64 v[6:7], s[16:17], v[4:5], v[4:5], v[2:3]
	v_rcp_f64_e32 v[8:9], v[6:7]
	v_div_scale_f64 v[12:13], vcc, v[2:3], v[4:5], v[2:3]
	v_fma_f64 v[14:15], -v[6:7], v[8:9], 1.0
	v_fmac_f64_e32 v[8:9], v[8:9], v[14:15]
	v_fma_f64 v[14:15], -v[6:7], v[8:9], 1.0
	v_fmac_f64_e32 v[8:9], v[8:9], v[14:15]
	v_mul_f64 v[14:15], v[12:13], v[8:9]
	v_fma_f64 v[6:7], -v[6:7], v[14:15], v[12:13]
	v_div_fmas_f64 v[6:7], v[6:7], v[8:9], v[14:15]
	v_div_fixup_f64 v[8:9], v[6:7], v[4:5], v[2:3]
	v_fmac_f64_e32 v[4:5], v[2:3], v[8:9]
	v_div_scale_f64 v[2:3], s[16:17], v[4:5], v[4:5], 1.0
	v_rcp_f64_e32 v[6:7], v[2:3]
	v_fma_f64 v[12:13], -v[2:3], v[6:7], 1.0
	v_fmac_f64_e32 v[6:7], v[6:7], v[12:13]
	v_fma_f64 v[12:13], -v[2:3], v[6:7], 1.0
	v_fmac_f64_e32 v[6:7], v[6:7], v[12:13]
	v_div_scale_f64 v[12:13], vcc, 1.0, v[4:5], 1.0
	v_mul_f64 v[14:15], v[12:13], v[6:7]
	v_fma_f64 v[2:3], -v[2:3], v[14:15], v[12:13]
	s_nop 1
	v_div_fmas_f64 v[2:3], v[2:3], v[6:7], v[14:15]
	v_div_fixup_f64 v[2:3], v[2:3], v[4:5], 1.0
	v_add_f64 v[4:5], v[8:9], 0
	v_mul_f64 v[6:7], v[4:5], v[2:3]
	v_fma_f64 v[4:5], v[8:9], 0, -1.0
	v_mul_f64 v[8:9], v[4:5], v[2:3]
                                        ; implicit-def: $vgpr2_vgpr3
.LBB202_10:
	s_andn2_saveexec_b64 s[0:1], s[0:1]
	s_cbranch_execz .LBB202_12
; %bb.11:
	v_div_scale_f64 v[6:7], s[16:17], v[2:3], v[2:3], v[4:5]
	v_rcp_f64_e32 v[8:9], v[6:7]
	v_div_scale_f64 v[12:13], vcc, v[4:5], v[2:3], v[4:5]
	v_fma_f64 v[14:15], -v[6:7], v[8:9], 1.0
	v_fmac_f64_e32 v[8:9], v[8:9], v[14:15]
	v_fma_f64 v[14:15], -v[6:7], v[8:9], 1.0
	v_fmac_f64_e32 v[8:9], v[8:9], v[14:15]
	v_mul_f64 v[14:15], v[12:13], v[8:9]
	v_fma_f64 v[6:7], -v[6:7], v[14:15], v[12:13]
	v_div_fmas_f64 v[6:7], v[6:7], v[8:9], v[14:15]
	v_div_fixup_f64 v[8:9], v[6:7], v[2:3], v[4:5]
	v_fmac_f64_e32 v[2:3], v[4:5], v[8:9]
	v_div_scale_f64 v[4:5], s[16:17], v[2:3], v[2:3], 1.0
	v_rcp_f64_e32 v[6:7], v[4:5]
	v_fma_f64 v[12:13], -v[4:5], v[6:7], 1.0
	v_fmac_f64_e32 v[6:7], v[6:7], v[12:13]
	v_fma_f64 v[12:13], -v[4:5], v[6:7], 1.0
	v_fmac_f64_e32 v[6:7], v[6:7], v[12:13]
	v_div_scale_f64 v[12:13], vcc, 1.0, v[2:3], 1.0
	v_mul_f64 v[14:15], v[12:13], v[6:7]
	v_fma_f64 v[4:5], -v[4:5], v[14:15], v[12:13]
	s_nop 1
	v_div_fmas_f64 v[4:5], v[4:5], v[6:7], v[14:15]
	v_div_fixup_f64 v[2:3], v[4:5], v[2:3], 1.0
	v_fma_f64 v[4:5], v[8:9], 0, 1.0
	v_mul_f64 v[6:7], v[4:5], v[2:3]
	v_add_f64 v[4:5], -v[8:9], 0
	v_mul_f64 v[8:9], v[4:5], v[2:3]
.LBB202_12:
	s_or_b64 exec, exec, s[0:1]
	s_branch .LBB202_14
.LBB202_13:
	v_mov_b32_e32 v6, 0
	v_mov_b32_e32 v7, 0x3ff00000
	v_pk_mov_b32 v[8:9], 0, 0
.LBB202_14:
	ds_write_b128 v10, v[6:9]
.LBB202_15:
	s_or_b64 exec, exec, s[24:25]
	s_lshl_b32 s16, s8, 2
	s_add_i32 s36, s36, -1
	s_sub_i32 s0, s23, s16
	s_cmp_ge_u32 s8, s36
	s_cselect_b32 s0, s0, 4
	v_cmp_gt_i32_e32 vcc, s0, v1
	s_waitcnt lgkmcnt(0)
	; wave barrier
	s_waitcnt lgkmcnt(0)
	s_and_saveexec_b64 s[0:1], vcc
	s_cbranch_execz .LBB202_58
; %bb.16:
	s_load_dwordx2 s[0:1], s[4:5], 0x4
	s_load_dword s8, s[6:7], 0x58
	s_load_dwordx2 s[18:19], s[6:7], 0x60
	v_bfe_u32 v2, v0, 10, 10
	v_bfe_u32 v0, v0, 20, 10
	s_waitcnt lgkmcnt(0)
	s_lshr_b32 s0, s0, 16
	s_mul_i32 s0, s0, s1
	v_mul_u32_u24_e32 v2, s1, v2
	v_mul_u32_u24_e32 v3, s0, v1
	s_mul_i32 s0, s9, s19
	s_mul_hi_u32 s1, s9, s18
	s_add_i32 s1, s1, s0
	s_mul_i32 s0, s9, s18
	s_lshl_b64 s[0:1], s[0:1], 4
	s_add_u32 s6, s2, s0
	v_add3_u32 v0, v3, v2, v0
	v_mov_b32_e32 v2, 0x100
	s_addc_u32 s7, s3, s1
	s_lshl_b64 s[4:5], s[10:11], 4
	v_lshl_add_u32 v6, v0, 6, v2
	s_add_u32 s9, s6, s4
	v_add_u32_e32 v0, s16, v1
	s_addc_u32 s10, s7, s5
	v_mad_i64_i32 v[0:1], s[6:7], s8, v0, 0
	v_lshlrev_b64 v[4:5], 4, v[0:1]
	v_mov_b32_e32 v0, s10
	v_add_co_u32_e32 v7, vcc, s9, v4
	v_addc_co_u32_e32 v8, vcc, v0, v5, vcc
	s_cmpk_eq_i32 s20, 0x6f
	s_mov_b64 s[6:7], -1
	s_cbranch_scc1 .LBB202_37
; %bb.17:
	s_add_u32 s6, s2, s4
	s_addc_u32 s7, s3, s5
	s_add_u32 s6, s6, s0
	s_addc_u32 s7, s7, s1
	v_mov_b32_e32 v0, s7
	v_add_co_u32_e32 v1, vcc, s6, v4
	v_addc_co_u32_e32 v0, vcc, v0, v5, vcc
	v_add_co_u32_e32 v9, vcc, 8, v1
	s_lshl_b32 s20, s22, 4
	s_mov_b32 s7, 0
	v_addc_co_u32_e32 v10, vcc, 0, v0, vcc
	s_add_i32 s20, s20, -16
	s_mov_b32 s6, s7
	s_mov_b32 s8, s33
	s_branch .LBB202_19
.LBB202_18:                             ;   in Loop: Header=BB202_19 Depth=1
	s_cmp_lt_i32 s8, 0
	s_cselect_b64 s[10:11], -1, 0
	s_add_i32 s6, s6, 1
	s_cmp_eq_u32 s6, 3
	s_cselect_b64 s[16:17], -1, 0
	s_or_b64 s[10:11], s[10:11], s[16:17]
	s_andn2_b64 vcc, exec, s[10:11]
	s_cbranch_vccz .LBB202_36
.LBB202_19:                             ; =>This Loop Header: Depth=1
                                        ;     Child Loop BB202_22 Depth 2
                                        ;       Child Loop BB202_23 Depth 3
                                        ;       Child Loop BB202_25 Depth 3
                                        ;         Child Loop BB202_26 Depth 4
                                        ;       Child Loop BB202_30 Depth 3
                                        ;         Child Loop BB202_32 Depth 4
	s_lshl_b64 s[10:11], s[6:7], 2
	s_getpc_b64 s[16:17]
	s_add_u32 s16, s16, __const._ZL30rocblas_trsm_small_left_deviceILi4ELi4ELb1E19rocblas_complex_numIdES1_PKS1_PS1_Ev13rocblas_fill_18rocblas_operation_17rocblas_diagonal_iiT3_T4_lilT5_lili.step_sizes@rel32@lo+4
	s_addc_u32 s17, s17, __const._ZL30rocblas_trsm_small_left_deviceILi4ELi4ELb1E19rocblas_complex_numIdES1_PKS1_PS1_Ev13rocblas_fill_18rocblas_operation_17rocblas_diagonal_iiT3_T4_lilT5_lili.step_sizes@rel32@hi+12
	s_add_u32 s10, s10, s16
	s_addc_u32 s11, s11, s17
	s_load_dword s21, s[10:11], 0x0
	s_waitcnt lgkmcnt(0)
	s_add_i32 s23, s21, -1
	s_cmp_lt_i32 s8, s23
	s_cbranch_scc1 .LBB202_18
; %bb.20:                               ;   in Loop: Header=BB202_19 Depth=1
	s_lshl_b32 s9, s8, 6
	s_add_i32 s25, s20, s9
	s_lshl_b32 s9, s21, 6
	s_max_i32 s24, s21, 1
	s_sub_i32 s26, 0, s9
	s_mul_i32 s27, s8, 0x50
	s_mul_i32 s28, s21, 0xffffffb0
	s_branch .LBB202_22
.LBB202_21:                             ;   in Loop: Header=BB202_22 Depth=2
	s_sub_i32 s8, s8, s21
	s_add_i32 s25, s25, s26
	s_add_i32 s27, s27, s28
	s_cmp_lt_i32 s8, s23
	s_cbranch_scc1 .LBB202_18
.LBB202_22:                             ;   Parent Loop BB202_19 Depth=1
                                        ; =>  This Loop Header: Depth=2
                                        ;       Child Loop BB202_23 Depth 3
                                        ;       Child Loop BB202_25 Depth 3
                                        ;         Child Loop BB202_26 Depth 4
                                        ;       Child Loop BB202_30 Depth 3
                                        ;         Child Loop BB202_32 Depth 4
	s_ashr_i32 s9, s8, 31
	s_lshl_b64 s[10:11], s[8:9], 4
	v_mov_b32_e32 v1, s11
	v_add_co_u32_e32 v0, vcc, s10, v9
	v_addc_co_u32_e32 v1, vcc, v10, v1, vcc
	v_mov_b32_e32 v2, v6
	s_mov_b32 s10, s24
.LBB202_23:                             ;   Parent Loop BB202_19 Depth=1
                                        ;     Parent Loop BB202_22 Depth=2
                                        ; =>    This Inner Loop Header: Depth=3
	global_load_dwordx4 v[12:15], v[0:1], off offset:-8
	s_add_i32 s10, s10, -1
	v_add_co_u32_e32 v0, vcc, -16, v0
	v_addc_co_u32_e32 v1, vcc, -1, v1, vcc
	s_cmp_eq_u32 s10, 0
	s_waitcnt vmcnt(0)
	v_mul_f64 v[18:19], s[14:15], v[14:15]
	v_mul_f64 v[16:17], s[12:13], v[14:15]
	v_fma_f64 v[14:15], s[12:13], v[12:13], -v[18:19]
	v_fmac_f64_e32 v[16:17], s[14:15], v[12:13]
	ds_write_b128 v2, v[14:17]
	v_add_u32_e32 v2, 16, v2
	s_cbranch_scc0 .LBB202_23
; %bb.24:                               ;   in Loop: Header=BB202_22 Depth=2
	s_cmp_le_i32 s33, s8
	s_mov_b32 s16, s25
	s_mov_b32 s10, s33
	s_cbranch_scc1 .LBB202_28
.LBB202_25:                             ;   Parent Loop BB202_19 Depth=1
                                        ;     Parent Loop BB202_22 Depth=2
                                        ; =>    This Loop Header: Depth=3
                                        ;         Child Loop BB202_26 Depth 4
	s_ashr_i32 s11, s10, 31
	s_lshl_b64 s[18:19], s[10:11], 4
	v_mov_b32_e32 v1, s19
	v_add_co_u32_e32 v0, vcc, s18, v7
	v_addc_co_u32_e32 v1, vcc, v8, v1, vcc
	global_load_dwordx4 v[0:3], v[0:1], off
	v_mov_b32_e32 v11, v6
	s_mov_b32 s11, s16
	s_mov_b32 s17, s24
.LBB202_26:                             ;   Parent Loop BB202_19 Depth=1
                                        ;     Parent Loop BB202_22 Depth=2
                                        ;       Parent Loop BB202_25 Depth=3
                                        ; =>      This Inner Loop Header: Depth=4
	v_mov_b32_e32 v16, s11
	ds_read_b128 v[16:19], v16
	ds_read_b128 v[12:15], v11
	s_add_i32 s17, s17, -1
	s_sub_i32 s11, s11, 64
	s_cmp_eq_u32 s17, 0
	s_waitcnt vmcnt(0) lgkmcnt(1)
	v_mul_f64 v[20:21], v[2:3], v[18:19]
	v_mul_f64 v[18:19], v[0:1], v[18:19]
	v_fma_f64 v[20:21], v[0:1], v[16:17], -v[20:21]
	v_fmac_f64_e32 v[18:19], v[2:3], v[16:17]
	s_waitcnt lgkmcnt(0)
	v_add_f64 v[12:13], v[12:13], -v[20:21]
	v_add_f64 v[14:15], v[14:15], -v[18:19]
	ds_write_b128 v11, v[12:15]
	v_add_u32_e32 v11, 16, v11
	s_cbranch_scc0 .LBB202_26
; %bb.27:                               ;   in Loop: Header=BB202_25 Depth=3
	s_add_i32 s10, s10, -1
	s_add_i32 s16, s16, -16
	s_cmp_le_i32 s10, s8
	s_cbranch_scc0 .LBB202_25
.LBB202_28:                             ;   in Loop: Header=BB202_22 Depth=2
	s_mov_b32 s29, 0
	s_mov_b32 s30, s27
	s_branch .LBB202_30
.LBB202_29:                             ;   in Loop: Header=BB202_30 Depth=3
	s_mulk_i32 s16, 0x50
	v_mov_b32_e32 v12, s16
	ds_read_b128 v[12:15], v12
	s_lshl_b64 s[10:11], s[10:11], 4
	v_mov_b32_e32 v20, s11
	s_add_i32 s29, s29, 1
	s_sub_i32 s30, s30, 64
	s_waitcnt lgkmcnt(0)
	v_mul_f64 v[16:17], v[14:15], v[2:3]
	v_mul_f64 v[18:19], v[12:13], v[2:3]
	v_fma_f64 v[16:17], v[12:13], v[0:1], -v[16:17]
	v_fmac_f64_e32 v[18:19], v[14:15], v[0:1]
	v_add_co_u32_e32 v0, vcc, s10, v7
	v_addc_co_u32_e32 v1, vcc, v8, v20, vcc
	s_cmp_eq_u32 s29, s24
	ds_write_b128 v11, v[16:19]
	global_store_dwordx4 v[0:1], v[16:19], off
	s_cbranch_scc1 .LBB202_21
.LBB202_30:                             ;   Parent Loop BB202_19 Depth=1
                                        ;     Parent Loop BB202_22 Depth=2
                                        ; =>    This Loop Header: Depth=3
                                        ;         Child Loop BB202_32 Depth 4
	s_cmp_lg_u32 s29, 0
	v_lshl_add_u32 v11, s29, 4, v6
	s_cbranch_scc0 .LBB202_34
; %bb.31:                               ;   in Loop: Header=BB202_30 Depth=3
	ds_read_b128 v[0:3], v11
	s_mov_b32 s10, 0
	v_mov_b32_e32 v12, v6
	s_mov_b32 s11, s30
.LBB202_32:                             ;   Parent Loop BB202_19 Depth=1
                                        ;     Parent Loop BB202_22 Depth=2
                                        ;       Parent Loop BB202_30 Depth=3
                                        ; =>      This Inner Loop Header: Depth=4
	v_mov_b32_e32 v13, s11
	ds_read_b128 v[14:17], v12
	ds_read_b128 v[18:21], v13
	s_add_i32 s10, s10, 1
	s_add_i32 s11, s11, -16
	v_add_u32_e32 v12, 16, v12
	s_cmp_ge_u32 s10, s29
	s_waitcnt lgkmcnt(0)
	v_mul_f64 v[22:23], v[20:21], v[16:17]
	v_mul_f64 v[16:17], v[18:19], v[16:17]
	v_fma_f64 v[18:19], v[18:19], v[14:15], -v[22:23]
	v_fmac_f64_e32 v[16:17], v[20:21], v[14:15]
	v_add_f64 v[0:1], v[0:1], -v[18:19]
	v_add_f64 v[2:3], v[2:3], -v[16:17]
	ds_write_b128 v11, v[0:3]
	s_cbranch_scc0 .LBB202_32
; %bb.33:                               ;   in Loop: Header=BB202_30 Depth=3
	s_sub_i32 s16, s8, s29
	s_ashr_i32 s17, s16, 31
	s_mov_b64 s[10:11], s[16:17]
	s_branch .LBB202_29
.LBB202_34:                             ;   in Loop: Header=BB202_30 Depth=3
                                        ; implicit-def: $vgpr0_vgpr1
                                        ; implicit-def: $sgpr16
                                        ; implicit-def: $sgpr10_sgpr11
	s_cbranch_execz .LBB202_29
; %bb.35:                               ;   in Loop: Header=BB202_30 Depth=3
	ds_read_b128 v[0:3], v6
	s_mov_b64 s[10:11], s[8:9]
	s_mov_b32 s16, s8
	s_branch .LBB202_29
.LBB202_36:
	s_mov_b64 s[6:7], 0
.LBB202_37:
	s_and_b64 vcc, exec, s[6:7]
	s_cbranch_vccz .LBB202_58
; %bb.38:
	s_add_u32 s2, s2, s4
	s_addc_u32 s3, s3, s5
	s_add_u32 s0, s2, s0
	s_addc_u32 s1, s3, s1
	v_mov_b32_e32 v0, s1
	v_add_co_u32_e32 v1, vcc, s0, v4
	v_addc_co_u32_e32 v0, vcc, v0, v5, vcc
	v_add_co_u32_e32 v9, vcc, 8, v1
	s_mov_b32 s1, 0
	v_addc_co_u32_e32 v10, vcc, 0, v0, vcc
	s_mov_b32 s2, s1
	s_mov_b32 s4, s1
	s_branch .LBB202_40
.LBB202_39:                             ;   in Loop: Header=BB202_40 Depth=1
	s_cmp_ge_i32 s2, s22
	s_cselect_b64 s[6:7], -1, 0
	s_add_i32 s4, s4, 1
	s_cmp_eq_u32 s4, 3
	s_cselect_b64 s[8:9], -1, 0
	s_or_b64 s[6:7], s[6:7], s[8:9]
	s_and_b64 vcc, exec, s[6:7]
	s_cbranch_vccnz .LBB202_58
.LBB202_40:                             ; =>This Loop Header: Depth=1
                                        ;     Child Loop BB202_43 Depth 2
                                        ;       Child Loop BB202_44 Depth 3
                                        ;       Child Loop BB202_47 Depth 3
                                        ;         Child Loop BB202_48 Depth 4
                                        ;       Child Loop BB202_52 Depth 3
                                        ;         Child Loop BB202_54 Depth 4
	s_mov_b32 s5, s1
	s_lshl_b64 s[6:7], s[4:5], 2
	s_getpc_b64 s[8:9]
	s_add_u32 s8, s8, __const._ZL30rocblas_trsm_small_left_deviceILi4ELi4ELb1E19rocblas_complex_numIdES1_PKS1_PS1_Ev13rocblas_fill_18rocblas_operation_17rocblas_diagonal_iiT3_T4_lilT5_lili.step_sizes@rel32@lo+4
	s_addc_u32 s9, s9, __const._ZL30rocblas_trsm_small_left_deviceILi4ELi4ELb1E19rocblas_complex_numIdES1_PKS1_PS1_Ev13rocblas_fill_18rocblas_operation_17rocblas_diagonal_iiT3_T4_lilT5_lili.step_sizes@rel32@hi+12
	s_add_u32 s6, s6, s8
	s_addc_u32 s7, s7, s9
	s_load_dword s6, s[6:7], 0x0
	s_waitcnt lgkmcnt(0)
	s_add_i32 s5, s6, -1
	s_add_i32 s0, s5, s2
	s_cmp_ge_i32 s0, s22
	s_cbranch_scc1 .LBB202_39
; %bb.41:                               ;   in Loop: Header=BB202_40 Depth=1
	s_ashr_i32 s3, s2, 31
	s_lshl_b64 s[8:9], s[2:3], 4
	v_mov_b32_e32 v0, s9
	v_add_co_u32_e32 v4, vcc, s8, v9
	s_ashr_i32 s7, s6, 31
	s_max_i32 s18, s6, 1
	v_addc_co_u32_e32 v5, vcc, v10, v0, vcc
	s_lshl_b64 s[8:9], s[6:7], 4
	s_lshl_b32 s3, s2, 4
	s_lshl_b32 s7, s6, 4
	s_mul_i32 s19, s2, 0x50
	s_mul_i32 s20, s6, 0x50
	s_branch .LBB202_43
.LBB202_42:                             ;   in Loop: Header=BB202_43 Depth=2
	s_add_i32 s2, s2, s6
	s_add_i32 s0, s5, s2
	v_mov_b32_e32 v0, s9
	s_add_i32 s3, s3, s7
	s_add_i32 s19, s19, s20
	v_add_co_u32_e32 v4, vcc, s8, v4
	s_cmp_ge_i32 s0, s22
	v_addc_co_u32_e32 v5, vcc, v5, v0, vcc
	s_cbranch_scc1 .LBB202_39
.LBB202_43:                             ;   Parent Loop BB202_40 Depth=1
                                        ; =>  This Loop Header: Depth=2
                                        ;       Child Loop BB202_44 Depth 3
                                        ;       Child Loop BB202_47 Depth 3
                                        ;         Child Loop BB202_48 Depth 4
                                        ;       Child Loop BB202_52 Depth 3
                                        ;         Child Loop BB202_54 Depth 4
	v_mov_b32_e32 v2, v6
	v_pk_mov_b32 v[0:1], v[4:5], v[4:5] op_sel:[0,1]
	s_mov_b32 s0, s18
.LBB202_44:                             ;   Parent Loop BB202_40 Depth=1
                                        ;     Parent Loop BB202_43 Depth=2
                                        ; =>    This Inner Loop Header: Depth=3
	global_load_dwordx4 v[12:15], v[0:1], off offset:-8
	s_add_i32 s0, s0, -1
	v_add_co_u32_e32 v0, vcc, 16, v0
	v_addc_co_u32_e32 v1, vcc, 0, v1, vcc
	s_cmp_eq_u32 s0, 0
	s_waitcnt vmcnt(0)
	v_mul_f64 v[18:19], s[14:15], v[14:15]
	v_mul_f64 v[16:17], s[12:13], v[14:15]
	v_fma_f64 v[14:15], s[12:13], v[12:13], -v[18:19]
	v_fmac_f64_e32 v[16:17], s[14:15], v[12:13]
	ds_write_b128 v2, v[14:17]
	v_add_u32_e32 v2, 16, v2
	s_cbranch_scc0 .LBB202_44
; %bb.45:                               ;   in Loop: Header=BB202_43 Depth=2
	s_cmp_lt_i32 s2, 1
	s_cbranch_scc1 .LBB202_50
; %bb.46:                               ;   in Loop: Header=BB202_43 Depth=2
	s_mov_b32 s0, 0
	s_mov_b32 s10, s3
.LBB202_47:                             ;   Parent Loop BB202_40 Depth=1
                                        ;     Parent Loop BB202_43 Depth=2
                                        ; =>    This Loop Header: Depth=3
                                        ;         Child Loop BB202_48 Depth 4
	s_lshl_b64 s[16:17], s[0:1], 4
	v_mov_b32_e32 v1, s17
	v_add_co_u32_e32 v0, vcc, s16, v7
	v_addc_co_u32_e32 v1, vcc, v8, v1, vcc
	global_load_dwordx4 v[0:3], v[0:1], off
	v_mov_b32_e32 v11, v6
	s_mov_b32 s11, s10
	s_mov_b32 s16, s18
.LBB202_48:                             ;   Parent Loop BB202_40 Depth=1
                                        ;     Parent Loop BB202_43 Depth=2
                                        ;       Parent Loop BB202_47 Depth=3
                                        ; =>      This Inner Loop Header: Depth=4
	v_mov_b32_e32 v16, s11
	ds_read_b128 v[16:19], v16
	ds_read_b128 v[12:15], v11
	s_add_i32 s16, s16, -1
	s_add_i32 s11, s11, 16
	s_cmp_eq_u32 s16, 0
	s_waitcnt vmcnt(0) lgkmcnt(1)
	v_mul_f64 v[20:21], v[2:3], v[18:19]
	v_mul_f64 v[18:19], v[0:1], v[18:19]
	v_fma_f64 v[20:21], v[0:1], v[16:17], -v[20:21]
	v_fmac_f64_e32 v[18:19], v[2:3], v[16:17]
	s_waitcnt lgkmcnt(0)
	v_add_f64 v[12:13], v[12:13], -v[20:21]
	v_add_f64 v[14:15], v[14:15], -v[18:19]
	ds_write_b128 v11, v[12:15]
	v_add_u32_e32 v11, 16, v11
	s_cbranch_scc0 .LBB202_48
; %bb.49:                               ;   in Loop: Header=BB202_47 Depth=3
	s_add_i32 s0, s0, 1
	s_add_i32 s10, s10, 64
	s_cmp_ge_i32 s0, s2
	s_cbranch_scc0 .LBB202_47
.LBB202_50:                             ;   in Loop: Header=BB202_43 Depth=2
	s_mov_b32 s0, 0
	s_mov_b32 s21, s19
	s_branch .LBB202_52
.LBB202_51:                             ;   in Loop: Header=BB202_52 Depth=3
	s_mul_i32 s11, s10, 0x50
	v_mov_b32_e32 v12, s11
	ds_read_b128 v[12:15], v12
	s_ashr_i32 s11, s10, 31
	s_lshl_b64 s[10:11], s[10:11], 4
	s_add_i32 s0, s0, 1
	s_add_i32 s21, s21, 16
	s_waitcnt lgkmcnt(0)
	v_mul_f64 v[16:17], v[14:15], v[2:3]
	v_mul_f64 v[18:19], v[12:13], v[2:3]
	v_fma_f64 v[16:17], v[12:13], v[0:1], -v[16:17]
	v_fmac_f64_e32 v[18:19], v[14:15], v[0:1]
	v_mov_b32_e32 v1, s11
	v_add_co_u32_e32 v0, vcc, s10, v7
	v_addc_co_u32_e32 v1, vcc, v8, v1, vcc
	s_cmp_eq_u32 s0, s18
	ds_write_b128 v11, v[16:19]
	global_store_dwordx4 v[0:1], v[16:19], off
	s_cbranch_scc1 .LBB202_42
.LBB202_52:                             ;   Parent Loop BB202_40 Depth=1
                                        ;     Parent Loop BB202_43 Depth=2
                                        ; =>    This Loop Header: Depth=3
                                        ;         Child Loop BB202_54 Depth 4
	s_cmp_lg_u32 s0, 0
	v_lshl_add_u32 v11, s0, 4, v6
	s_cbranch_scc0 .LBB202_56
; %bb.53:                               ;   in Loop: Header=BB202_52 Depth=3
	ds_read_b128 v[0:3], v11
	s_add_i32 s10, s0, s2
	s_mov_b32 s11, 0
	v_mov_b32_e32 v12, v6
	s_mov_b32 s16, s21
.LBB202_54:                             ;   Parent Loop BB202_40 Depth=1
                                        ;     Parent Loop BB202_43 Depth=2
                                        ;       Parent Loop BB202_52 Depth=3
                                        ; =>      This Inner Loop Header: Depth=4
	v_mov_b32_e32 v13, s16
	ds_read_b128 v[14:17], v12
	ds_read_b128 v[18:21], v13
	s_add_i32 s11, s11, 1
	s_add_i32 s16, s16, 64
	v_add_u32_e32 v12, 16, v12
	s_cmp_ge_u32 s11, s0
	s_waitcnt lgkmcnt(0)
	v_mul_f64 v[22:23], v[20:21], v[16:17]
	v_mul_f64 v[16:17], v[18:19], v[16:17]
	v_fma_f64 v[18:19], v[18:19], v[14:15], -v[22:23]
	v_fmac_f64_e32 v[16:17], v[20:21], v[14:15]
	v_add_f64 v[0:1], v[0:1], -v[18:19]
	v_add_f64 v[2:3], v[2:3], -v[16:17]
	ds_write_b128 v11, v[0:3]
	s_cbranch_scc0 .LBB202_54
; %bb.55:                               ;   in Loop: Header=BB202_52 Depth=3
	s_branch .LBB202_51
.LBB202_56:                             ;   in Loop: Header=BB202_52 Depth=3
                                        ; implicit-def: $vgpr0_vgpr1
                                        ; implicit-def: $sgpr10
	s_cbranch_execz .LBB202_51
; %bb.57:                               ;   in Loop: Header=BB202_52 Depth=3
	ds_read_b128 v[0:3], v6
	s_mov_b32 s10, s2
	s_branch .LBB202_51
.LBB202_58:
	s_endpgm
	.section	.rodata,"a",@progbits
	.p2align	6, 0x0
	.amdhsa_kernel _ZL30rocblas_trsm_small_left_deviceILi4ELi4ELb1E19rocblas_complex_numIdES1_PKS1_PS1_Ev13rocblas_fill_18rocblas_operation_17rocblas_diagonal_iiT3_T4_lilT5_lili
		.amdhsa_group_segment_fixed_size 512
		.amdhsa_private_segment_fixed_size 0
		.amdhsa_kernarg_size 368
		.amdhsa_user_sgpr_count 8
		.amdhsa_user_sgpr_private_segment_buffer 1
		.amdhsa_user_sgpr_dispatch_ptr 1
		.amdhsa_user_sgpr_queue_ptr 0
		.amdhsa_user_sgpr_kernarg_segment_ptr 1
		.amdhsa_user_sgpr_dispatch_id 0
		.amdhsa_user_sgpr_flat_scratch_init 0
		.amdhsa_user_sgpr_kernarg_preload_length 0
		.amdhsa_user_sgpr_kernarg_preload_offset 0
		.amdhsa_user_sgpr_private_segment_size 0
		.amdhsa_uses_dynamic_stack 0
		.amdhsa_system_sgpr_private_segment_wavefront_offset 0
		.amdhsa_system_sgpr_workgroup_id_x 1
		.amdhsa_system_sgpr_workgroup_id_y 0
		.amdhsa_system_sgpr_workgroup_id_z 1
		.amdhsa_system_sgpr_workgroup_info 0
		.amdhsa_system_vgpr_workitem_id 2
		.amdhsa_next_free_vgpr 25
		.amdhsa_next_free_sgpr 40
		.amdhsa_accum_offset 28
		.amdhsa_reserve_vcc 1
		.amdhsa_reserve_flat_scratch 0
		.amdhsa_float_round_mode_32 0
		.amdhsa_float_round_mode_16_64 0
		.amdhsa_float_denorm_mode_32 3
		.amdhsa_float_denorm_mode_16_64 3
		.amdhsa_dx10_clamp 1
		.amdhsa_ieee_mode 1
		.amdhsa_fp16_overflow 0
		.amdhsa_tg_split 0
		.amdhsa_exception_fp_ieee_invalid_op 0
		.amdhsa_exception_fp_denorm_src 0
		.amdhsa_exception_fp_ieee_div_zero 0
		.amdhsa_exception_fp_ieee_overflow 0
		.amdhsa_exception_fp_ieee_underflow 0
		.amdhsa_exception_fp_ieee_inexact 0
		.amdhsa_exception_int_div_zero 0
	.end_amdhsa_kernel
	.section	.text._ZL30rocblas_trsm_small_left_deviceILi4ELi4ELb1E19rocblas_complex_numIdES1_PKS1_PS1_Ev13rocblas_fill_18rocblas_operation_17rocblas_diagonal_iiT3_T4_lilT5_lili,"axG",@progbits,_ZL30rocblas_trsm_small_left_deviceILi4ELi4ELb1E19rocblas_complex_numIdES1_PKS1_PS1_Ev13rocblas_fill_18rocblas_operation_17rocblas_diagonal_iiT3_T4_lilT5_lili,comdat
.Lfunc_end202:
	.size	_ZL30rocblas_trsm_small_left_deviceILi4ELi4ELb1E19rocblas_complex_numIdES1_PKS1_PS1_Ev13rocblas_fill_18rocblas_operation_17rocblas_diagonal_iiT3_T4_lilT5_lili, .Lfunc_end202-_ZL30rocblas_trsm_small_left_deviceILi4ELi4ELb1E19rocblas_complex_numIdES1_PKS1_PS1_Ev13rocblas_fill_18rocblas_operation_17rocblas_diagonal_iiT3_T4_lilT5_lili
                                        ; -- End function
	.section	.AMDGPU.csdata,"",@progbits
; Kernel info:
; codeLenInByte = 2888
; NumSgprs: 44
; NumVgprs: 25
; NumAgprs: 0
; TotalNumVgprs: 25
; ScratchSize: 0
; MemoryBound: 0
; FloatMode: 240
; IeeeMode: 1
; LDSByteSize: 512 bytes/workgroup (compile time only)
; SGPRBlocks: 5
; VGPRBlocks: 3
; NumSGPRsForWavesPerEU: 44
; NumVGPRsForWavesPerEU: 25
; AccumOffset: 28
; Occupancy: 8
; WaveLimiterHint : 0
; COMPUTE_PGM_RSRC2:SCRATCH_EN: 0
; COMPUTE_PGM_RSRC2:USER_SGPR: 8
; COMPUTE_PGM_RSRC2:TRAP_HANDLER: 0
; COMPUTE_PGM_RSRC2:TGID_X_EN: 1
; COMPUTE_PGM_RSRC2:TGID_Y_EN: 0
; COMPUTE_PGM_RSRC2:TGID_Z_EN: 1
; COMPUTE_PGM_RSRC2:TIDIG_COMP_CNT: 2
; COMPUTE_PGM_RSRC3_GFX90A:ACCUM_OFFSET: 6
; COMPUTE_PGM_RSRC3_GFX90A:TG_SPLIT: 0
	.section	.text._ZL31rocblas_trsm_small_right_deviceI19rocblas_complex_numIdES1_PKS1_PS1_Li4EEv13rocblas_fill_18rocblas_operation_17rocblas_diagonal_iiT0_T1_lilT2_lili,"axG",@progbits,_ZL31rocblas_trsm_small_right_deviceI19rocblas_complex_numIdES1_PKS1_PS1_Li4EEv13rocblas_fill_18rocblas_operation_17rocblas_diagonal_iiT0_T1_lilT2_lili,comdat
	.globl	_ZL31rocblas_trsm_small_right_deviceI19rocblas_complex_numIdES1_PKS1_PS1_Li4EEv13rocblas_fill_18rocblas_operation_17rocblas_diagonal_iiT0_T1_lilT2_lili ; -- Begin function _ZL31rocblas_trsm_small_right_deviceI19rocblas_complex_numIdES1_PKS1_PS1_Li4EEv13rocblas_fill_18rocblas_operation_17rocblas_diagonal_iiT0_T1_lilT2_lili
	.p2align	8
	.type	_ZL31rocblas_trsm_small_right_deviceI19rocblas_complex_numIdES1_PKS1_PS1_Li4EEv13rocblas_fill_18rocblas_operation_17rocblas_diagonal_iiT0_T1_lilT2_lili,@function
_ZL31rocblas_trsm_small_right_deviceI19rocblas_complex_numIdES1_PKS1_PS1_Li4EEv13rocblas_fill_18rocblas_operation_17rocblas_diagonal_iiT0_T1_lilT2_lili: ; @_ZL31rocblas_trsm_small_right_deviceI19rocblas_complex_numIdES1_PKS1_PS1_Li4EEv13rocblas_fill_18rocblas_operation_17rocblas_diagonal_iiT0_T1_lilT2_lili
; %bb.0:
	s_load_dwordx4 s[16:19], s[4:5], 0x0
	s_load_dword s33, s[4:5], 0x10
	s_load_dwordx8 s[8:15], s[4:5], 0x18
	s_load_dwordx2 s[20:21], s[4:5], 0x50
	s_load_dwordx4 s[0:3], s[4:5], 0x40
	s_mov_b32 s36, 0
	s_waitcnt lgkmcnt(0)
	s_min_i32 s34, s33, 4
	s_add_i32 s35, s34, -1
	v_cmp_gt_i32_e32 vcc, s34, v0
	s_and_saveexec_b64 s[22:23], vcc
	s_cbranch_execz .LBB203_9
; %bb.1:
	s_load_dword s24, s[4:5], 0x38
	s_mul_i32 s37, s1, s7
	s_mul_hi_u32 s38, s0, s7
	s_mul_i32 s26, s0, s7
	s_waitcnt lgkmcnt(0)
	s_ashr_i32 s25, s24, 31
	s_cmpk_eq_i32 s17, 0x71
	s_cselect_b64 vcc, -1, 0
	s_cmp_lt_u32 s35, 3
	s_cbranch_scc1 .LBB203_4
; %bb.2:
	s_add_i32 s27, s38, s37
	s_and_b32 s36, s34, -4
	s_lshl_b64 s[0:1], s[26:27], 4
	s_lshl_b64 s[28:29], s[14:15], 4
	s_add_u32 s0, s0, s28
	s_addc_u32 s1, s1, s29
	s_add_u32 s0, s12, s0
	v_lshlrev_b32_e32 v2, 4, v0
	s_addc_u32 s1, s13, s1
	v_mov_b32_e32 v3, s1
	v_add_co_u32_e64 v2, s[0:1], s0, v2
	v_addc_co_u32_e64 v3, s[0:1], 0, v3, s[0:1]
	v_add_co_u32_e64 v2, s[0:1], 8, v2
	s_lshl_b64 s[28:29], s[24:25], 6
	s_lshl_b64 s[30:31], s[24:25], 4
	v_lshlrev_b32_e32 v1, 4, v0
	v_addc_co_u32_e64 v3, s[0:1], 0, v3, s[0:1]
	s_mov_b32 s27, 0
	v_mov_b32_e32 v4, s31
	v_mov_b32_e32 v5, s29
.LBB203_3:                              ; =>This Inner Loop Header: Depth=1
	v_add_co_u32_e64 v18, s[0:1], s30, v2
	v_addc_co_u32_e64 v19, s[0:1], v3, v4, s[0:1]
	v_add_co_u32_e64 v20, s[0:1], s30, v18
	global_load_dwordx4 v[6:9], v[2:3], off offset:-8
	v_addc_co_u32_e64 v21, s[0:1], v19, v4, s[0:1]
	global_load_dwordx4 v[10:13], v[18:19], off offset:-8
	global_load_dwordx4 v[14:17], v[20:21], off offset:-8
	v_add_co_u32_e64 v18, s[0:1], s30, v20
	v_addc_co_u32_e64 v19, s[0:1], v21, v4, s[0:1]
	global_load_dwordx4 v[18:21], v[18:19], off offset:-8
	s_add_i32 s27, s27, 4
	v_add_co_u32_e64 v2, s[0:1], s28, v2
	s_cmp_eq_u32 s36, s27
	v_addc_co_u32_e64 v3, s[0:1], v3, v5, s[0:1]
	s_waitcnt vmcnt(3)
	v_xor_b32_e32 v22, 0x80000000, v9
	v_cndmask_b32_e32 v9, v9, v22, vcc
	ds_write_b128 v1, v[6:9]
	s_waitcnt vmcnt(1)
	v_xor_b32_e32 v6, 0x80000000, v17
	v_xor_b32_e32 v22, 0x80000000, v13
	v_cndmask_b32_e32 v17, v17, v6, vcc
	v_cndmask_b32_e32 v13, v13, v22, vcc
	ds_write_b128 v1, v[10:13] offset:64
	s_waitcnt vmcnt(0)
	v_xor_b32_e32 v6, 0x80000000, v21
	v_cndmask_b32_e32 v21, v21, v6, vcc
	ds_write_b128 v1, v[14:17] offset:128
	ds_write_b128 v1, v[18:21] offset:192
	v_add_u32_e32 v1, 0x100, v1
	s_cbranch_scc0 .LBB203_3
.LBB203_4:
	s_and_b32 s28, s34, 3
	s_cmp_eq_u32 s28, 0
	s_cbranch_scc1 .LBB203_7
; %bb.5:
	s_add_i32 s27, s38, s37
	s_lshl_b64 s[0:1], s[26:27], 4
	s_mul_i32 s26, s25, s36
	s_mul_hi_u32 s27, s24, s36
	s_add_i32 s27, s27, s26
	s_mul_i32 s26, s24, s36
	s_lshl_b64 s[26:27], s[26:27], 4
	s_add_u32 s26, s0, s26
	s_addc_u32 s27, s1, s27
	s_lshl_b64 s[0:1], s[14:15], 4
	s_add_u32 s0, s26, s0
	s_addc_u32 s1, s27, s1
	s_add_u32 s0, s12, s0
	v_lshlrev_b32_e32 v2, 4, v0
	s_addc_u32 s1, s13, s1
	v_lshl_or_b32 v1, s36, 6, v2
	v_mov_b32_e32 v3, s1
	v_add_co_u32_e64 v2, s[0:1], s0, v2
	v_addc_co_u32_e64 v3, s[0:1], 0, v3, s[0:1]
	v_add_co_u32_e64 v2, s[0:1], 8, v2
	s_lshl_b64 s[12:13], s[24:25], 4
	v_addc_co_u32_e64 v3, s[0:1], 0, v3, s[0:1]
	v_mov_b32_e32 v4, s13
.LBB203_6:                              ; =>This Inner Loop Header: Depth=1
	global_load_dwordx4 v[6:9], v[2:3], off offset:-8
	v_add_co_u32_e64 v2, s[0:1], s12, v2
	s_add_i32 s28, s28, -1
	v_addc_co_u32_e64 v3, s[0:1], v3, v4, s[0:1]
	s_cmp_lg_u32 s28, 0
	s_waitcnt vmcnt(0)
	v_xor_b32_e32 v5, 0x80000000, v9
	v_cndmask_b32_e32 v9, v9, v5, vcc
	ds_write_b128 v1, v[6:9]
	v_add_u32_e32 v1, 64, v1
	s_cbranch_scc1 .LBB203_6
.LBB203_7:
	s_cmpk_eq_i32 s18, 0x84
	s_cbranch_scc0 .LBB203_9
; %bb.8:
	v_mul_u32_u24_e32 v1, 5, v0
	v_mov_b32_e32 v2, 0
	v_lshlrev_b32_e32 v1, 4, v1
	v_mov_b32_e32 v3, 0x3ff00000
	v_mov_b32_e32 v4, v2
	v_mov_b32_e32 v5, v2
	ds_write_b128 v1, v[2:5]
.LBB203_9:
	s_or_b64 exec, exec, s[22:23]
	s_load_dword s1, s[4:5], 0x70
	s_load_dwordx2 s[12:13], s[4:5], 0x60
	s_load_dword s0, s[4:5], 0x58
	s_mov_b32 s26, 0
	s_waitcnt lgkmcnt(0)
	s_mul_i32 s5, s7, s13
	s_mul_hi_u32 s13, s7, s12
	s_mul_i32 s4, s7, s12
	s_add_i32 s5, s13, s5
	s_lshl_b64 s[12:13], s[4:5], 4
	s_add_u32 s7, s2, s12
	s_addc_u32 s14, s3, s13
	s_lshl_b64 s[4:5], s[20:21], 4
	s_add_u32 s15, s7, s4
	s_addc_u32 s14, s14, s5
	s_lshl_b32 s7, s6, 2
	s_add_i32 s1, s1, -1
	s_sub_i32 s7, s19, s7
	s_cmp_ge_u32 s6, s1
	s_cselect_b32 s1, s7, 4
	s_ashr_i32 s7, s6, 31
	s_lshl_b64 s[6:7], s[6:7], 6
	s_add_u32 s24, s15, s6
	s_addc_u32 s25, s14, s7
	s_cmp_gt_i32 s33, 0
	v_cmp_gt_i32_e32 vcc, s1, v0
	s_cselect_b64 s[14:15], -1, 0
	s_and_b64 s[14:15], vcc, s[14:15]
	s_and_saveexec_b64 s[18:19], s[14:15]
	s_cbranch_execz .LBB203_16
; %bb.10:
	s_ashr_i32 s1, s0, 31
	s_cmp_lt_u32 s33, 4
	s_cbranch_scc1 .LBB203_13
; %bb.11:
	v_lshlrev_b32_e32 v1, 4, v0
	v_mov_b32_e32 v3, s25
	v_add_co_u32_e32 v2, vcc, s24, v1
	v_mov_b32_e32 v1, 0x100
	s_lshl_b64 s[20:21], s[0:1], 6
	s_lshl_b64 s[22:23], s[0:1], 4
	v_addc_co_u32_e32 v3, vcc, 0, v3, vcc
	s_and_b32 s26, s33, 0x7ffffffc
	v_lshl_or_b32 v1, v0, 4, v1
	s_mov_b32 s27, 0
	v_mov_b32_e32 v4, s23
	v_mov_b32_e32 v5, s21
.LBB203_12:                             ; =>This Inner Loop Header: Depth=1
	v_add_co_u32_e32 v14, vcc, s22, v2
	v_addc_co_u32_e32 v15, vcc, v3, v4, vcc
	v_add_co_u32_e32 v18, vcc, s22, v14
	global_load_dwordx4 v[6:9], v[2:3], off
	global_load_dwordx4 v[10:13], v[14:15], off
	v_addc_co_u32_e32 v19, vcc, v15, v4, vcc
	global_load_dwordx4 v[14:17], v[18:19], off
	v_add_co_u32_e32 v18, vcc, s22, v18
	v_addc_co_u32_e32 v19, vcc, v19, v4, vcc
	global_load_dwordx4 v[18:21], v[18:19], off
	s_add_i32 s27, s27, 4
	v_add_co_u32_e32 v2, vcc, s20, v2
	s_cmp_lg_u32 s26, s27
	v_addc_co_u32_e32 v3, vcc, v3, v5, vcc
	s_waitcnt vmcnt(3)
	v_mul_f64 v[22:23], s[10:11], v[8:9]
	v_mul_f64 v[24:25], s[8:9], v[8:9]
	v_fma_f64 v[22:23], s[8:9], v[6:7], -v[22:23]
	v_fmac_f64_e32 v[24:25], s[10:11], v[6:7]
	s_waitcnt vmcnt(2)
	v_mul_f64 v[6:7], s[10:11], v[12:13]
	v_mul_f64 v[8:9], s[8:9], v[12:13]
	v_fma_f64 v[6:7], s[8:9], v[10:11], -v[6:7]
	v_fmac_f64_e32 v[8:9], s[10:11], v[10:11]
	s_waitcnt vmcnt(1)
	v_mul_f64 v[12:13], s[10:11], v[16:17]
	v_mul_f64 v[10:11], s[8:9], v[16:17]
	ds_write_b128 v1, v[6:9] offset:64
	v_fma_f64 v[8:9], s[8:9], v[14:15], -v[12:13]
	v_fmac_f64_e32 v[10:11], s[10:11], v[14:15]
	s_waitcnt vmcnt(0)
	v_mul_f64 v[6:7], s[10:11], v[20:21]
	v_mul_f64 v[12:13], s[8:9], v[20:21]
	ds_write_b128 v1, v[8:11] offset:128
	v_fma_f64 v[10:11], s[8:9], v[18:19], -v[6:7]
	v_fmac_f64_e32 v[12:13], s[10:11], v[18:19]
	ds_write_b128 v1, v[22:25]
	ds_write_b128 v1, v[10:13] offset:192
	v_add_u32_e32 v1, 0x100, v1
	s_cbranch_scc1 .LBB203_12
.LBB203_13:
	s_and_b32 s22, s33, 3
	s_cmp_eq_u32 s22, 0
	s_cbranch_scc1 .LBB203_16
; %bb.14:
	s_mul_hi_i32 s21, s0, s26
	s_mul_i32 s20, s0, s26
	s_lshl_b64 s[20:21], s[20:21], 4
	s_add_u32 s20, s12, s20
	s_addc_u32 s21, s13, s21
	s_add_u32 s20, s20, s6
	s_addc_u32 s21, s21, s7
	;; [unrolled: 2-line block ×3, first 2 shown]
	s_add_u32 s20, s2, s20
	v_lshlrev_b32_e32 v2, 4, v0
	s_addc_u32 s21, s3, s21
	v_lshl_or_b32 v1, s26, 6, v2
	v_mov_b32_e32 v3, s21
	v_add_co_u32_e32 v2, vcc, s20, v2
	v_addc_co_u32_e32 v3, vcc, 0, v3, vcc
	v_add_co_u32_e32 v2, vcc, 8, v2
	s_lshl_b64 s[20:21], s[0:1], 4
	v_add_u32_e32 v1, 0x100, v1
	v_addc_co_u32_e32 v3, vcc, 0, v3, vcc
	v_mov_b32_e32 v4, s21
.LBB203_15:                             ; =>This Inner Loop Header: Depth=1
	global_load_dwordx4 v[6:9], v[2:3], off offset:-8
	s_add_i32 s22, s22, -1
	v_add_co_u32_e32 v2, vcc, s20, v2
	v_addc_co_u32_e32 v3, vcc, v3, v4, vcc
	s_cmp_lg_u32 s22, 0
	s_waitcnt vmcnt(0)
	v_mul_f64 v[12:13], s[10:11], v[8:9]
	v_mul_f64 v[10:11], s[8:9], v[8:9]
	v_fma_f64 v[8:9], s[8:9], v[6:7], -v[12:13]
	v_fmac_f64_e32 v[10:11], s[10:11], v[6:7]
	ds_write_b128 v1, v[8:11]
	v_add_u32_e32 v1, 64, v1
	s_cbranch_scc1 .LBB203_15
.LBB203_16:
	s_or_b64 exec, exec, s[18:19]
	s_cmpk_eq_i32 s17, 0x6f
	s_cselect_b64 s[8:9], -1, 0
	s_cmpk_eq_i32 s16, 0x79
	s_cselect_b64 s[18:19], -1, 0
	s_cmpk_lg_i32 s16, 0x79
	s_cselect_b64 s[10:11], -1, 0
	s_and_b64 s[18:19], s[18:19], s[8:9]
	s_andn2_b64 vcc, exec, s[18:19]
	s_mov_b64 s[18:19], -1
	s_waitcnt lgkmcnt(0)
	; wave barrier
	s_waitcnt lgkmcnt(0)
	s_cbranch_vccz .LBB203_114
; %bb.17:
	s_cmpk_lg_i32 s16, 0x7a
	s_cselect_b64 s[18:19], -1, 0
	s_xor_b64 s[8:9], s[8:9], -1
	s_or_b64 s[18:19], s[18:19], s[8:9]
	s_cmp_gt_i32 s33, 3
	s_mov_b64 s[16:17], -1
	s_cselect_b64 s[8:9], -1, 0
	s_and_b64 vcc, exec, s[18:19]
	s_cbranch_vccz .LBB203_85
; %bb.18:
	s_andn2_b64 vcc, exec, s[10:11]
	s_mov_b64 s[10:11], -1
	s_cbranch_vccnz .LBB203_52
; %bb.19:
	s_andn2_b64 vcc, exec, s[8:9]
	s_mov_b32 s1, 0
	s_cbranch_vccnz .LBB203_41
; %bb.20:
	v_mov_b32_e32 v2, 0
	v_lshlrev_b32_e32 v1, 4, v0
	ds_read_b128 v[22:25], v2
	ds_read_b128 v[18:21], v1 offset:256
	ds_read_b128 v[14:17], v1 offset:320
	ds_read_b128 v[10:13], v1 offset:384
	ds_read_b128 v[2:5], v1 offset:448
	s_waitcnt lgkmcnt(4)
	v_xor_b32_e32 v6, 0x80000000, v23
	v_cmp_gt_f64_e32 vcc, 0, v[22:23]
	v_cndmask_b32_e32 v7, v23, v6, vcc
	v_xor_b32_e32 v8, 0x80000000, v25
	v_cmp_gt_f64_e32 vcc, 0, v[24:25]
	v_mov_b32_e32 v6, v22
	v_cndmask_b32_e32 v9, v25, v8, vcc
	v_mov_b32_e32 v8, v24
	v_cmp_ngt_f64_e32 vcc, v[6:7], v[8:9]
	s_mov_b64 s[10:11], 0
	s_cbranch_vccz .LBB203_22
; %bb.21:
	v_div_scale_f64 v[6:7], s[16:17], v[24:25], v[24:25], v[22:23]
	v_rcp_f64_e32 v[8:9], v[6:7]
	v_div_scale_f64 v[26:27], vcc, v[22:23], v[24:25], v[22:23]
	v_fma_f64 v[28:29], -v[6:7], v[8:9], 1.0
	v_fmac_f64_e32 v[8:9], v[8:9], v[28:29]
	v_fma_f64 v[28:29], -v[6:7], v[8:9], 1.0
	v_fmac_f64_e32 v[8:9], v[8:9], v[28:29]
	v_mul_f64 v[28:29], v[26:27], v[8:9]
	v_fma_f64 v[6:7], -v[6:7], v[28:29], v[26:27]
	v_div_fmas_f64 v[6:7], v[6:7], v[8:9], v[28:29]
	v_div_fixup_f64 v[8:9], v[6:7], v[24:25], v[22:23]
	v_fma_f64 v[6:7], v[22:23], v[8:9], v[24:25]
	v_div_scale_f64 v[26:27], s[16:17], v[6:7], v[6:7], 1.0
	v_rcp_f64_e32 v[28:29], v[26:27]
	v_fma_f64 v[30:31], -v[26:27], v[28:29], 1.0
	v_fmac_f64_e32 v[28:29], v[28:29], v[30:31]
	v_fma_f64 v[30:31], -v[26:27], v[28:29], 1.0
	v_fmac_f64_e32 v[28:29], v[28:29], v[30:31]
	v_div_scale_f64 v[30:31], vcc, 1.0, v[6:7], 1.0
	v_mul_f64 v[32:33], v[30:31], v[28:29]
	v_fma_f64 v[26:27], -v[26:27], v[32:33], v[30:31]
	s_nop 1
	v_div_fmas_f64 v[26:27], v[26:27], v[28:29], v[32:33]
	v_div_fixup_f64 v[26:27], v[26:27], v[6:7], 1.0
	s_waitcnt lgkmcnt(3)
	v_fma_f64 v[6:7], v[18:19], v[8:9], v[20:21]
	v_fma_f64 v[8:9], v[20:21], v[8:9], -v[18:19]
	v_mul_f64 v[6:7], v[6:7], v[26:27]
	v_mul_f64 v[8:9], v[8:9], v[26:27]
	s_branch .LBB203_23
.LBB203_22:
	s_mov_b64 s[10:11], -1
                                        ; implicit-def: $vgpr8_vgpr9
.LBB203_23:
	s_andn2_b64 vcc, exec, s[10:11]
	v_or_b32_e32 v1, 0x100, v1
	s_cbranch_vccnz .LBB203_25
; %bb.24:
	v_div_scale_f64 v[6:7], s[10:11], v[22:23], v[22:23], v[24:25]
	v_rcp_f64_e32 v[8:9], v[6:7]
	v_div_scale_f64 v[26:27], vcc, v[24:25], v[22:23], v[24:25]
	v_fma_f64 v[28:29], -v[6:7], v[8:9], 1.0
	v_fmac_f64_e32 v[8:9], v[8:9], v[28:29]
	v_fma_f64 v[28:29], -v[6:7], v[8:9], 1.0
	v_fmac_f64_e32 v[8:9], v[8:9], v[28:29]
	v_mul_f64 v[28:29], v[26:27], v[8:9]
	v_fma_f64 v[6:7], -v[6:7], v[28:29], v[26:27]
	v_div_fmas_f64 v[6:7], v[6:7], v[8:9], v[28:29]
	v_div_fixup_f64 v[8:9], v[6:7], v[22:23], v[24:25]
	v_fmac_f64_e32 v[22:23], v[24:25], v[8:9]
	v_div_scale_f64 v[6:7], s[10:11], v[22:23], v[22:23], 1.0
	v_rcp_f64_e32 v[24:25], v[6:7]
	v_fma_f64 v[26:27], -v[6:7], v[24:25], 1.0
	v_fmac_f64_e32 v[24:25], v[24:25], v[26:27]
	v_fma_f64 v[26:27], -v[6:7], v[24:25], 1.0
	v_fmac_f64_e32 v[24:25], v[24:25], v[26:27]
	v_div_scale_f64 v[26:27], vcc, 1.0, v[22:23], 1.0
	v_mul_f64 v[28:29], v[26:27], v[24:25]
	v_fma_f64 v[6:7], -v[6:7], v[28:29], v[26:27]
	s_nop 1
	v_div_fmas_f64 v[6:7], v[6:7], v[24:25], v[28:29]
	v_div_fixup_f64 v[22:23], v[6:7], v[22:23], 1.0
	s_waitcnt lgkmcnt(3)
	v_fma_f64 v[6:7], v[20:21], v[8:9], v[18:19]
	v_fma_f64 v[8:9], -v[18:19], v[8:9], v[20:21]
	v_mul_f64 v[6:7], v[6:7], v[22:23]
	v_mul_f64 v[8:9], v[8:9], v[22:23]
.LBB203_25:
	s_waitcnt lgkmcnt(3)
	v_mov_b32_e32 v18, 0
	ds_read_b128 v[22:25], v18 offset:16
	ds_read_b128 v[18:21], v18 offset:80
	s_mov_b64 s[10:11], 0
	ds_write_b128 v1, v[6:9]
	s_waitcnt lgkmcnt(2)
	v_mul_f64 v[26:27], v[8:9], v[24:25]
	v_mul_f64 v[24:25], v[6:7], v[24:25]
	v_fma_f64 v[26:27], v[6:7], v[22:23], -v[26:27]
	v_fmac_f64_e32 v[24:25], v[8:9], v[22:23]
	v_add_f64 v[22:23], v[14:15], -v[26:27]
	s_waitcnt lgkmcnt(1)
	v_xor_b32_e32 v14, 0x80000000, v19
	v_cmp_gt_f64_e32 vcc, 0, v[18:19]
	v_add_f64 v[24:25], v[16:17], -v[24:25]
	v_cndmask_b32_e32 v15, v19, v14, vcc
	v_xor_b32_e32 v16, 0x80000000, v21
	v_cmp_gt_f64_e32 vcc, 0, v[20:21]
	v_mov_b32_e32 v14, v18
	v_cndmask_b32_e32 v17, v21, v16, vcc
	v_mov_b32_e32 v16, v20
	v_cmp_ngt_f64_e32 vcc, v[14:15], v[16:17]
	s_cbranch_vccz .LBB203_27
; %bb.26:
	v_div_scale_f64 v[14:15], s[16:17], v[20:21], v[20:21], v[18:19]
	v_rcp_f64_e32 v[16:17], v[14:15]
	v_div_scale_f64 v[26:27], vcc, v[18:19], v[20:21], v[18:19]
	v_fma_f64 v[28:29], -v[14:15], v[16:17], 1.0
	v_fmac_f64_e32 v[16:17], v[16:17], v[28:29]
	v_fma_f64 v[28:29], -v[14:15], v[16:17], 1.0
	v_fmac_f64_e32 v[16:17], v[16:17], v[28:29]
	v_mul_f64 v[28:29], v[26:27], v[16:17]
	v_fma_f64 v[14:15], -v[14:15], v[28:29], v[26:27]
	v_div_fmas_f64 v[14:15], v[14:15], v[16:17], v[28:29]
	v_div_fixup_f64 v[16:17], v[14:15], v[20:21], v[18:19]
	v_fma_f64 v[14:15], v[18:19], v[16:17], v[20:21]
	v_div_scale_f64 v[26:27], s[16:17], v[14:15], v[14:15], 1.0
	v_rcp_f64_e32 v[28:29], v[26:27]
	v_fma_f64 v[30:31], -v[26:27], v[28:29], 1.0
	v_fmac_f64_e32 v[28:29], v[28:29], v[30:31]
	v_fma_f64 v[30:31], -v[26:27], v[28:29], 1.0
	v_fmac_f64_e32 v[28:29], v[28:29], v[30:31]
	v_div_scale_f64 v[30:31], vcc, 1.0, v[14:15], 1.0
	v_mul_f64 v[32:33], v[30:31], v[28:29]
	v_fma_f64 v[26:27], -v[26:27], v[32:33], v[30:31]
	s_nop 1
	v_div_fmas_f64 v[26:27], v[26:27], v[28:29], v[32:33]
	v_div_fixup_f64 v[26:27], v[26:27], v[14:15], 1.0
	v_fma_f64 v[14:15], v[16:17], v[22:23], v[24:25]
	v_fma_f64 v[16:17], v[16:17], v[24:25], -v[22:23]
	v_mul_f64 v[14:15], v[14:15], v[26:27]
	v_mul_f64 v[16:17], v[16:17], v[26:27]
	s_branch .LBB203_28
.LBB203_27:
	s_mov_b64 s[10:11], -1
                                        ; implicit-def: $vgpr16_vgpr17
.LBB203_28:
	s_andn2_b64 vcc, exec, s[10:11]
	s_cbranch_vccnz .LBB203_30
; %bb.29:
	v_div_scale_f64 v[14:15], s[10:11], v[18:19], v[18:19], v[20:21]
	v_rcp_f64_e32 v[16:17], v[14:15]
	v_div_scale_f64 v[26:27], vcc, v[20:21], v[18:19], v[20:21]
	v_fma_f64 v[28:29], -v[14:15], v[16:17], 1.0
	v_fmac_f64_e32 v[16:17], v[16:17], v[28:29]
	v_fma_f64 v[28:29], -v[14:15], v[16:17], 1.0
	v_fmac_f64_e32 v[16:17], v[16:17], v[28:29]
	v_mul_f64 v[28:29], v[26:27], v[16:17]
	v_fma_f64 v[14:15], -v[14:15], v[28:29], v[26:27]
	v_div_fmas_f64 v[14:15], v[14:15], v[16:17], v[28:29]
	v_div_fixup_f64 v[16:17], v[14:15], v[18:19], v[20:21]
	v_fmac_f64_e32 v[18:19], v[20:21], v[16:17]
	v_div_scale_f64 v[14:15], s[10:11], v[18:19], v[18:19], 1.0
	v_rcp_f64_e32 v[20:21], v[14:15]
	v_fma_f64 v[26:27], -v[14:15], v[20:21], 1.0
	v_fmac_f64_e32 v[20:21], v[20:21], v[26:27]
	v_fma_f64 v[26:27], -v[14:15], v[20:21], 1.0
	v_fmac_f64_e32 v[20:21], v[20:21], v[26:27]
	v_div_scale_f64 v[26:27], vcc, 1.0, v[18:19], 1.0
	v_mul_f64 v[28:29], v[26:27], v[20:21]
	v_fma_f64 v[14:15], -v[14:15], v[28:29], v[26:27]
	s_nop 1
	v_div_fmas_f64 v[14:15], v[14:15], v[20:21], v[28:29]
	v_div_fixup_f64 v[18:19], v[14:15], v[18:19], 1.0
	v_fma_f64 v[14:15], v[16:17], v[24:25], v[22:23]
	v_fma_f64 v[16:17], -v[16:17], v[22:23], v[24:25]
	v_mul_f64 v[14:15], v[14:15], v[18:19]
	v_mul_f64 v[16:17], v[16:17], v[18:19]
.LBB203_30:
	v_mov_b32_e32 v28, 0
	ds_read_b128 v[18:21], v28 offset:32
	ds_read_b128 v[22:25], v28 offset:96
	s_mov_b64 s[10:11], 0
	ds_write_b128 v1, v[14:17] offset:64
	s_waitcnt lgkmcnt(2)
	v_mul_f64 v[26:27], v[8:9], v[20:21]
	v_mul_f64 v[20:21], v[6:7], v[20:21]
	v_fma_f64 v[26:27], v[6:7], v[18:19], -v[26:27]
	v_fmac_f64_e32 v[20:21], v[8:9], v[18:19]
	v_add_f64 v[18:19], v[10:11], -v[26:27]
	s_waitcnt lgkmcnt(1)
	v_mul_f64 v[10:11], v[16:17], v[24:25]
	v_add_f64 v[20:21], v[12:13], -v[20:21]
	v_fma_f64 v[26:27], v[14:15], v[22:23], -v[10:11]
	ds_read_b128 v[10:13], v28 offset:160
	v_mul_f64 v[24:25], v[14:15], v[24:25]
	v_fmac_f64_e32 v[24:25], v[16:17], v[22:23]
	v_add_f64 v[22:23], v[18:19], -v[26:27]
	v_add_f64 v[24:25], v[20:21], -v[24:25]
	s_waitcnt lgkmcnt(0)
	v_xor_b32_e32 v18, 0x80000000, v11
	v_cmp_gt_f64_e32 vcc, 0, v[10:11]
	v_cndmask_b32_e32 v19, v11, v18, vcc
	v_xor_b32_e32 v20, 0x80000000, v13
	v_cmp_gt_f64_e32 vcc, 0, v[12:13]
	v_mov_b32_e32 v18, v10
	v_cndmask_b32_e32 v21, v13, v20, vcc
	v_mov_b32_e32 v20, v12
	v_cmp_ngt_f64_e32 vcc, v[18:19], v[20:21]
	s_cbranch_vccz .LBB203_32
; %bb.31:
	v_div_scale_f64 v[18:19], s[16:17], v[12:13], v[12:13], v[10:11]
	v_rcp_f64_e32 v[20:21], v[18:19]
	v_div_scale_f64 v[26:27], vcc, v[10:11], v[12:13], v[10:11]
	v_fma_f64 v[28:29], -v[18:19], v[20:21], 1.0
	v_fmac_f64_e32 v[20:21], v[20:21], v[28:29]
	v_fma_f64 v[28:29], -v[18:19], v[20:21], 1.0
	v_fmac_f64_e32 v[20:21], v[20:21], v[28:29]
	v_mul_f64 v[28:29], v[26:27], v[20:21]
	v_fma_f64 v[18:19], -v[18:19], v[28:29], v[26:27]
	v_div_fmas_f64 v[18:19], v[18:19], v[20:21], v[28:29]
	v_div_fixup_f64 v[20:21], v[18:19], v[12:13], v[10:11]
	v_fma_f64 v[18:19], v[10:11], v[20:21], v[12:13]
	v_div_scale_f64 v[26:27], s[16:17], v[18:19], v[18:19], 1.0
	v_rcp_f64_e32 v[28:29], v[26:27]
	v_fma_f64 v[30:31], -v[26:27], v[28:29], 1.0
	v_fmac_f64_e32 v[28:29], v[28:29], v[30:31]
	v_fma_f64 v[30:31], -v[26:27], v[28:29], 1.0
	v_fmac_f64_e32 v[28:29], v[28:29], v[30:31]
	v_div_scale_f64 v[30:31], vcc, 1.0, v[18:19], 1.0
	v_mul_f64 v[32:33], v[30:31], v[28:29]
	v_fma_f64 v[26:27], -v[26:27], v[32:33], v[30:31]
	s_nop 1
	v_div_fmas_f64 v[26:27], v[26:27], v[28:29], v[32:33]
	v_div_fixup_f64 v[26:27], v[26:27], v[18:19], 1.0
	v_fma_f64 v[18:19], v[20:21], v[22:23], v[24:25]
	v_fma_f64 v[20:21], v[20:21], v[24:25], -v[22:23]
	v_mul_f64 v[18:19], v[18:19], v[26:27]
	v_mul_f64 v[20:21], v[20:21], v[26:27]
	s_branch .LBB203_33
.LBB203_32:
	s_mov_b64 s[10:11], -1
                                        ; implicit-def: $vgpr20_vgpr21
.LBB203_33:
	s_andn2_b64 vcc, exec, s[10:11]
	s_cbranch_vccnz .LBB203_35
; %bb.34:
	v_div_scale_f64 v[18:19], s[10:11], v[10:11], v[10:11], v[12:13]
	v_rcp_f64_e32 v[20:21], v[18:19]
	v_div_scale_f64 v[26:27], vcc, v[12:13], v[10:11], v[12:13]
	v_fma_f64 v[28:29], -v[18:19], v[20:21], 1.0
	v_fmac_f64_e32 v[20:21], v[20:21], v[28:29]
	v_fma_f64 v[28:29], -v[18:19], v[20:21], 1.0
	v_fmac_f64_e32 v[20:21], v[20:21], v[28:29]
	v_mul_f64 v[28:29], v[26:27], v[20:21]
	v_fma_f64 v[18:19], -v[18:19], v[28:29], v[26:27]
	v_div_fmas_f64 v[18:19], v[18:19], v[20:21], v[28:29]
	v_div_fixup_f64 v[20:21], v[18:19], v[10:11], v[12:13]
	v_fmac_f64_e32 v[10:11], v[12:13], v[20:21]
	v_div_scale_f64 v[12:13], s[10:11], v[10:11], v[10:11], 1.0
	v_rcp_f64_e32 v[18:19], v[12:13]
	v_fma_f64 v[26:27], -v[12:13], v[18:19], 1.0
	v_fmac_f64_e32 v[18:19], v[18:19], v[26:27]
	v_fma_f64 v[26:27], -v[12:13], v[18:19], 1.0
	v_fmac_f64_e32 v[18:19], v[18:19], v[26:27]
	v_div_scale_f64 v[26:27], vcc, 1.0, v[10:11], 1.0
	v_mul_f64 v[28:29], v[26:27], v[18:19]
	v_fma_f64 v[12:13], -v[12:13], v[28:29], v[26:27]
	s_nop 1
	v_div_fmas_f64 v[12:13], v[12:13], v[18:19], v[28:29]
	v_div_fixup_f64 v[10:11], v[12:13], v[10:11], 1.0
	v_fma_f64 v[12:13], v[20:21], v[24:25], v[22:23]
	v_mul_f64 v[18:19], v[12:13], v[10:11]
	v_fma_f64 v[12:13], -v[20:21], v[22:23], v[24:25]
	v_mul_f64 v[20:21], v[12:13], v[10:11]
.LBB203_35:
	v_mov_b32_e32 v28, 0
	ds_read_b128 v[10:13], v28 offset:48
	ds_read_b128 v[22:25], v28 offset:112
	s_mov_b64 s[10:11], 0
	ds_write_b128 v1, v[18:21] offset:128
	s_waitcnt lgkmcnt(2)
	v_mul_f64 v[26:27], v[8:9], v[12:13]
	v_mul_f64 v[12:13], v[6:7], v[12:13]
	v_fma_f64 v[6:7], v[6:7], v[10:11], -v[26:27]
	v_fmac_f64_e32 v[12:13], v[8:9], v[10:11]
	v_add_f64 v[2:3], v[2:3], -v[6:7]
	v_add_f64 v[4:5], v[4:5], -v[12:13]
	s_waitcnt lgkmcnt(1)
	v_mul_f64 v[6:7], v[16:17], v[24:25]
	v_mul_f64 v[12:13], v[14:15], v[24:25]
	v_fma_f64 v[10:11], v[14:15], v[22:23], -v[6:7]
	ds_read_b128 v[6:9], v28 offset:176
	v_fmac_f64_e32 v[12:13], v[16:17], v[22:23]
	v_add_f64 v[10:11], v[2:3], -v[10:11]
	v_add_f64 v[12:13], v[4:5], -v[12:13]
	ds_read_b128 v[2:5], v28 offset:240
	s_waitcnt lgkmcnt(1)
	v_mul_f64 v[14:15], v[20:21], v[8:9]
	v_mul_f64 v[8:9], v[18:19], v[8:9]
	v_fma_f64 v[14:15], v[18:19], v[6:7], -v[14:15]
	v_fmac_f64_e32 v[8:9], v[20:21], v[6:7]
	s_waitcnt lgkmcnt(0)
	v_xor_b32_e32 v6, 0x80000000, v3
	v_cmp_gt_f64_e32 vcc, 0, v[2:3]
	v_add_f64 v[12:13], v[12:13], -v[8:9]
	v_cndmask_b32_e32 v7, v3, v6, vcc
	v_xor_b32_e32 v8, 0x80000000, v5
	v_cmp_gt_f64_e32 vcc, 0, v[4:5]
	v_mov_b32_e32 v6, v2
	v_cndmask_b32_e32 v9, v5, v8, vcc
	v_mov_b32_e32 v8, v4
	v_cmp_ngt_f64_e32 vcc, v[6:7], v[8:9]
	v_add_f64 v[10:11], v[10:11], -v[14:15]
	s_cbranch_vccz .LBB203_37
; %bb.36:
	v_div_scale_f64 v[6:7], s[16:17], v[4:5], v[4:5], v[2:3]
	v_rcp_f64_e32 v[8:9], v[6:7]
	v_div_scale_f64 v[14:15], vcc, v[2:3], v[4:5], v[2:3]
	v_fma_f64 v[16:17], -v[6:7], v[8:9], 1.0
	v_fmac_f64_e32 v[8:9], v[8:9], v[16:17]
	v_fma_f64 v[16:17], -v[6:7], v[8:9], 1.0
	v_fmac_f64_e32 v[8:9], v[8:9], v[16:17]
	v_mul_f64 v[16:17], v[14:15], v[8:9]
	v_fma_f64 v[6:7], -v[6:7], v[16:17], v[14:15]
	v_div_fmas_f64 v[6:7], v[6:7], v[8:9], v[16:17]
	v_div_fixup_f64 v[8:9], v[6:7], v[4:5], v[2:3]
	v_fma_f64 v[6:7], v[2:3], v[8:9], v[4:5]
	v_div_scale_f64 v[14:15], s[16:17], v[6:7], v[6:7], 1.0
	v_rcp_f64_e32 v[16:17], v[14:15]
	v_fma_f64 v[18:19], -v[14:15], v[16:17], 1.0
	v_fmac_f64_e32 v[16:17], v[16:17], v[18:19]
	v_fma_f64 v[18:19], -v[14:15], v[16:17], 1.0
	v_fmac_f64_e32 v[16:17], v[16:17], v[18:19]
	v_div_scale_f64 v[18:19], vcc, 1.0, v[6:7], 1.0
	v_mul_f64 v[20:21], v[18:19], v[16:17]
	v_fma_f64 v[14:15], -v[14:15], v[20:21], v[18:19]
	s_nop 1
	v_div_fmas_f64 v[14:15], v[14:15], v[16:17], v[20:21]
	v_div_fixup_f64 v[14:15], v[14:15], v[6:7], 1.0
	v_fma_f64 v[6:7], v[8:9], v[10:11], v[12:13]
	v_fma_f64 v[8:9], v[8:9], v[12:13], -v[10:11]
	v_mul_f64 v[6:7], v[6:7], v[14:15]
	v_mul_f64 v[8:9], v[8:9], v[14:15]
	s_branch .LBB203_38
.LBB203_37:
	s_mov_b64 s[10:11], -1
                                        ; implicit-def: $vgpr8_vgpr9
.LBB203_38:
	s_andn2_b64 vcc, exec, s[10:11]
	s_cbranch_vccnz .LBB203_40
; %bb.39:
	v_div_scale_f64 v[6:7], s[10:11], v[2:3], v[2:3], v[4:5]
	v_rcp_f64_e32 v[8:9], v[6:7]
	v_div_scale_f64 v[14:15], vcc, v[4:5], v[2:3], v[4:5]
	v_fma_f64 v[16:17], -v[6:7], v[8:9], 1.0
	v_fmac_f64_e32 v[8:9], v[8:9], v[16:17]
	v_fma_f64 v[16:17], -v[6:7], v[8:9], 1.0
	v_fmac_f64_e32 v[8:9], v[8:9], v[16:17]
	v_mul_f64 v[16:17], v[14:15], v[8:9]
	v_fma_f64 v[6:7], -v[6:7], v[16:17], v[14:15]
	v_div_fmas_f64 v[6:7], v[6:7], v[8:9], v[16:17]
	v_div_fixup_f64 v[8:9], v[6:7], v[2:3], v[4:5]
	v_fmac_f64_e32 v[2:3], v[4:5], v[8:9]
	v_div_scale_f64 v[4:5], s[10:11], v[2:3], v[2:3], 1.0
	v_rcp_f64_e32 v[6:7], v[4:5]
	v_fma_f64 v[14:15], -v[4:5], v[6:7], 1.0
	v_fmac_f64_e32 v[6:7], v[6:7], v[14:15]
	v_fma_f64 v[14:15], -v[4:5], v[6:7], 1.0
	v_fmac_f64_e32 v[6:7], v[6:7], v[14:15]
	v_div_scale_f64 v[14:15], vcc, 1.0, v[2:3], 1.0
	v_mul_f64 v[16:17], v[14:15], v[6:7]
	v_fma_f64 v[4:5], -v[4:5], v[16:17], v[14:15]
	s_nop 1
	v_div_fmas_f64 v[4:5], v[4:5], v[6:7], v[16:17]
	v_div_fixup_f64 v[2:3], v[4:5], v[2:3], 1.0
	v_fma_f64 v[4:5], v[8:9], v[12:13], v[10:11]
	v_mul_f64 v[6:7], v[4:5], v[2:3]
	v_fma_f64 v[4:5], -v[8:9], v[10:11], v[12:13]
	v_mul_f64 v[8:9], v[4:5], v[2:3]
.LBB203_40:
	s_mov_b32 s1, 4
	ds_write_b128 v1, v[6:9] offset:192
.LBB203_41:
	s_cmp_ge_i32 s1, s34
	s_cbranch_scc1 .LBB203_51
; %bb.42:
	v_mov_b32_e32 v1, 0x100
	v_lshl_or_b32 v1, v0, 4, v1
	s_lshl_b32 s16, s1, 4
	v_lshlrev_b32_e32 v14, 4, v0
	s_branch .LBB203_44
.LBB203_43:                             ;   in Loop: Header=BB203_44 Depth=1
	s_add_i32 s1, s1, 1
	s_add_i32 s16, s16, 16
	s_cmp_ge_i32 s1, s34
	ds_write_b128 v15, v[10:13]
	s_cbranch_scc1 .LBB203_51
.LBB203_44:                             ; =>This Loop Header: Depth=1
                                        ;     Child Loop BB203_46 Depth 2
	v_lshl_or_b32 v6, s1, 6, v14
	ds_read_b128 v[2:5], v6 offset:256
	s_cmp_eq_u32 s1, 0
	s_cbranch_scc1 .LBB203_47
; %bb.45:                               ;   in Loop: Header=BB203_44 Depth=1
	s_mov_b32 s10, 0
	s_mov_b32 s11, s16
	v_mov_b32_e32 v7, v1
.LBB203_46:                             ;   Parent Loop BB203_44 Depth=1
                                        ; =>  This Inner Loop Header: Depth=2
	v_mov_b32_e32 v12, s11
	ds_read_b128 v[8:11], v7
	ds_read_b128 v[16:19], v12
	s_add_i32 s10, s10, 1
	s_add_i32 s11, s11, 64
	v_add_u32_e32 v7, 64, v7
	s_cmp_ge_u32 s10, s1
	s_waitcnt lgkmcnt(0)
	v_mul_f64 v[12:13], v[18:19], v[10:11]
	v_mul_f64 v[10:11], v[16:17], v[10:11]
	v_fma_f64 v[12:13], v[16:17], v[8:9], -v[12:13]
	v_fmac_f64_e32 v[10:11], v[18:19], v[8:9]
	v_add_f64 v[2:3], v[2:3], -v[12:13]
	v_add_f64 v[4:5], v[4:5], -v[10:11]
	s_cbranch_scc0 .LBB203_46
.LBB203_47:                             ;   in Loop: Header=BB203_44 Depth=1
	s_mul_i32 s10, s1, 0x50
	v_add_u32_e32 v15, 0x100, v6
	v_mov_b32_e32 v6, s10
	ds_read_b128 v[6:9], v6
	s_waitcnt lgkmcnt(0)
	v_xor_b32_e32 v11, 0x80000000, v7
	v_cmp_gt_f64_e32 vcc, 0, v[6:7]
	v_xor_b32_e32 v12, 0x80000000, v9
	v_cndmask_b32_e32 v11, v7, v11, vcc
	v_cmp_gt_f64_e32 vcc, 0, v[8:9]
	v_mov_b32_e32 v10, v6
	v_cndmask_b32_e32 v13, v9, v12, vcc
	v_mov_b32_e32 v12, v8
	v_cmp_ngt_f64_e32 vcc, v[10:11], v[12:13]
	s_cbranch_vccz .LBB203_49
; %bb.48:                               ;   in Loop: Header=BB203_44 Depth=1
	v_div_scale_f64 v[10:11], s[10:11], v[8:9], v[8:9], v[6:7]
	v_rcp_f64_e32 v[12:13], v[10:11]
	v_div_scale_f64 v[16:17], vcc, v[6:7], v[8:9], v[6:7]
	v_fma_f64 v[18:19], -v[10:11], v[12:13], 1.0
	v_fmac_f64_e32 v[12:13], v[12:13], v[18:19]
	v_fma_f64 v[18:19], -v[10:11], v[12:13], 1.0
	v_fmac_f64_e32 v[12:13], v[12:13], v[18:19]
	v_mul_f64 v[18:19], v[16:17], v[12:13]
	v_fma_f64 v[10:11], -v[10:11], v[18:19], v[16:17]
	v_div_fmas_f64 v[10:11], v[10:11], v[12:13], v[18:19]
	v_div_fixup_f64 v[12:13], v[10:11], v[8:9], v[6:7]
	v_fma_f64 v[10:11], v[6:7], v[12:13], v[8:9]
	v_div_scale_f64 v[16:17], s[10:11], v[10:11], v[10:11], 1.0
	v_rcp_f64_e32 v[18:19], v[16:17]
	v_fma_f64 v[20:21], -v[16:17], v[18:19], 1.0
	v_fmac_f64_e32 v[18:19], v[18:19], v[20:21]
	v_fma_f64 v[20:21], -v[16:17], v[18:19], 1.0
	v_fmac_f64_e32 v[18:19], v[18:19], v[20:21]
	v_div_scale_f64 v[20:21], vcc, 1.0, v[10:11], 1.0
	v_mul_f64 v[22:23], v[20:21], v[18:19]
	v_fma_f64 v[16:17], -v[16:17], v[22:23], v[20:21]
	s_nop 1
	v_div_fmas_f64 v[16:17], v[16:17], v[18:19], v[22:23]
	v_div_fixup_f64 v[16:17], v[16:17], v[10:11], 1.0
	v_fma_f64 v[10:11], v[2:3], v[12:13], v[4:5]
	v_fma_f64 v[12:13], v[4:5], v[12:13], -v[2:3]
	v_mul_f64 v[10:11], v[10:11], v[16:17]
	v_mul_f64 v[12:13], v[12:13], v[16:17]
	s_cbranch_execnz .LBB203_43
	s_branch .LBB203_50
.LBB203_49:                             ;   in Loop: Header=BB203_44 Depth=1
                                        ; implicit-def: $vgpr10_vgpr11
.LBB203_50:                             ;   in Loop: Header=BB203_44 Depth=1
	v_div_scale_f64 v[10:11], s[10:11], v[6:7], v[6:7], v[8:9]
	v_rcp_f64_e32 v[12:13], v[10:11]
	v_div_scale_f64 v[16:17], vcc, v[8:9], v[6:7], v[8:9]
	v_fma_f64 v[18:19], -v[10:11], v[12:13], 1.0
	v_fmac_f64_e32 v[12:13], v[12:13], v[18:19]
	v_fma_f64 v[18:19], -v[10:11], v[12:13], 1.0
	v_fmac_f64_e32 v[12:13], v[12:13], v[18:19]
	v_mul_f64 v[18:19], v[16:17], v[12:13]
	v_fma_f64 v[10:11], -v[10:11], v[18:19], v[16:17]
	v_div_fmas_f64 v[10:11], v[10:11], v[12:13], v[18:19]
	v_div_fixup_f64 v[12:13], v[10:11], v[6:7], v[8:9]
	v_fmac_f64_e32 v[6:7], v[8:9], v[12:13]
	v_div_scale_f64 v[8:9], s[10:11], v[6:7], v[6:7], 1.0
	v_rcp_f64_e32 v[10:11], v[8:9]
	v_fma_f64 v[16:17], -v[8:9], v[10:11], 1.0
	v_fmac_f64_e32 v[10:11], v[10:11], v[16:17]
	v_fma_f64 v[16:17], -v[8:9], v[10:11], 1.0
	v_fmac_f64_e32 v[10:11], v[10:11], v[16:17]
	v_div_scale_f64 v[16:17], vcc, 1.0, v[6:7], 1.0
	v_mul_f64 v[18:19], v[16:17], v[10:11]
	v_fma_f64 v[8:9], -v[8:9], v[18:19], v[16:17]
	s_nop 1
	v_div_fmas_f64 v[8:9], v[8:9], v[10:11], v[18:19]
	v_div_fixup_f64 v[6:7], v[8:9], v[6:7], 1.0
	v_fma_f64 v[8:9], v[4:5], v[12:13], v[2:3]
	v_fma_f64 v[2:3], -v[2:3], v[12:13], v[4:5]
	v_mul_f64 v[10:11], v[8:9], v[6:7]
	v_mul_f64 v[12:13], v[2:3], v[6:7]
	s_branch .LBB203_43
.LBB203_51:
	s_mov_b64 s[10:11], 0
.LBB203_52:
	s_and_b64 vcc, exec, s[10:11]
	s_cbranch_vccz .LBB203_84
; %bb.53:
	s_and_b64 vcc, exec, s[8:9]
	s_mov_b32 s1, s35
	s_cbranch_vccz .LBB203_75
; %bb.54:
	s_lshl_b32 s18, s35, 2
	s_add_i32 s21, s34, -2
	v_or_b32_e32 v1, s18, v0
	s_lshl_b32 s17, s21, 2
	s_mul_i32 s20, s35, 0x50
	v_lshlrev_b32_e32 v28, 4, v1
	v_or_b32_e32 v1, s17, v0
	v_mov_b32_e32 v2, s20
	v_lshlrev_b32_e32 v27, 4, v1
	ds_read_b128 v[18:21], v28 offset:256
	ds_read_b128 v[14:17], v27 offset:256
	ds_read_b128 v[22:25], v2
	s_add_i32 s19, s34, -3
	s_lshl_b32 s1, s19, 2
	v_or_b32_e32 v1, s1, v0
	v_lshlrev_b32_e32 v26, 4, v1
	s_add_i32 s16, s34, -4
	v_lshlrev_b32_e32 v1, 4, v0
	v_lshl_or_b32 v1, s16, 6, v1
	ds_read_b128 v[10:13], v26 offset:256
	ds_read_b128 v[2:5], v1 offset:256
	s_waitcnt lgkmcnt(2)
	v_xor_b32_e32 v6, 0x80000000, v23
	v_cmp_gt_f64_e32 vcc, 0, v[22:23]
	v_cndmask_b32_e32 v7, v23, v6, vcc
	v_xor_b32_e32 v8, 0x80000000, v25
	v_cmp_gt_f64_e32 vcc, 0, v[24:25]
	v_mov_b32_e32 v6, v22
	v_cndmask_b32_e32 v9, v25, v8, vcc
	v_mov_b32_e32 v8, v24
	v_cmp_ngt_f64_e32 vcc, v[6:7], v[8:9]
	s_mov_b64 s[10:11], 0
	s_cbranch_vccz .LBB203_56
; %bb.55:
	v_div_scale_f64 v[6:7], s[22:23], v[24:25], v[24:25], v[22:23]
	v_rcp_f64_e32 v[8:9], v[6:7]
	v_div_scale_f64 v[30:31], vcc, v[22:23], v[24:25], v[22:23]
	v_fma_f64 v[32:33], -v[6:7], v[8:9], 1.0
	v_fmac_f64_e32 v[8:9], v[8:9], v[32:33]
	v_fma_f64 v[32:33], -v[6:7], v[8:9], 1.0
	v_fmac_f64_e32 v[8:9], v[8:9], v[32:33]
	v_mul_f64 v[32:33], v[30:31], v[8:9]
	v_fma_f64 v[6:7], -v[6:7], v[32:33], v[30:31]
	v_div_fmas_f64 v[6:7], v[6:7], v[8:9], v[32:33]
	v_div_fixup_f64 v[8:9], v[6:7], v[24:25], v[22:23]
	v_fma_f64 v[6:7], v[22:23], v[8:9], v[24:25]
	v_div_scale_f64 v[30:31], s[22:23], v[6:7], v[6:7], 1.0
	v_rcp_f64_e32 v[32:33], v[30:31]
	v_fma_f64 v[34:35], -v[30:31], v[32:33], 1.0
	v_fmac_f64_e32 v[32:33], v[32:33], v[34:35]
	v_fma_f64 v[34:35], -v[30:31], v[32:33], 1.0
	v_fmac_f64_e32 v[32:33], v[32:33], v[34:35]
	v_div_scale_f64 v[34:35], vcc, 1.0, v[6:7], 1.0
	v_mul_f64 v[36:37], v[34:35], v[32:33]
	v_fma_f64 v[30:31], -v[30:31], v[36:37], v[34:35]
	s_nop 1
	v_div_fmas_f64 v[30:31], v[30:31], v[32:33], v[36:37]
	v_div_fixup_f64 v[30:31], v[30:31], v[6:7], 1.0
	v_fma_f64 v[6:7], v[18:19], v[8:9], v[20:21]
	v_fma_f64 v[8:9], v[20:21], v[8:9], -v[18:19]
	v_mul_f64 v[6:7], v[6:7], v[30:31]
	v_mul_f64 v[8:9], v[8:9], v[30:31]
	s_branch .LBB203_57
.LBB203_56:
	s_mov_b64 s[10:11], -1
                                        ; implicit-def: $vgpr8_vgpr9
.LBB203_57:
	s_andn2_b64 vcc, exec, s[10:11]
	v_add_u32_e32 v28, 0x100, v28
	s_cbranch_vccnz .LBB203_59
; %bb.58:
	v_div_scale_f64 v[6:7], s[10:11], v[22:23], v[22:23], v[24:25]
	v_rcp_f64_e32 v[8:9], v[6:7]
	v_div_scale_f64 v[30:31], vcc, v[24:25], v[22:23], v[24:25]
	v_fma_f64 v[32:33], -v[6:7], v[8:9], 1.0
	v_fmac_f64_e32 v[8:9], v[8:9], v[32:33]
	v_fma_f64 v[32:33], -v[6:7], v[8:9], 1.0
	v_fmac_f64_e32 v[8:9], v[8:9], v[32:33]
	v_mul_f64 v[32:33], v[30:31], v[8:9]
	v_fma_f64 v[6:7], -v[6:7], v[32:33], v[30:31]
	v_div_fmas_f64 v[6:7], v[6:7], v[8:9], v[32:33]
	v_div_fixup_f64 v[8:9], v[6:7], v[22:23], v[24:25]
	v_fmac_f64_e32 v[22:23], v[24:25], v[8:9]
	v_div_scale_f64 v[6:7], s[10:11], v[22:23], v[22:23], 1.0
	v_rcp_f64_e32 v[24:25], v[6:7]
	v_fma_f64 v[30:31], -v[6:7], v[24:25], 1.0
	v_fmac_f64_e32 v[24:25], v[24:25], v[30:31]
	v_fma_f64 v[30:31], -v[6:7], v[24:25], 1.0
	v_fmac_f64_e32 v[24:25], v[24:25], v[30:31]
	v_div_scale_f64 v[30:31], vcc, 1.0, v[22:23], 1.0
	v_mul_f64 v[32:33], v[30:31], v[24:25]
	v_fma_f64 v[6:7], -v[6:7], v[32:33], v[30:31]
	s_nop 1
	v_div_fmas_f64 v[6:7], v[6:7], v[24:25], v[32:33]
	v_div_fixup_f64 v[22:23], v[6:7], v[22:23], 1.0
	v_fma_f64 v[6:7], v[20:21], v[8:9], v[18:19]
	v_fma_f64 v[8:9], -v[18:19], v[8:9], v[20:21]
	v_mul_f64 v[6:7], v[6:7], v[22:23]
	v_mul_f64 v[8:9], v[8:9], v[22:23]
.LBB203_59:
	s_add_i32 s10, s18, s21
	s_lshl_b32 s10, s10, 4
	v_mov_b32_e32 v18, s10
	ds_read_b128 v[22:25], v18
	s_addk_i32 s20, 0xffb0
	v_mov_b32_e32 v18, s20
	ds_read_b128 v[18:21], v18
	ds_write_b128 v28, v[6:9]
	s_waitcnt lgkmcnt(2)
	v_mul_f64 v[28:29], v[8:9], v[24:25]
	v_fma_f64 v[28:29], v[6:7], v[22:23], -v[28:29]
	v_mul_f64 v[24:25], v[6:7], v[24:25]
	v_fmac_f64_e32 v[24:25], v[8:9], v[22:23]
	v_add_f64 v[22:23], v[14:15], -v[28:29]
	s_waitcnt lgkmcnt(1)
	v_xor_b32_e32 v14, 0x80000000, v19
	v_cmp_gt_f64_e32 vcc, 0, v[18:19]
	v_add_f64 v[24:25], v[16:17], -v[24:25]
	v_cndmask_b32_e32 v15, v19, v14, vcc
	v_xor_b32_e32 v16, 0x80000000, v21
	v_cmp_gt_f64_e32 vcc, 0, v[20:21]
	v_mov_b32_e32 v14, v18
	v_cndmask_b32_e32 v17, v21, v16, vcc
	v_mov_b32_e32 v16, v20
	v_cmp_ngt_f64_e32 vcc, v[14:15], v[16:17]
	s_mov_b64 s[10:11], 0
	s_cbranch_vccz .LBB203_61
; %bb.60:
	v_div_scale_f64 v[14:15], s[22:23], v[20:21], v[20:21], v[18:19]
	v_rcp_f64_e32 v[16:17], v[14:15]
	v_div_scale_f64 v[28:29], vcc, v[18:19], v[20:21], v[18:19]
	v_fma_f64 v[30:31], -v[14:15], v[16:17], 1.0
	v_fmac_f64_e32 v[16:17], v[16:17], v[30:31]
	v_fma_f64 v[30:31], -v[14:15], v[16:17], 1.0
	v_fmac_f64_e32 v[16:17], v[16:17], v[30:31]
	v_mul_f64 v[30:31], v[28:29], v[16:17]
	v_fma_f64 v[14:15], -v[14:15], v[30:31], v[28:29]
	v_div_fmas_f64 v[14:15], v[14:15], v[16:17], v[30:31]
	v_div_fixup_f64 v[16:17], v[14:15], v[20:21], v[18:19]
	v_fma_f64 v[14:15], v[18:19], v[16:17], v[20:21]
	v_div_scale_f64 v[28:29], s[22:23], v[14:15], v[14:15], 1.0
	v_rcp_f64_e32 v[30:31], v[28:29]
	v_fma_f64 v[32:33], -v[28:29], v[30:31], 1.0
	v_fmac_f64_e32 v[30:31], v[30:31], v[32:33]
	v_fma_f64 v[32:33], -v[28:29], v[30:31], 1.0
	v_fmac_f64_e32 v[30:31], v[30:31], v[32:33]
	v_div_scale_f64 v[32:33], vcc, 1.0, v[14:15], 1.0
	v_mul_f64 v[34:35], v[32:33], v[30:31]
	v_fma_f64 v[28:29], -v[28:29], v[34:35], v[32:33]
	s_nop 1
	v_div_fmas_f64 v[28:29], v[28:29], v[30:31], v[34:35]
	v_div_fixup_f64 v[28:29], v[28:29], v[14:15], 1.0
	v_fma_f64 v[14:15], v[16:17], v[22:23], v[24:25]
	v_fma_f64 v[16:17], v[16:17], v[24:25], -v[22:23]
	v_mul_f64 v[14:15], v[14:15], v[28:29]
	v_mul_f64 v[16:17], v[16:17], v[28:29]
	s_branch .LBB203_62
.LBB203_61:
	s_mov_b64 s[10:11], -1
                                        ; implicit-def: $vgpr16_vgpr17
.LBB203_62:
	s_andn2_b64 vcc, exec, s[10:11]
	v_add_u32_e32 v27, 0x100, v27
	s_cbranch_vccnz .LBB203_64
; %bb.63:
	v_div_scale_f64 v[14:15], s[10:11], v[18:19], v[18:19], v[20:21]
	v_rcp_f64_e32 v[16:17], v[14:15]
	v_div_scale_f64 v[28:29], vcc, v[20:21], v[18:19], v[20:21]
	v_fma_f64 v[30:31], -v[14:15], v[16:17], 1.0
	v_fmac_f64_e32 v[16:17], v[16:17], v[30:31]
	v_fma_f64 v[30:31], -v[14:15], v[16:17], 1.0
	v_fmac_f64_e32 v[16:17], v[16:17], v[30:31]
	v_mul_f64 v[30:31], v[28:29], v[16:17]
	v_fma_f64 v[14:15], -v[14:15], v[30:31], v[28:29]
	v_div_fmas_f64 v[14:15], v[14:15], v[16:17], v[30:31]
	v_div_fixup_f64 v[16:17], v[14:15], v[18:19], v[20:21]
	v_fmac_f64_e32 v[18:19], v[20:21], v[16:17]
	v_div_scale_f64 v[14:15], s[10:11], v[18:19], v[18:19], 1.0
	v_rcp_f64_e32 v[20:21], v[14:15]
	v_fma_f64 v[28:29], -v[14:15], v[20:21], 1.0
	v_fmac_f64_e32 v[20:21], v[20:21], v[28:29]
	v_fma_f64 v[28:29], -v[14:15], v[20:21], 1.0
	v_fmac_f64_e32 v[20:21], v[20:21], v[28:29]
	v_div_scale_f64 v[28:29], vcc, 1.0, v[18:19], 1.0
	v_mul_f64 v[30:31], v[28:29], v[20:21]
	v_fma_f64 v[14:15], -v[14:15], v[30:31], v[28:29]
	s_nop 1
	v_div_fmas_f64 v[14:15], v[14:15], v[20:21], v[30:31]
	v_div_fixup_f64 v[18:19], v[14:15], v[18:19], 1.0
	v_fma_f64 v[14:15], v[16:17], v[24:25], v[22:23]
	v_fma_f64 v[16:17], -v[16:17], v[22:23], v[24:25]
	v_mul_f64 v[14:15], v[14:15], v[18:19]
	v_mul_f64 v[16:17], v[16:17], v[18:19]
.LBB203_64:
	s_add_i32 s10, s18, s19
	s_lshl_b32 s10, s10, 4
	v_mov_b32_e32 v18, s10
	s_add_i32 s10, s17, s19
	ds_read_b128 v[18:21], v18
	s_lshl_b32 s10, s10, 4
	v_mov_b32_e32 v22, s10
	ds_read_b128 v[22:25], v22
	s_add_i32 s19, s20, 0xffffffb0
	s_waitcnt lgkmcnt(1)
	v_mul_f64 v[28:29], v[8:9], v[20:21]
	v_fma_f64 v[28:29], v[6:7], v[18:19], -v[28:29]
	v_mul_f64 v[20:21], v[6:7], v[20:21]
	v_fmac_f64_e32 v[20:21], v[8:9], v[18:19]
	v_add_f64 v[18:19], v[10:11], -v[28:29]
	s_waitcnt lgkmcnt(0)
	v_mul_f64 v[10:11], v[16:17], v[24:25]
	v_fma_f64 v[28:29], v[14:15], v[22:23], -v[10:11]
	v_mov_b32_e32 v10, s19
	v_add_f64 v[20:21], v[12:13], -v[20:21]
	ds_read_b128 v[10:13], v10
	v_mul_f64 v[24:25], v[14:15], v[24:25]
	v_fmac_f64_e32 v[24:25], v[16:17], v[22:23]
	v_add_f64 v[22:23], v[18:19], -v[28:29]
	v_add_f64 v[24:25], v[20:21], -v[24:25]
	s_waitcnt lgkmcnt(0)
	v_xor_b32_e32 v18, 0x80000000, v11
	v_cmp_gt_f64_e32 vcc, 0, v[10:11]
	v_cndmask_b32_e32 v19, v11, v18, vcc
	v_xor_b32_e32 v20, 0x80000000, v13
	v_cmp_gt_f64_e32 vcc, 0, v[12:13]
	v_mov_b32_e32 v18, v10
	v_cndmask_b32_e32 v21, v13, v20, vcc
	v_mov_b32_e32 v20, v12
	v_cmp_ngt_f64_e32 vcc, v[18:19], v[20:21]
	s_mov_b64 s[10:11], 0
	ds_write_b128 v27, v[14:17]
	s_cbranch_vccz .LBB203_66
; %bb.65:
	v_div_scale_f64 v[18:19], s[20:21], v[12:13], v[12:13], v[10:11]
	v_rcp_f64_e32 v[20:21], v[18:19]
	v_div_scale_f64 v[28:29], vcc, v[10:11], v[12:13], v[10:11]
	v_fma_f64 v[30:31], -v[18:19], v[20:21], 1.0
	v_fmac_f64_e32 v[20:21], v[20:21], v[30:31]
	v_fma_f64 v[30:31], -v[18:19], v[20:21], 1.0
	v_fmac_f64_e32 v[20:21], v[20:21], v[30:31]
	v_mul_f64 v[30:31], v[28:29], v[20:21]
	v_fma_f64 v[18:19], -v[18:19], v[30:31], v[28:29]
	v_div_fmas_f64 v[18:19], v[18:19], v[20:21], v[30:31]
	v_div_fixup_f64 v[20:21], v[18:19], v[12:13], v[10:11]
	v_fma_f64 v[18:19], v[10:11], v[20:21], v[12:13]
	v_div_scale_f64 v[28:29], s[20:21], v[18:19], v[18:19], 1.0
	v_rcp_f64_e32 v[30:31], v[28:29]
	v_fma_f64 v[32:33], -v[28:29], v[30:31], 1.0
	v_fmac_f64_e32 v[30:31], v[30:31], v[32:33]
	v_fma_f64 v[32:33], -v[28:29], v[30:31], 1.0
	v_fmac_f64_e32 v[30:31], v[30:31], v[32:33]
	v_div_scale_f64 v[32:33], vcc, 1.0, v[18:19], 1.0
	v_mul_f64 v[34:35], v[32:33], v[30:31]
	v_fma_f64 v[28:29], -v[28:29], v[34:35], v[32:33]
	s_nop 1
	v_div_fmas_f64 v[28:29], v[28:29], v[30:31], v[34:35]
	v_div_fixup_f64 v[28:29], v[28:29], v[18:19], 1.0
	v_fma_f64 v[18:19], v[20:21], v[22:23], v[24:25]
	v_fma_f64 v[20:21], v[20:21], v[24:25], -v[22:23]
	v_mul_f64 v[18:19], v[18:19], v[28:29]
	v_mul_f64 v[20:21], v[20:21], v[28:29]
	s_branch .LBB203_67
.LBB203_66:
	s_mov_b64 s[10:11], -1
                                        ; implicit-def: $vgpr20_vgpr21
.LBB203_67:
	s_andn2_b64 vcc, exec, s[10:11]
	v_add_u32_e32 v26, 0x100, v26
	s_cbranch_vccnz .LBB203_69
; %bb.68:
	v_div_scale_f64 v[18:19], s[10:11], v[10:11], v[10:11], v[12:13]
	v_rcp_f64_e32 v[20:21], v[18:19]
	v_div_scale_f64 v[28:29], vcc, v[12:13], v[10:11], v[12:13]
	v_fma_f64 v[30:31], -v[18:19], v[20:21], 1.0
	v_fmac_f64_e32 v[20:21], v[20:21], v[30:31]
	v_fma_f64 v[30:31], -v[18:19], v[20:21], 1.0
	v_fmac_f64_e32 v[20:21], v[20:21], v[30:31]
	v_mul_f64 v[30:31], v[28:29], v[20:21]
	v_fma_f64 v[18:19], -v[18:19], v[30:31], v[28:29]
	v_div_fmas_f64 v[18:19], v[18:19], v[20:21], v[30:31]
	v_div_fixup_f64 v[20:21], v[18:19], v[10:11], v[12:13]
	v_fmac_f64_e32 v[10:11], v[12:13], v[20:21]
	v_div_scale_f64 v[12:13], s[10:11], v[10:11], v[10:11], 1.0
	v_rcp_f64_e32 v[18:19], v[12:13]
	v_fma_f64 v[28:29], -v[12:13], v[18:19], 1.0
	v_fmac_f64_e32 v[18:19], v[18:19], v[28:29]
	v_fma_f64 v[28:29], -v[12:13], v[18:19], 1.0
	v_fmac_f64_e32 v[18:19], v[18:19], v[28:29]
	v_div_scale_f64 v[28:29], vcc, 1.0, v[10:11], 1.0
	v_mul_f64 v[30:31], v[28:29], v[18:19]
	v_fma_f64 v[12:13], -v[12:13], v[30:31], v[28:29]
	s_nop 1
	v_div_fmas_f64 v[12:13], v[12:13], v[18:19], v[30:31]
	v_div_fixup_f64 v[10:11], v[12:13], v[10:11], 1.0
	v_fma_f64 v[12:13], v[20:21], v[24:25], v[22:23]
	v_mul_f64 v[18:19], v[12:13], v[10:11]
	v_fma_f64 v[12:13], -v[20:21], v[22:23], v[24:25]
	v_mul_f64 v[20:21], v[12:13], v[10:11]
.LBB203_69:
	s_add_i32 s18, s18, s16
	s_lshl_b32 s10, s18, 4
	v_mov_b32_e32 v10, s10
	ds_read_b128 v[10:13], v10
	s_add_i32 s17, s17, s16
	s_lshl_b32 s10, s17, 4
	v_mov_b32_e32 v22, s10
	ds_read_b128 v[22:25], v22
	ds_write_b128 v26, v[18:21]
	s_waitcnt lgkmcnt(2)
	v_mul_f64 v[26:27], v[8:9], v[12:13]
	v_fma_f64 v[26:27], v[6:7], v[10:11], -v[26:27]
	v_mul_f64 v[6:7], v[6:7], v[12:13]
	v_fmac_f64_e32 v[6:7], v[8:9], v[10:11]
	v_add_f64 v[4:5], v[4:5], -v[6:7]
	s_waitcnt lgkmcnt(1)
	v_mul_f64 v[6:7], v[16:17], v[24:25]
	s_add_i32 s1, s1, s16
	v_add_f64 v[2:3], v[2:3], -v[26:27]
	v_fma_f64 v[6:7], v[14:15], v[22:23], -v[6:7]
	s_lshl_b32 s1, s1, 4
	v_mul_f64 v[10:11], v[14:15], v[24:25]
	v_add_f64 v[12:13], v[2:3], -v[6:7]
	v_mov_b32_e32 v2, s1
	s_add_i32 s1, s19, 0xffffffb0
	v_fmac_f64_e32 v[10:11], v[16:17], v[22:23]
	ds_read_b128 v[6:9], v2
	v_mov_b32_e32 v2, s1
	v_add_f64 v[14:15], v[4:5], -v[10:11]
	ds_read_b128 v[2:5], v2
	s_mov_b64 s[10:11], 0
	s_waitcnt lgkmcnt(1)
	v_mul_f64 v[10:11], v[20:21], v[8:9]
	v_mul_f64 v[8:9], v[18:19], v[8:9]
	v_fma_f64 v[10:11], v[18:19], v[6:7], -v[10:11]
	v_fmac_f64_e32 v[8:9], v[20:21], v[6:7]
	s_waitcnt lgkmcnt(0)
	v_xor_b32_e32 v6, 0x80000000, v3
	v_cmp_gt_f64_e32 vcc, 0, v[2:3]
	v_add_f64 v[10:11], v[12:13], -v[10:11]
	v_add_f64 v[12:13], v[14:15], -v[8:9]
	v_cndmask_b32_e32 v7, v3, v6, vcc
	v_xor_b32_e32 v8, 0x80000000, v5
	v_cmp_gt_f64_e32 vcc, 0, v[4:5]
	v_mov_b32_e32 v6, v2
	v_cndmask_b32_e32 v9, v5, v8, vcc
	v_mov_b32_e32 v8, v4
	v_cmp_ngt_f64_e32 vcc, v[6:7], v[8:9]
	s_cbranch_vccz .LBB203_71
; %bb.70:
	v_div_scale_f64 v[6:7], s[16:17], v[4:5], v[4:5], v[2:3]
	v_rcp_f64_e32 v[8:9], v[6:7]
	v_div_scale_f64 v[14:15], vcc, v[2:3], v[4:5], v[2:3]
	v_fma_f64 v[16:17], -v[6:7], v[8:9], 1.0
	v_fmac_f64_e32 v[8:9], v[8:9], v[16:17]
	v_fma_f64 v[16:17], -v[6:7], v[8:9], 1.0
	v_fmac_f64_e32 v[8:9], v[8:9], v[16:17]
	v_mul_f64 v[16:17], v[14:15], v[8:9]
	v_fma_f64 v[6:7], -v[6:7], v[16:17], v[14:15]
	v_div_fmas_f64 v[6:7], v[6:7], v[8:9], v[16:17]
	v_div_fixup_f64 v[8:9], v[6:7], v[4:5], v[2:3]
	v_fma_f64 v[6:7], v[2:3], v[8:9], v[4:5]
	v_div_scale_f64 v[14:15], s[16:17], v[6:7], v[6:7], 1.0
	v_rcp_f64_e32 v[16:17], v[14:15]
	v_fma_f64 v[18:19], -v[14:15], v[16:17], 1.0
	v_fmac_f64_e32 v[16:17], v[16:17], v[18:19]
	v_fma_f64 v[18:19], -v[14:15], v[16:17], 1.0
	v_fmac_f64_e32 v[16:17], v[16:17], v[18:19]
	v_div_scale_f64 v[18:19], vcc, 1.0, v[6:7], 1.0
	v_mul_f64 v[20:21], v[18:19], v[16:17]
	v_fma_f64 v[14:15], -v[14:15], v[20:21], v[18:19]
	s_nop 1
	v_div_fmas_f64 v[14:15], v[14:15], v[16:17], v[20:21]
	v_div_fixup_f64 v[14:15], v[14:15], v[6:7], 1.0
	v_fma_f64 v[6:7], v[8:9], v[10:11], v[12:13]
	v_fma_f64 v[8:9], v[8:9], v[12:13], -v[10:11]
	v_mul_f64 v[6:7], v[6:7], v[14:15]
	v_mul_f64 v[8:9], v[8:9], v[14:15]
	s_branch .LBB203_72
.LBB203_71:
	s_mov_b64 s[10:11], -1
                                        ; implicit-def: $vgpr8_vgpr9
.LBB203_72:
	s_andn2_b64 vcc, exec, s[10:11]
	v_add_u32_e32 v1, 0x100, v1
	s_cbranch_vccnz .LBB203_74
; %bb.73:
	v_div_scale_f64 v[6:7], s[10:11], v[2:3], v[2:3], v[4:5]
	v_rcp_f64_e32 v[8:9], v[6:7]
	v_div_scale_f64 v[14:15], vcc, v[4:5], v[2:3], v[4:5]
	v_fma_f64 v[16:17], -v[6:7], v[8:9], 1.0
	v_fmac_f64_e32 v[8:9], v[8:9], v[16:17]
	v_fma_f64 v[16:17], -v[6:7], v[8:9], 1.0
	v_fmac_f64_e32 v[8:9], v[8:9], v[16:17]
	v_mul_f64 v[16:17], v[14:15], v[8:9]
	v_fma_f64 v[6:7], -v[6:7], v[16:17], v[14:15]
	v_div_fmas_f64 v[6:7], v[6:7], v[8:9], v[16:17]
	v_div_fixup_f64 v[8:9], v[6:7], v[2:3], v[4:5]
	v_fmac_f64_e32 v[2:3], v[4:5], v[8:9]
	v_div_scale_f64 v[4:5], s[10:11], v[2:3], v[2:3], 1.0
	v_rcp_f64_e32 v[6:7], v[4:5]
	v_fma_f64 v[14:15], -v[4:5], v[6:7], 1.0
	v_fmac_f64_e32 v[6:7], v[6:7], v[14:15]
	v_fma_f64 v[14:15], -v[4:5], v[6:7], 1.0
	v_fmac_f64_e32 v[6:7], v[6:7], v[14:15]
	v_div_scale_f64 v[14:15], vcc, 1.0, v[2:3], 1.0
	v_mul_f64 v[16:17], v[14:15], v[6:7]
	v_fma_f64 v[4:5], -v[4:5], v[16:17], v[14:15]
	s_nop 1
	v_div_fmas_f64 v[4:5], v[4:5], v[6:7], v[16:17]
	v_div_fixup_f64 v[2:3], v[4:5], v[2:3], 1.0
	v_fma_f64 v[4:5], v[8:9], v[12:13], v[10:11]
	v_mul_f64 v[6:7], v[4:5], v[2:3]
	v_fma_f64 v[4:5], -v[8:9], v[10:11], v[12:13]
	v_mul_f64 v[8:9], v[4:5], v[2:3]
.LBB203_74:
	ds_write_b128 v1, v[6:9]
	s_add_i32 s1, s34, -5
.LBB203_75:
	s_cmp_lt_i32 s1, 0
	s_cbranch_scc1 .LBB203_84
; %bb.76:
	s_lshl_b32 s10, s34, 6
	s_lshl_b32 s11, s1, 4
	v_lshl_or_b32 v1, v0, 4, s10
	s_add_i32 s10, s10, s11
	v_add_u32_e32 v1, 0xc0, v1
	s_sub_i32 s16, s10, 64
	v_lshlrev_b32_e32 v14, 4, v0
	s_branch .LBB203_78
.LBB203_77:                             ;   in Loop: Header=BB203_78 Depth=1
	s_add_i32 s10, s1, -1
	s_add_i32 s16, s16, -16
	s_cmp_lt_i32 s1, 1
	s_mov_b32 s1, s10
	ds_write_b128 v15, v[10:13]
	s_cbranch_scc1 .LBB203_84
.LBB203_78:                             ; =>This Loop Header: Depth=1
                                        ;     Child Loop BB203_79 Depth 2
	v_lshl_or_b32 v6, s1, 6, v14
	ds_read_b128 v[2:5], v6 offset:256
	s_cmp_le_i32 s35, s1
	s_mov_b32 s10, s16
	v_mov_b32_e32 v7, v1
	s_mov_b32 s11, s35
	s_cbranch_scc1 .LBB203_80
.LBB203_79:                             ;   Parent Loop BB203_78 Depth=1
                                        ; =>  This Inner Loop Header: Depth=2
	v_mov_b32_e32 v12, s10
	ds_read_b128 v[8:11], v7
	ds_read_b128 v[16:19], v12
	s_add_i32 s11, s11, -1
	s_sub_i32 s10, s10, 64
	v_subrev_u32_e32 v7, 64, v7
	s_cmp_le_i32 s11, s1
	s_waitcnt lgkmcnt(0)
	v_mul_f64 v[12:13], v[18:19], v[10:11]
	v_mul_f64 v[10:11], v[16:17], v[10:11]
	v_fma_f64 v[12:13], v[16:17], v[8:9], -v[12:13]
	v_fmac_f64_e32 v[10:11], v[18:19], v[8:9]
	v_add_f64 v[2:3], v[2:3], -v[12:13]
	v_add_f64 v[4:5], v[4:5], -v[10:11]
	s_cbranch_scc0 .LBB203_79
.LBB203_80:                             ;   in Loop: Header=BB203_78 Depth=1
	s_mul_i32 s10, s1, 0x50
	v_add_u32_e32 v15, 0x100, v6
	v_mov_b32_e32 v6, s10
	ds_read_b128 v[6:9], v6
	s_waitcnt lgkmcnt(0)
	v_xor_b32_e32 v11, 0x80000000, v7
	v_cmp_gt_f64_e32 vcc, 0, v[6:7]
	v_xor_b32_e32 v12, 0x80000000, v9
	v_cndmask_b32_e32 v11, v7, v11, vcc
	v_cmp_gt_f64_e32 vcc, 0, v[8:9]
	v_mov_b32_e32 v10, v6
	v_cndmask_b32_e32 v13, v9, v12, vcc
	v_mov_b32_e32 v12, v8
	v_cmp_ngt_f64_e32 vcc, v[10:11], v[12:13]
	s_cbranch_vccz .LBB203_82
; %bb.81:                               ;   in Loop: Header=BB203_78 Depth=1
	v_div_scale_f64 v[10:11], s[10:11], v[8:9], v[8:9], v[6:7]
	v_rcp_f64_e32 v[12:13], v[10:11]
	v_div_scale_f64 v[16:17], vcc, v[6:7], v[8:9], v[6:7]
	v_fma_f64 v[18:19], -v[10:11], v[12:13], 1.0
	v_fmac_f64_e32 v[12:13], v[12:13], v[18:19]
	v_fma_f64 v[18:19], -v[10:11], v[12:13], 1.0
	v_fmac_f64_e32 v[12:13], v[12:13], v[18:19]
	v_mul_f64 v[18:19], v[16:17], v[12:13]
	v_fma_f64 v[10:11], -v[10:11], v[18:19], v[16:17]
	v_div_fmas_f64 v[10:11], v[10:11], v[12:13], v[18:19]
	v_div_fixup_f64 v[12:13], v[10:11], v[8:9], v[6:7]
	v_fma_f64 v[10:11], v[6:7], v[12:13], v[8:9]
	v_div_scale_f64 v[16:17], s[10:11], v[10:11], v[10:11], 1.0
	v_rcp_f64_e32 v[18:19], v[16:17]
	v_fma_f64 v[20:21], -v[16:17], v[18:19], 1.0
	v_fmac_f64_e32 v[18:19], v[18:19], v[20:21]
	v_fma_f64 v[20:21], -v[16:17], v[18:19], 1.0
	v_fmac_f64_e32 v[18:19], v[18:19], v[20:21]
	v_div_scale_f64 v[20:21], vcc, 1.0, v[10:11], 1.0
	v_mul_f64 v[22:23], v[20:21], v[18:19]
	v_fma_f64 v[16:17], -v[16:17], v[22:23], v[20:21]
	s_nop 1
	v_div_fmas_f64 v[16:17], v[16:17], v[18:19], v[22:23]
	v_div_fixup_f64 v[16:17], v[16:17], v[10:11], 1.0
	v_fma_f64 v[10:11], v[2:3], v[12:13], v[4:5]
	v_fma_f64 v[12:13], v[4:5], v[12:13], -v[2:3]
	v_mul_f64 v[10:11], v[10:11], v[16:17]
	v_mul_f64 v[12:13], v[12:13], v[16:17]
	s_cbranch_execnz .LBB203_77
	s_branch .LBB203_83
.LBB203_82:                             ;   in Loop: Header=BB203_78 Depth=1
                                        ; implicit-def: $vgpr10_vgpr11
.LBB203_83:                             ;   in Loop: Header=BB203_78 Depth=1
	v_div_scale_f64 v[10:11], s[10:11], v[6:7], v[6:7], v[8:9]
	v_rcp_f64_e32 v[12:13], v[10:11]
	v_div_scale_f64 v[16:17], vcc, v[8:9], v[6:7], v[8:9]
	v_fma_f64 v[18:19], -v[10:11], v[12:13], 1.0
	v_fmac_f64_e32 v[12:13], v[12:13], v[18:19]
	v_fma_f64 v[18:19], -v[10:11], v[12:13], 1.0
	v_fmac_f64_e32 v[12:13], v[12:13], v[18:19]
	v_mul_f64 v[18:19], v[16:17], v[12:13]
	v_fma_f64 v[10:11], -v[10:11], v[18:19], v[16:17]
	v_div_fmas_f64 v[10:11], v[10:11], v[12:13], v[18:19]
	v_div_fixup_f64 v[12:13], v[10:11], v[6:7], v[8:9]
	v_fmac_f64_e32 v[6:7], v[8:9], v[12:13]
	v_div_scale_f64 v[8:9], s[10:11], v[6:7], v[6:7], 1.0
	v_rcp_f64_e32 v[10:11], v[8:9]
	v_fma_f64 v[16:17], -v[8:9], v[10:11], 1.0
	v_fmac_f64_e32 v[10:11], v[10:11], v[16:17]
	v_fma_f64 v[16:17], -v[8:9], v[10:11], 1.0
	v_fmac_f64_e32 v[10:11], v[10:11], v[16:17]
	v_div_scale_f64 v[16:17], vcc, 1.0, v[6:7], 1.0
	v_mul_f64 v[18:19], v[16:17], v[10:11]
	v_fma_f64 v[8:9], -v[8:9], v[18:19], v[16:17]
	s_nop 1
	v_div_fmas_f64 v[8:9], v[8:9], v[10:11], v[18:19]
	v_div_fixup_f64 v[6:7], v[8:9], v[6:7], 1.0
	v_fma_f64 v[8:9], v[4:5], v[12:13], v[2:3]
	v_fma_f64 v[2:3], -v[2:3], v[12:13], v[4:5]
	v_mul_f64 v[10:11], v[8:9], v[6:7]
	v_mul_f64 v[12:13], v[2:3], v[6:7]
	s_branch .LBB203_77
.LBB203_84:
	s_mov_b64 s[16:17], 0
.LBB203_85:
	s_andn2_b64 vcc, exec, s[16:17]
	s_cbranch_vccnz .LBB203_113
; %bb.86:
	s_and_b64 vcc, exec, s[8:9]
	s_mov_b32 s1, s35
	s_cbranch_vccz .LBB203_104
; %bb.87:
	s_add_i32 s11, s34, -2
	v_lshlrev_b32_e32 v1, 4, v0
	s_lshl_b32 s18, s11, 2
	s_mul_i32 s17, s35, 0x50
	v_lshl_or_b32 v28, s35, 6, v1
	v_or_b32_e32 v1, s18, v0
	v_mov_b32_e32 v2, s17
	v_lshlrev_b32_e32 v27, 4, v1
	ds_read_b128 v[18:21], v28 offset:256
	ds_read_b128 v[14:17], v27 offset:256
	ds_read_b128 v[22:25], v2
	s_add_i32 s1, s34, -3
	s_lshl_b32 s16, s1, 2
	s_lshl_b32 s10, s34, 2
	v_or_b32_e32 v1, s16, v0
	s_add_i32 s10, s10, -16
	v_lshlrev_b32_e32 v26, 4, v1
	v_or_b32_e32 v1, s10, v0
	v_lshlrev_b32_e32 v1, 4, v1
	ds_read_b128 v[10:13], v26 offset:256
	ds_read_b128 v[2:5], v1 offset:256
	s_waitcnt lgkmcnt(2)
	v_xor_b32_e32 v6, 0x80000000, v23
	v_cmp_gt_f64_e32 vcc, 0, v[22:23]
	v_cndmask_b32_e32 v7, v23, v6, vcc
	v_xor_b32_e32 v8, 0x80000000, v25
	v_cmp_gt_f64_e32 vcc, 0, v[24:25]
	v_mov_b32_e32 v6, v22
	v_cndmask_b32_e32 v9, v25, v8, vcc
	v_mov_b32_e32 v8, v24
	v_cmp_ngt_f64_e32 vcc, v[6:7], v[8:9]
	s_mov_b64 s[8:9], 0
	s_cbranch_vccz .LBB203_89
; %bb.88:
	v_div_scale_f64 v[6:7], s[20:21], v[24:25], v[24:25], v[22:23]
	v_rcp_f64_e32 v[8:9], v[6:7]
	v_div_scale_f64 v[30:31], vcc, v[22:23], v[24:25], v[22:23]
	v_fma_f64 v[32:33], -v[6:7], v[8:9], 1.0
	v_fmac_f64_e32 v[8:9], v[8:9], v[32:33]
	v_fma_f64 v[32:33], -v[6:7], v[8:9], 1.0
	v_fmac_f64_e32 v[8:9], v[8:9], v[32:33]
	v_mul_f64 v[32:33], v[30:31], v[8:9]
	v_fma_f64 v[6:7], -v[6:7], v[32:33], v[30:31]
	v_div_fmas_f64 v[6:7], v[6:7], v[8:9], v[32:33]
	v_div_fixup_f64 v[8:9], v[6:7], v[24:25], v[22:23]
	v_fma_f64 v[6:7], v[22:23], v[8:9], v[24:25]
	v_div_scale_f64 v[30:31], s[20:21], v[6:7], v[6:7], 1.0
	v_rcp_f64_e32 v[32:33], v[30:31]
	v_fma_f64 v[34:35], -v[30:31], v[32:33], 1.0
	v_fmac_f64_e32 v[32:33], v[32:33], v[34:35]
	v_fma_f64 v[34:35], -v[30:31], v[32:33], 1.0
	v_fmac_f64_e32 v[32:33], v[32:33], v[34:35]
	v_div_scale_f64 v[34:35], vcc, 1.0, v[6:7], 1.0
	v_mul_f64 v[36:37], v[34:35], v[32:33]
	v_fma_f64 v[30:31], -v[30:31], v[36:37], v[34:35]
	s_nop 1
	v_div_fmas_f64 v[30:31], v[30:31], v[32:33], v[36:37]
	v_div_fixup_f64 v[30:31], v[30:31], v[6:7], 1.0
	v_fma_f64 v[6:7], v[18:19], v[8:9], v[20:21]
	v_fma_f64 v[8:9], v[20:21], v[8:9], -v[18:19]
	v_mul_f64 v[6:7], v[6:7], v[30:31]
	v_mul_f64 v[8:9], v[8:9], v[30:31]
	s_andn2_b64 vcc, exec, s[8:9]
	v_add_u32_e32 v28, 0x100, v28
	s_cbranch_vccz .LBB203_90
	s_branch .LBB203_91
.LBB203_89:
                                        ; implicit-def: $vgpr8_vgpr9
	v_add_u32_e32 v28, 0x100, v28
.LBB203_90:
	v_div_scale_f64 v[6:7], s[8:9], v[22:23], v[22:23], v[24:25]
	v_rcp_f64_e32 v[8:9], v[6:7]
	v_div_scale_f64 v[30:31], vcc, v[24:25], v[22:23], v[24:25]
	v_fma_f64 v[32:33], -v[6:7], v[8:9], 1.0
	v_fmac_f64_e32 v[8:9], v[8:9], v[32:33]
	v_fma_f64 v[32:33], -v[6:7], v[8:9], 1.0
	v_fmac_f64_e32 v[8:9], v[8:9], v[32:33]
	v_mul_f64 v[32:33], v[30:31], v[8:9]
	v_fma_f64 v[6:7], -v[6:7], v[32:33], v[30:31]
	v_div_fmas_f64 v[6:7], v[6:7], v[8:9], v[32:33]
	v_div_fixup_f64 v[8:9], v[6:7], v[22:23], v[24:25]
	v_fmac_f64_e32 v[22:23], v[24:25], v[8:9]
	v_div_scale_f64 v[6:7], s[8:9], v[22:23], v[22:23], 1.0
	v_rcp_f64_e32 v[24:25], v[6:7]
	v_fma_f64 v[30:31], -v[6:7], v[24:25], 1.0
	v_fmac_f64_e32 v[24:25], v[24:25], v[30:31]
	v_fma_f64 v[30:31], -v[6:7], v[24:25], 1.0
	v_fmac_f64_e32 v[24:25], v[24:25], v[30:31]
	v_div_scale_f64 v[30:31], vcc, 1.0, v[22:23], 1.0
	v_mul_f64 v[32:33], v[30:31], v[24:25]
	v_fma_f64 v[6:7], -v[6:7], v[32:33], v[30:31]
	s_nop 1
	v_div_fmas_f64 v[6:7], v[6:7], v[24:25], v[32:33]
	v_div_fixup_f64 v[22:23], v[6:7], v[22:23], 1.0
	v_fma_f64 v[6:7], v[20:21], v[8:9], v[18:19]
	v_fma_f64 v[8:9], -v[18:19], v[8:9], v[20:21]
	v_mul_f64 v[6:7], v[6:7], v[22:23]
	v_mul_f64 v[8:9], v[8:9], v[22:23]
.LBB203_91:
	s_add_i32 s18, s18, s35
	s_lshl_b32 s8, s18, 4
	v_mov_b32_e32 v18, s8
	ds_read_b128 v[22:25], v18
	s_addk_i32 s17, 0xffb0
	v_mov_b32_e32 v18, s17
	ds_read_b128 v[18:21], v18
	ds_write_b128 v28, v[6:9]
	s_waitcnt lgkmcnt(2)
	v_mul_f64 v[28:29], v[8:9], v[24:25]
	v_fma_f64 v[28:29], v[6:7], v[22:23], -v[28:29]
	v_mul_f64 v[24:25], v[6:7], v[24:25]
	v_fmac_f64_e32 v[24:25], v[8:9], v[22:23]
	v_add_f64 v[22:23], v[14:15], -v[28:29]
	s_waitcnt lgkmcnt(1)
	v_xor_b32_e32 v14, 0x80000000, v19
	v_cmp_gt_f64_e32 vcc, 0, v[18:19]
	v_add_f64 v[24:25], v[16:17], -v[24:25]
	v_cndmask_b32_e32 v15, v19, v14, vcc
	v_xor_b32_e32 v16, 0x80000000, v21
	v_cmp_gt_f64_e32 vcc, 0, v[20:21]
	v_mov_b32_e32 v14, v18
	v_cndmask_b32_e32 v17, v21, v16, vcc
	v_mov_b32_e32 v16, v20
	v_cmp_ngt_f64_e32 vcc, v[14:15], v[16:17]
	s_mov_b64 s[8:9], 0
	s_cbranch_vccz .LBB203_93
; %bb.92:
	v_div_scale_f64 v[14:15], s[18:19], v[20:21], v[20:21], v[18:19]
	v_rcp_f64_e32 v[16:17], v[14:15]
	v_div_scale_f64 v[28:29], vcc, v[18:19], v[20:21], v[18:19]
	v_fma_f64 v[30:31], -v[14:15], v[16:17], 1.0
	v_fmac_f64_e32 v[16:17], v[16:17], v[30:31]
	v_fma_f64 v[30:31], -v[14:15], v[16:17], 1.0
	v_fmac_f64_e32 v[16:17], v[16:17], v[30:31]
	v_mul_f64 v[30:31], v[28:29], v[16:17]
	v_fma_f64 v[14:15], -v[14:15], v[30:31], v[28:29]
	v_div_fmas_f64 v[14:15], v[14:15], v[16:17], v[30:31]
	v_div_fixup_f64 v[16:17], v[14:15], v[20:21], v[18:19]
	v_fma_f64 v[14:15], v[18:19], v[16:17], v[20:21]
	v_div_scale_f64 v[28:29], s[18:19], v[14:15], v[14:15], 1.0
	v_rcp_f64_e32 v[30:31], v[28:29]
	v_fma_f64 v[32:33], -v[28:29], v[30:31], 1.0
	v_fmac_f64_e32 v[30:31], v[30:31], v[32:33]
	v_fma_f64 v[32:33], -v[28:29], v[30:31], 1.0
	v_fmac_f64_e32 v[30:31], v[30:31], v[32:33]
	v_div_scale_f64 v[32:33], vcc, 1.0, v[14:15], 1.0
	v_mul_f64 v[34:35], v[32:33], v[30:31]
	v_fma_f64 v[28:29], -v[28:29], v[34:35], v[32:33]
	s_nop 1
	v_div_fmas_f64 v[28:29], v[28:29], v[30:31], v[34:35]
	v_div_fixup_f64 v[28:29], v[28:29], v[14:15], 1.0
	v_fma_f64 v[14:15], v[16:17], v[22:23], v[24:25]
	v_fma_f64 v[16:17], v[16:17], v[24:25], -v[22:23]
	v_mul_f64 v[14:15], v[14:15], v[28:29]
	v_mul_f64 v[16:17], v[16:17], v[28:29]
	s_andn2_b64 vcc, exec, s[8:9]
	v_add_u32_e32 v27, 0x100, v27
	s_cbranch_vccz .LBB203_94
	s_branch .LBB203_95
.LBB203_93:
                                        ; implicit-def: $vgpr16_vgpr17
	v_add_u32_e32 v27, 0x100, v27
.LBB203_94:
	v_div_scale_f64 v[14:15], s[8:9], v[18:19], v[18:19], v[20:21]
	v_rcp_f64_e32 v[16:17], v[14:15]
	v_div_scale_f64 v[28:29], vcc, v[20:21], v[18:19], v[20:21]
	v_fma_f64 v[30:31], -v[14:15], v[16:17], 1.0
	v_fmac_f64_e32 v[16:17], v[16:17], v[30:31]
	v_fma_f64 v[30:31], -v[14:15], v[16:17], 1.0
	v_fmac_f64_e32 v[16:17], v[16:17], v[30:31]
	v_mul_f64 v[30:31], v[28:29], v[16:17]
	v_fma_f64 v[14:15], -v[14:15], v[30:31], v[28:29]
	v_div_fmas_f64 v[14:15], v[14:15], v[16:17], v[30:31]
	v_div_fixup_f64 v[16:17], v[14:15], v[18:19], v[20:21]
	v_fmac_f64_e32 v[18:19], v[20:21], v[16:17]
	v_div_scale_f64 v[14:15], s[8:9], v[18:19], v[18:19], 1.0
	v_rcp_f64_e32 v[20:21], v[14:15]
	v_fma_f64 v[28:29], -v[14:15], v[20:21], 1.0
	v_fmac_f64_e32 v[20:21], v[20:21], v[28:29]
	v_fma_f64 v[28:29], -v[14:15], v[20:21], 1.0
	v_fmac_f64_e32 v[20:21], v[20:21], v[28:29]
	v_div_scale_f64 v[28:29], vcc, 1.0, v[18:19], 1.0
	v_mul_f64 v[30:31], v[28:29], v[20:21]
	v_fma_f64 v[14:15], -v[14:15], v[30:31], v[28:29]
	s_nop 1
	v_div_fmas_f64 v[14:15], v[14:15], v[20:21], v[30:31]
	v_div_fixup_f64 v[18:19], v[14:15], v[18:19], 1.0
	v_fma_f64 v[14:15], v[16:17], v[24:25], v[22:23]
	v_fma_f64 v[16:17], -v[16:17], v[22:23], v[24:25]
	v_mul_f64 v[14:15], v[14:15], v[18:19]
	v_mul_f64 v[16:17], v[16:17], v[18:19]
.LBB203_95:
	s_add_i32 s8, s16, s35
	s_lshl_b32 s8, s8, 4
	v_mov_b32_e32 v18, s8
	s_add_i32 s16, s16, s11
	ds_read_b128 v[18:21], v18
	s_lshl_b32 s8, s16, 4
	v_mov_b32_e32 v22, s8
	ds_read_b128 v[22:25], v22
	s_add_i32 s16, s17, 0xffffffb0
	s_waitcnt lgkmcnt(1)
	v_mul_f64 v[28:29], v[8:9], v[20:21]
	v_fma_f64 v[28:29], v[6:7], v[18:19], -v[28:29]
	v_mul_f64 v[20:21], v[6:7], v[20:21]
	v_fmac_f64_e32 v[20:21], v[8:9], v[18:19]
	v_add_f64 v[18:19], v[10:11], -v[28:29]
	s_waitcnt lgkmcnt(0)
	v_mul_f64 v[10:11], v[16:17], v[24:25]
	v_fma_f64 v[28:29], v[14:15], v[22:23], -v[10:11]
	v_mov_b32_e32 v10, s16
	v_add_f64 v[20:21], v[12:13], -v[20:21]
	ds_read_b128 v[10:13], v10
	v_mul_f64 v[24:25], v[14:15], v[24:25]
	v_fmac_f64_e32 v[24:25], v[16:17], v[22:23]
	v_add_f64 v[22:23], v[18:19], -v[28:29]
	v_add_f64 v[24:25], v[20:21], -v[24:25]
	s_waitcnt lgkmcnt(0)
	v_xor_b32_e32 v18, 0x80000000, v11
	v_cmp_gt_f64_e32 vcc, 0, v[10:11]
	v_cndmask_b32_e32 v19, v11, v18, vcc
	v_xor_b32_e32 v20, 0x80000000, v13
	v_cmp_gt_f64_e32 vcc, 0, v[12:13]
	v_mov_b32_e32 v18, v10
	v_cndmask_b32_e32 v21, v13, v20, vcc
	v_mov_b32_e32 v20, v12
	v_cmp_ngt_f64_e32 vcc, v[18:19], v[20:21]
	s_mov_b64 s[8:9], 0
	ds_write_b128 v27, v[14:17]
	s_cbranch_vccz .LBB203_97
; %bb.96:
	v_div_scale_f64 v[18:19], s[18:19], v[12:13], v[12:13], v[10:11]
	v_rcp_f64_e32 v[20:21], v[18:19]
	v_div_scale_f64 v[28:29], vcc, v[10:11], v[12:13], v[10:11]
	v_fma_f64 v[30:31], -v[18:19], v[20:21], 1.0
	v_fmac_f64_e32 v[20:21], v[20:21], v[30:31]
	v_fma_f64 v[30:31], -v[18:19], v[20:21], 1.0
	v_fmac_f64_e32 v[20:21], v[20:21], v[30:31]
	v_mul_f64 v[30:31], v[28:29], v[20:21]
	v_fma_f64 v[18:19], -v[18:19], v[30:31], v[28:29]
	v_div_fmas_f64 v[18:19], v[18:19], v[20:21], v[30:31]
	v_div_fixup_f64 v[20:21], v[18:19], v[12:13], v[10:11]
	v_fma_f64 v[18:19], v[10:11], v[20:21], v[12:13]
	v_div_scale_f64 v[28:29], s[18:19], v[18:19], v[18:19], 1.0
	v_rcp_f64_e32 v[30:31], v[28:29]
	v_fma_f64 v[32:33], -v[28:29], v[30:31], 1.0
	v_fmac_f64_e32 v[30:31], v[30:31], v[32:33]
	v_fma_f64 v[32:33], -v[28:29], v[30:31], 1.0
	v_fmac_f64_e32 v[30:31], v[30:31], v[32:33]
	v_div_scale_f64 v[32:33], vcc, 1.0, v[18:19], 1.0
	v_mul_f64 v[34:35], v[32:33], v[30:31]
	v_fma_f64 v[28:29], -v[28:29], v[34:35], v[32:33]
	s_nop 1
	v_div_fmas_f64 v[28:29], v[28:29], v[30:31], v[34:35]
	v_div_fixup_f64 v[28:29], v[28:29], v[18:19], 1.0
	v_fma_f64 v[18:19], v[20:21], v[22:23], v[24:25]
	v_fma_f64 v[20:21], v[20:21], v[24:25], -v[22:23]
	v_mul_f64 v[18:19], v[18:19], v[28:29]
	v_mul_f64 v[20:21], v[20:21], v[28:29]
	s_andn2_b64 vcc, exec, s[8:9]
	v_add_u32_e32 v26, 0x100, v26
	s_cbranch_vccz .LBB203_98
	s_branch .LBB203_99
.LBB203_97:
                                        ; implicit-def: $vgpr20_vgpr21
	v_add_u32_e32 v26, 0x100, v26
.LBB203_98:
	v_div_scale_f64 v[18:19], s[8:9], v[10:11], v[10:11], v[12:13]
	v_rcp_f64_e32 v[20:21], v[18:19]
	v_div_scale_f64 v[28:29], vcc, v[12:13], v[10:11], v[12:13]
	v_fma_f64 v[30:31], -v[18:19], v[20:21], 1.0
	v_fmac_f64_e32 v[20:21], v[20:21], v[30:31]
	v_fma_f64 v[30:31], -v[18:19], v[20:21], 1.0
	v_fmac_f64_e32 v[20:21], v[20:21], v[30:31]
	v_mul_f64 v[30:31], v[28:29], v[20:21]
	v_fma_f64 v[18:19], -v[18:19], v[30:31], v[28:29]
	v_div_fmas_f64 v[18:19], v[18:19], v[20:21], v[30:31]
	v_div_fixup_f64 v[20:21], v[18:19], v[10:11], v[12:13]
	v_fmac_f64_e32 v[10:11], v[12:13], v[20:21]
	v_div_scale_f64 v[12:13], s[8:9], v[10:11], v[10:11], 1.0
	v_rcp_f64_e32 v[18:19], v[12:13]
	v_fma_f64 v[28:29], -v[12:13], v[18:19], 1.0
	v_fmac_f64_e32 v[18:19], v[18:19], v[28:29]
	v_fma_f64 v[28:29], -v[12:13], v[18:19], 1.0
	v_fmac_f64_e32 v[18:19], v[18:19], v[28:29]
	v_div_scale_f64 v[28:29], vcc, 1.0, v[10:11], 1.0
	v_mul_f64 v[30:31], v[28:29], v[18:19]
	v_fma_f64 v[12:13], -v[12:13], v[30:31], v[28:29]
	s_nop 1
	v_div_fmas_f64 v[12:13], v[12:13], v[18:19], v[30:31]
	v_div_fixup_f64 v[10:11], v[12:13], v[10:11], 1.0
	v_fma_f64 v[12:13], v[20:21], v[24:25], v[22:23]
	v_mul_f64 v[18:19], v[12:13], v[10:11]
	v_fma_f64 v[12:13], -v[20:21], v[22:23], v[24:25]
	v_mul_f64 v[20:21], v[12:13], v[10:11]
.LBB203_99:
	s_add_i32 s8, s10, s35
	s_lshl_b32 s8, s8, 4
	v_mov_b32_e32 v10, s8
	ds_read_b128 v[10:13], v10
	s_add_i32 s8, s10, s11
	s_lshl_b32 s8, s8, 4
	v_mov_b32_e32 v22, s8
	ds_read_b128 v[22:25], v22
	ds_write_b128 v26, v[18:21]
	s_waitcnt lgkmcnt(2)
	v_mul_f64 v[26:27], v[8:9], v[12:13]
	v_fma_f64 v[26:27], v[6:7], v[10:11], -v[26:27]
	v_mul_f64 v[6:7], v[6:7], v[12:13]
	v_fmac_f64_e32 v[6:7], v[8:9], v[10:11]
	v_add_f64 v[4:5], v[4:5], -v[6:7]
	s_waitcnt lgkmcnt(1)
	v_mul_f64 v[6:7], v[16:17], v[24:25]
	s_add_i32 s10, s10, s1
	v_add_f64 v[2:3], v[2:3], -v[26:27]
	v_fma_f64 v[6:7], v[14:15], v[22:23], -v[6:7]
	s_lshl_b32 s1, s10, 4
	v_mul_f64 v[10:11], v[14:15], v[24:25]
	v_add_f64 v[12:13], v[2:3], -v[6:7]
	v_mov_b32_e32 v2, s1
	s_add_i32 s1, s16, 0xffffffb0
	v_fmac_f64_e32 v[10:11], v[16:17], v[22:23]
	ds_read_b128 v[6:9], v2
	v_mov_b32_e32 v2, s1
	v_add_f64 v[14:15], v[4:5], -v[10:11]
	ds_read_b128 v[2:5], v2
	s_mov_b64 s[8:9], 0
	s_waitcnt lgkmcnt(1)
	v_mul_f64 v[10:11], v[20:21], v[8:9]
	v_mul_f64 v[8:9], v[18:19], v[8:9]
	v_fma_f64 v[10:11], v[18:19], v[6:7], -v[10:11]
	v_fmac_f64_e32 v[8:9], v[20:21], v[6:7]
	s_waitcnt lgkmcnt(0)
	v_xor_b32_e32 v6, 0x80000000, v3
	v_cmp_gt_f64_e32 vcc, 0, v[2:3]
	v_add_f64 v[10:11], v[12:13], -v[10:11]
	v_add_f64 v[12:13], v[14:15], -v[8:9]
	v_cndmask_b32_e32 v7, v3, v6, vcc
	v_xor_b32_e32 v8, 0x80000000, v5
	v_cmp_gt_f64_e32 vcc, 0, v[4:5]
	v_mov_b32_e32 v6, v2
	v_cndmask_b32_e32 v9, v5, v8, vcc
	v_mov_b32_e32 v8, v4
	v_cmp_ngt_f64_e32 vcc, v[6:7], v[8:9]
	s_cbranch_vccz .LBB203_101
; %bb.100:
	v_div_scale_f64 v[6:7], s[10:11], v[4:5], v[4:5], v[2:3]
	v_rcp_f64_e32 v[8:9], v[6:7]
	v_div_scale_f64 v[14:15], vcc, v[2:3], v[4:5], v[2:3]
	v_fma_f64 v[16:17], -v[6:7], v[8:9], 1.0
	v_fmac_f64_e32 v[8:9], v[8:9], v[16:17]
	v_fma_f64 v[16:17], -v[6:7], v[8:9], 1.0
	v_fmac_f64_e32 v[8:9], v[8:9], v[16:17]
	v_mul_f64 v[16:17], v[14:15], v[8:9]
	v_fma_f64 v[6:7], -v[6:7], v[16:17], v[14:15]
	v_div_fmas_f64 v[6:7], v[6:7], v[8:9], v[16:17]
	v_div_fixup_f64 v[8:9], v[6:7], v[4:5], v[2:3]
	v_fma_f64 v[6:7], v[2:3], v[8:9], v[4:5]
	v_div_scale_f64 v[14:15], s[10:11], v[6:7], v[6:7], 1.0
	v_rcp_f64_e32 v[16:17], v[14:15]
	v_fma_f64 v[18:19], -v[14:15], v[16:17], 1.0
	v_fmac_f64_e32 v[16:17], v[16:17], v[18:19]
	v_fma_f64 v[18:19], -v[14:15], v[16:17], 1.0
	v_fmac_f64_e32 v[16:17], v[16:17], v[18:19]
	v_div_scale_f64 v[18:19], vcc, 1.0, v[6:7], 1.0
	v_mul_f64 v[20:21], v[18:19], v[16:17]
	v_fma_f64 v[14:15], -v[14:15], v[20:21], v[18:19]
	s_nop 1
	v_div_fmas_f64 v[14:15], v[14:15], v[16:17], v[20:21]
	v_div_fixup_f64 v[14:15], v[14:15], v[6:7], 1.0
	v_fma_f64 v[6:7], v[8:9], v[10:11], v[12:13]
	v_fma_f64 v[8:9], v[8:9], v[12:13], -v[10:11]
	v_mul_f64 v[6:7], v[6:7], v[14:15]
	v_mul_f64 v[8:9], v[8:9], v[14:15]
	s_andn2_b64 vcc, exec, s[8:9]
	v_add_u32_e32 v1, 0x100, v1
	s_cbranch_vccz .LBB203_102
	s_branch .LBB203_103
.LBB203_101:
                                        ; implicit-def: $vgpr8_vgpr9
	v_add_u32_e32 v1, 0x100, v1
.LBB203_102:
	v_div_scale_f64 v[6:7], s[8:9], v[2:3], v[2:3], v[4:5]
	v_rcp_f64_e32 v[8:9], v[6:7]
	v_div_scale_f64 v[14:15], vcc, v[4:5], v[2:3], v[4:5]
	v_fma_f64 v[16:17], -v[6:7], v[8:9], 1.0
	v_fmac_f64_e32 v[8:9], v[8:9], v[16:17]
	v_fma_f64 v[16:17], -v[6:7], v[8:9], 1.0
	v_fmac_f64_e32 v[8:9], v[8:9], v[16:17]
	v_mul_f64 v[16:17], v[14:15], v[8:9]
	v_fma_f64 v[6:7], -v[6:7], v[16:17], v[14:15]
	v_div_fmas_f64 v[6:7], v[6:7], v[8:9], v[16:17]
	v_div_fixup_f64 v[8:9], v[6:7], v[2:3], v[4:5]
	v_fmac_f64_e32 v[2:3], v[4:5], v[8:9]
	v_div_scale_f64 v[4:5], s[8:9], v[2:3], v[2:3], 1.0
	v_rcp_f64_e32 v[6:7], v[4:5]
	v_fma_f64 v[14:15], -v[4:5], v[6:7], 1.0
	v_fmac_f64_e32 v[6:7], v[6:7], v[14:15]
	v_fma_f64 v[14:15], -v[4:5], v[6:7], 1.0
	v_fmac_f64_e32 v[6:7], v[6:7], v[14:15]
	v_div_scale_f64 v[14:15], vcc, 1.0, v[2:3], 1.0
	v_mul_f64 v[16:17], v[14:15], v[6:7]
	v_fma_f64 v[4:5], -v[4:5], v[16:17], v[14:15]
	s_nop 1
	v_div_fmas_f64 v[4:5], v[4:5], v[6:7], v[16:17]
	v_div_fixup_f64 v[2:3], v[4:5], v[2:3], 1.0
	v_fma_f64 v[4:5], v[8:9], v[12:13], v[10:11]
	v_mul_f64 v[6:7], v[4:5], v[2:3]
	v_fma_f64 v[4:5], -v[8:9], v[10:11], v[12:13]
	v_mul_f64 v[8:9], v[4:5], v[2:3]
.LBB203_103:
	s_add_i32 s1, s34, -5
	ds_write_b128 v1, v[6:9]
.LBB203_104:
	s_cmp_lt_i32 s1, 0
	s_cbranch_scc1 .LBB203_113
; %bb.105:
	v_lshlrev_b32_e32 v1, 4, v0
	s_lshl_b32 s8, s1, 6
	s_lshl_b32 s9, s34, 4
	v_lshl_or_b32 v2, s34, 6, v1
	s_add_i32 s8, s8, s9
	v_add_u32_e32 v14, 0xc0, v2
	s_add_i32 s10, s8, -16
	s_branch .LBB203_107
.LBB203_106:                            ;   in Loop: Header=BB203_107 Depth=1
	s_add_i32 s8, s1, -1
	s_sub_i32 s10, s10, 64
	s_cmp_lt_i32 s1, 1
	s_mov_b32 s1, s8
	ds_write_b128 v15, v[10:13]
	s_cbranch_scc1 .LBB203_113
.LBB203_107:                            ; =>This Loop Header: Depth=1
                                        ;     Child Loop BB203_108 Depth 2
	v_lshl_or_b32 v6, s1, 6, v1
	ds_read_b128 v[2:5], v6 offset:256
	s_cmp_le_i32 s35, s1
	s_mov_b32 s8, s10
	v_mov_b32_e32 v7, v14
	s_mov_b32 s9, s35
	s_cbranch_scc1 .LBB203_109
.LBB203_108:                            ;   Parent Loop BB203_107 Depth=1
                                        ; =>  This Inner Loop Header: Depth=2
	v_mov_b32_e32 v12, s8
	ds_read_b128 v[8:11], v7
	ds_read_b128 v[16:19], v12
	s_add_i32 s9, s9, -1
	s_add_i32 s8, s8, -16
	v_subrev_u32_e32 v7, 64, v7
	s_cmp_le_i32 s9, s1
	s_waitcnt lgkmcnt(0)
	v_mul_f64 v[12:13], v[18:19], v[10:11]
	v_mul_f64 v[10:11], v[16:17], v[10:11]
	v_fma_f64 v[12:13], v[16:17], v[8:9], -v[12:13]
	v_fmac_f64_e32 v[10:11], v[18:19], v[8:9]
	v_add_f64 v[2:3], v[2:3], -v[12:13]
	v_add_f64 v[4:5], v[4:5], -v[10:11]
	s_cbranch_scc0 .LBB203_108
.LBB203_109:                            ;   in Loop: Header=BB203_107 Depth=1
	s_mul_i32 s8, s1, 0x50
	v_add_u32_e32 v15, 0x100, v6
	v_mov_b32_e32 v6, s8
	ds_read_b128 v[6:9], v6
	s_waitcnt lgkmcnt(0)
	v_xor_b32_e32 v11, 0x80000000, v7
	v_cmp_gt_f64_e32 vcc, 0, v[6:7]
	v_xor_b32_e32 v12, 0x80000000, v9
	v_cndmask_b32_e32 v11, v7, v11, vcc
	v_cmp_gt_f64_e32 vcc, 0, v[8:9]
	v_mov_b32_e32 v10, v6
	v_cndmask_b32_e32 v13, v9, v12, vcc
	v_mov_b32_e32 v12, v8
	v_cmp_ngt_f64_e32 vcc, v[10:11], v[12:13]
	s_cbranch_vccz .LBB203_111
; %bb.110:                              ;   in Loop: Header=BB203_107 Depth=1
	v_div_scale_f64 v[10:11], s[8:9], v[8:9], v[8:9], v[6:7]
	v_rcp_f64_e32 v[12:13], v[10:11]
	v_div_scale_f64 v[16:17], vcc, v[6:7], v[8:9], v[6:7]
	v_fma_f64 v[18:19], -v[10:11], v[12:13], 1.0
	v_fmac_f64_e32 v[12:13], v[12:13], v[18:19]
	v_fma_f64 v[18:19], -v[10:11], v[12:13], 1.0
	v_fmac_f64_e32 v[12:13], v[12:13], v[18:19]
	v_mul_f64 v[18:19], v[16:17], v[12:13]
	v_fma_f64 v[10:11], -v[10:11], v[18:19], v[16:17]
	v_div_fmas_f64 v[10:11], v[10:11], v[12:13], v[18:19]
	v_div_fixup_f64 v[12:13], v[10:11], v[8:9], v[6:7]
	v_fma_f64 v[10:11], v[6:7], v[12:13], v[8:9]
	v_div_scale_f64 v[16:17], s[8:9], v[10:11], v[10:11], 1.0
	v_rcp_f64_e32 v[18:19], v[16:17]
	v_fma_f64 v[20:21], -v[16:17], v[18:19], 1.0
	v_fmac_f64_e32 v[18:19], v[18:19], v[20:21]
	v_fma_f64 v[20:21], -v[16:17], v[18:19], 1.0
	v_fmac_f64_e32 v[18:19], v[18:19], v[20:21]
	v_div_scale_f64 v[20:21], vcc, 1.0, v[10:11], 1.0
	v_mul_f64 v[22:23], v[20:21], v[18:19]
	v_fma_f64 v[16:17], -v[16:17], v[22:23], v[20:21]
	s_nop 1
	v_div_fmas_f64 v[16:17], v[16:17], v[18:19], v[22:23]
	v_div_fixup_f64 v[16:17], v[16:17], v[10:11], 1.0
	v_fma_f64 v[10:11], v[2:3], v[12:13], v[4:5]
	v_fma_f64 v[12:13], v[4:5], v[12:13], -v[2:3]
	v_mul_f64 v[10:11], v[10:11], v[16:17]
	v_mul_f64 v[12:13], v[12:13], v[16:17]
	s_cbranch_execnz .LBB203_106
	s_branch .LBB203_112
.LBB203_111:                            ;   in Loop: Header=BB203_107 Depth=1
                                        ; implicit-def: $vgpr10_vgpr11
.LBB203_112:                            ;   in Loop: Header=BB203_107 Depth=1
	v_div_scale_f64 v[10:11], s[8:9], v[6:7], v[6:7], v[8:9]
	v_rcp_f64_e32 v[12:13], v[10:11]
	v_div_scale_f64 v[16:17], vcc, v[8:9], v[6:7], v[8:9]
	v_fma_f64 v[18:19], -v[10:11], v[12:13], 1.0
	v_fmac_f64_e32 v[12:13], v[12:13], v[18:19]
	v_fma_f64 v[18:19], -v[10:11], v[12:13], 1.0
	v_fmac_f64_e32 v[12:13], v[12:13], v[18:19]
	v_mul_f64 v[18:19], v[16:17], v[12:13]
	v_fma_f64 v[10:11], -v[10:11], v[18:19], v[16:17]
	v_div_fmas_f64 v[10:11], v[10:11], v[12:13], v[18:19]
	v_div_fixup_f64 v[12:13], v[10:11], v[6:7], v[8:9]
	v_fmac_f64_e32 v[6:7], v[8:9], v[12:13]
	v_div_scale_f64 v[8:9], s[8:9], v[6:7], v[6:7], 1.0
	v_rcp_f64_e32 v[10:11], v[8:9]
	v_fma_f64 v[16:17], -v[8:9], v[10:11], 1.0
	v_fmac_f64_e32 v[10:11], v[10:11], v[16:17]
	v_fma_f64 v[16:17], -v[8:9], v[10:11], 1.0
	v_fmac_f64_e32 v[10:11], v[10:11], v[16:17]
	v_div_scale_f64 v[16:17], vcc, 1.0, v[6:7], 1.0
	v_mul_f64 v[18:19], v[16:17], v[10:11]
	v_fma_f64 v[8:9], -v[8:9], v[18:19], v[16:17]
	s_nop 1
	v_div_fmas_f64 v[8:9], v[8:9], v[10:11], v[18:19]
	v_div_fixup_f64 v[6:7], v[8:9], v[6:7], 1.0
	v_fma_f64 v[8:9], v[4:5], v[12:13], v[2:3]
	v_fma_f64 v[2:3], -v[2:3], v[12:13], v[4:5]
	v_mul_f64 v[10:11], v[8:9], v[6:7]
	v_mul_f64 v[12:13], v[2:3], v[6:7]
	s_branch .LBB203_106
.LBB203_113:
	s_mov_b64 s[18:19], 0
.LBB203_114:
	s_andn2_b64 vcc, exec, s[18:19]
	s_cbranch_vccnz .LBB203_143
; %bb.115:
	s_cmp_lt_i32 s33, 4
	s_mov_b32 s1, 0
	s_cbranch_scc1 .LBB203_133
; %bb.116:
	v_mov_b32_e32 v2, 0
	v_lshlrev_b32_e32 v1, 4, v0
	ds_read_b128 v[22:25], v2
	ds_read_b128 v[18:21], v1 offset:256
	ds_read_b128 v[14:17], v1 offset:320
	;; [unrolled: 1-line block ×4, first 2 shown]
	s_waitcnt lgkmcnt(4)
	v_xor_b32_e32 v6, 0x80000000, v23
	v_cmp_gt_f64_e32 vcc, 0, v[22:23]
	v_cndmask_b32_e32 v7, v23, v6, vcc
	v_xor_b32_e32 v8, 0x80000000, v25
	v_cmp_gt_f64_e32 vcc, 0, v[24:25]
	v_mov_b32_e32 v6, v22
	v_cndmask_b32_e32 v9, v25, v8, vcc
	v_mov_b32_e32 v8, v24
	v_cmp_ngt_f64_e32 vcc, v[6:7], v[8:9]
	s_mov_b64 s[8:9], 0
	s_cbranch_vccz .LBB203_118
; %bb.117:
	v_div_scale_f64 v[6:7], s[10:11], v[24:25], v[24:25], v[22:23]
	v_rcp_f64_e32 v[8:9], v[6:7]
	v_div_scale_f64 v[26:27], vcc, v[22:23], v[24:25], v[22:23]
	v_fma_f64 v[28:29], -v[6:7], v[8:9], 1.0
	v_fmac_f64_e32 v[8:9], v[8:9], v[28:29]
	v_fma_f64 v[28:29], -v[6:7], v[8:9], 1.0
	v_fmac_f64_e32 v[8:9], v[8:9], v[28:29]
	v_mul_f64 v[28:29], v[26:27], v[8:9]
	v_fma_f64 v[6:7], -v[6:7], v[28:29], v[26:27]
	v_div_fmas_f64 v[6:7], v[6:7], v[8:9], v[28:29]
	v_div_fixup_f64 v[8:9], v[6:7], v[24:25], v[22:23]
	v_fma_f64 v[6:7], v[22:23], v[8:9], v[24:25]
	v_div_scale_f64 v[26:27], s[10:11], v[6:7], v[6:7], 1.0
	v_rcp_f64_e32 v[28:29], v[26:27]
	v_fma_f64 v[30:31], -v[26:27], v[28:29], 1.0
	v_fmac_f64_e32 v[28:29], v[28:29], v[30:31]
	v_fma_f64 v[30:31], -v[26:27], v[28:29], 1.0
	v_fmac_f64_e32 v[28:29], v[28:29], v[30:31]
	v_div_scale_f64 v[30:31], vcc, 1.0, v[6:7], 1.0
	v_mul_f64 v[32:33], v[30:31], v[28:29]
	v_fma_f64 v[26:27], -v[26:27], v[32:33], v[30:31]
	s_nop 1
	v_div_fmas_f64 v[26:27], v[26:27], v[28:29], v[32:33]
	v_div_fixup_f64 v[26:27], v[26:27], v[6:7], 1.0
	s_waitcnt lgkmcnt(3)
	v_fma_f64 v[6:7], v[18:19], v[8:9], v[20:21]
	v_fma_f64 v[8:9], v[20:21], v[8:9], -v[18:19]
	v_mul_f64 v[6:7], v[6:7], v[26:27]
	v_mul_f64 v[8:9], v[8:9], v[26:27]
	s_andn2_b64 vcc, exec, s[8:9]
	v_or_b32_e32 v1, 0x100, v1
	s_cbranch_vccz .LBB203_119
	s_branch .LBB203_120
.LBB203_118:
                                        ; implicit-def: $vgpr8_vgpr9
	v_or_b32_e32 v1, 0x100, v1
.LBB203_119:
	v_div_scale_f64 v[6:7], s[8:9], v[22:23], v[22:23], v[24:25]
	v_rcp_f64_e32 v[8:9], v[6:7]
	v_div_scale_f64 v[26:27], vcc, v[24:25], v[22:23], v[24:25]
	v_fma_f64 v[28:29], -v[6:7], v[8:9], 1.0
	v_fmac_f64_e32 v[8:9], v[8:9], v[28:29]
	v_fma_f64 v[28:29], -v[6:7], v[8:9], 1.0
	v_fmac_f64_e32 v[8:9], v[8:9], v[28:29]
	v_mul_f64 v[28:29], v[26:27], v[8:9]
	v_fma_f64 v[6:7], -v[6:7], v[28:29], v[26:27]
	v_div_fmas_f64 v[6:7], v[6:7], v[8:9], v[28:29]
	v_div_fixup_f64 v[8:9], v[6:7], v[22:23], v[24:25]
	v_fmac_f64_e32 v[22:23], v[24:25], v[8:9]
	v_div_scale_f64 v[6:7], s[8:9], v[22:23], v[22:23], 1.0
	v_rcp_f64_e32 v[24:25], v[6:7]
	v_fma_f64 v[26:27], -v[6:7], v[24:25], 1.0
	v_fmac_f64_e32 v[24:25], v[24:25], v[26:27]
	v_fma_f64 v[26:27], -v[6:7], v[24:25], 1.0
	v_fmac_f64_e32 v[24:25], v[24:25], v[26:27]
	v_div_scale_f64 v[26:27], vcc, 1.0, v[22:23], 1.0
	v_mul_f64 v[28:29], v[26:27], v[24:25]
	v_fma_f64 v[6:7], -v[6:7], v[28:29], v[26:27]
	s_nop 1
	v_div_fmas_f64 v[6:7], v[6:7], v[24:25], v[28:29]
	v_div_fixup_f64 v[22:23], v[6:7], v[22:23], 1.0
	s_waitcnt lgkmcnt(3)
	v_fma_f64 v[6:7], v[20:21], v[8:9], v[18:19]
	v_fma_f64 v[8:9], -v[18:19], v[8:9], v[20:21]
	v_mul_f64 v[6:7], v[6:7], v[22:23]
	v_mul_f64 v[8:9], v[8:9], v[22:23]
.LBB203_120:
	s_waitcnt lgkmcnt(3)
	v_mov_b32_e32 v18, 0
	ds_read_b128 v[22:25], v18 offset:64
	ds_read_b128 v[18:21], v18 offset:80
	s_mov_b64 s[8:9], 0
	ds_write_b128 v1, v[6:9]
	s_waitcnt lgkmcnt(2)
	v_mul_f64 v[26:27], v[8:9], v[24:25]
	v_mul_f64 v[24:25], v[6:7], v[24:25]
	v_fma_f64 v[26:27], v[6:7], v[22:23], -v[26:27]
	v_fmac_f64_e32 v[24:25], v[8:9], v[22:23]
	v_add_f64 v[22:23], v[14:15], -v[26:27]
	s_waitcnt lgkmcnt(1)
	v_xor_b32_e32 v14, 0x80000000, v19
	v_cmp_gt_f64_e32 vcc, 0, v[18:19]
	v_add_f64 v[24:25], v[16:17], -v[24:25]
	v_cndmask_b32_e32 v15, v19, v14, vcc
	v_xor_b32_e32 v16, 0x80000000, v21
	v_cmp_gt_f64_e32 vcc, 0, v[20:21]
	v_mov_b32_e32 v14, v18
	v_cndmask_b32_e32 v17, v21, v16, vcc
	v_mov_b32_e32 v16, v20
	v_cmp_ngt_f64_e32 vcc, v[14:15], v[16:17]
	s_cbranch_vccz .LBB203_122
; %bb.121:
	v_div_scale_f64 v[14:15], s[10:11], v[20:21], v[20:21], v[18:19]
	v_rcp_f64_e32 v[16:17], v[14:15]
	v_div_scale_f64 v[26:27], vcc, v[18:19], v[20:21], v[18:19]
	v_fma_f64 v[28:29], -v[14:15], v[16:17], 1.0
	v_fmac_f64_e32 v[16:17], v[16:17], v[28:29]
	v_fma_f64 v[28:29], -v[14:15], v[16:17], 1.0
	v_fmac_f64_e32 v[16:17], v[16:17], v[28:29]
	v_mul_f64 v[28:29], v[26:27], v[16:17]
	v_fma_f64 v[14:15], -v[14:15], v[28:29], v[26:27]
	v_div_fmas_f64 v[14:15], v[14:15], v[16:17], v[28:29]
	v_div_fixup_f64 v[16:17], v[14:15], v[20:21], v[18:19]
	v_fma_f64 v[14:15], v[18:19], v[16:17], v[20:21]
	v_div_scale_f64 v[26:27], s[10:11], v[14:15], v[14:15], 1.0
	v_rcp_f64_e32 v[28:29], v[26:27]
	v_fma_f64 v[30:31], -v[26:27], v[28:29], 1.0
	v_fmac_f64_e32 v[28:29], v[28:29], v[30:31]
	v_fma_f64 v[30:31], -v[26:27], v[28:29], 1.0
	v_fmac_f64_e32 v[28:29], v[28:29], v[30:31]
	v_div_scale_f64 v[30:31], vcc, 1.0, v[14:15], 1.0
	v_mul_f64 v[32:33], v[30:31], v[28:29]
	v_fma_f64 v[26:27], -v[26:27], v[32:33], v[30:31]
	s_nop 1
	v_div_fmas_f64 v[26:27], v[26:27], v[28:29], v[32:33]
	v_div_fixup_f64 v[26:27], v[26:27], v[14:15], 1.0
	v_fma_f64 v[14:15], v[16:17], v[22:23], v[24:25]
	v_fma_f64 v[16:17], v[16:17], v[24:25], -v[22:23]
	v_mul_f64 v[14:15], v[14:15], v[26:27]
	v_mul_f64 v[16:17], v[16:17], v[26:27]
	s_andn2_b64 vcc, exec, s[8:9]
	s_cbranch_vccz .LBB203_123
	s_branch .LBB203_124
.LBB203_122:
                                        ; implicit-def: $vgpr16_vgpr17
.LBB203_123:
	v_div_scale_f64 v[14:15], s[8:9], v[18:19], v[18:19], v[20:21]
	v_rcp_f64_e32 v[16:17], v[14:15]
	v_div_scale_f64 v[26:27], vcc, v[20:21], v[18:19], v[20:21]
	v_fma_f64 v[28:29], -v[14:15], v[16:17], 1.0
	v_fmac_f64_e32 v[16:17], v[16:17], v[28:29]
	v_fma_f64 v[28:29], -v[14:15], v[16:17], 1.0
	v_fmac_f64_e32 v[16:17], v[16:17], v[28:29]
	v_mul_f64 v[28:29], v[26:27], v[16:17]
	v_fma_f64 v[14:15], -v[14:15], v[28:29], v[26:27]
	v_div_fmas_f64 v[14:15], v[14:15], v[16:17], v[28:29]
	v_div_fixup_f64 v[16:17], v[14:15], v[18:19], v[20:21]
	v_fmac_f64_e32 v[18:19], v[20:21], v[16:17]
	v_div_scale_f64 v[14:15], s[8:9], v[18:19], v[18:19], 1.0
	v_rcp_f64_e32 v[20:21], v[14:15]
	v_fma_f64 v[26:27], -v[14:15], v[20:21], 1.0
	v_fmac_f64_e32 v[20:21], v[20:21], v[26:27]
	v_fma_f64 v[26:27], -v[14:15], v[20:21], 1.0
	v_fmac_f64_e32 v[20:21], v[20:21], v[26:27]
	v_div_scale_f64 v[26:27], vcc, 1.0, v[18:19], 1.0
	v_mul_f64 v[28:29], v[26:27], v[20:21]
	v_fma_f64 v[14:15], -v[14:15], v[28:29], v[26:27]
	s_nop 1
	v_div_fmas_f64 v[14:15], v[14:15], v[20:21], v[28:29]
	v_div_fixup_f64 v[18:19], v[14:15], v[18:19], 1.0
	v_fma_f64 v[14:15], v[16:17], v[24:25], v[22:23]
	v_fma_f64 v[16:17], -v[16:17], v[22:23], v[24:25]
	v_mul_f64 v[14:15], v[14:15], v[18:19]
	v_mul_f64 v[16:17], v[16:17], v[18:19]
.LBB203_124:
	v_mov_b32_e32 v18, 0
	ds_read_b128 v[22:25], v18 offset:128
	ds_write_b128 v1, v[14:17] offset:64
	ds_read_b128 v[26:29], v18 offset:144
	ds_read_b128 v[18:21], v18 offset:160
	s_mov_b64 s[8:9], 0
	s_waitcnt lgkmcnt(3)
	v_mul_f64 v[30:31], v[8:9], v[24:25]
	v_mul_f64 v[24:25], v[6:7], v[24:25]
	v_fma_f64 v[30:31], v[6:7], v[22:23], -v[30:31]
	v_fmac_f64_e32 v[24:25], v[8:9], v[22:23]
	s_waitcnt lgkmcnt(1)
	v_mul_f64 v[22:23], v[16:17], v[28:29]
	v_add_f64 v[10:11], v[10:11], -v[30:31]
	v_add_f64 v[12:13], v[12:13], -v[24:25]
	v_fma_f64 v[22:23], v[14:15], v[26:27], -v[22:23]
	v_mul_f64 v[24:25], v[14:15], v[28:29]
	v_fmac_f64_e32 v[24:25], v[16:17], v[26:27]
	v_add_f64 v[10:11], v[10:11], -v[22:23]
	s_waitcnt lgkmcnt(0)
	v_xor_b32_e32 v22, 0x80000000, v19
	v_cmp_gt_f64_e32 vcc, 0, v[18:19]
	v_add_f64 v[12:13], v[12:13], -v[24:25]
	v_cndmask_b32_e32 v23, v19, v22, vcc
	v_xor_b32_e32 v24, 0x80000000, v21
	v_cmp_gt_f64_e32 vcc, 0, v[20:21]
	v_mov_b32_e32 v22, v18
	v_cndmask_b32_e32 v25, v21, v24, vcc
	v_mov_b32_e32 v24, v20
	v_cmp_ngt_f64_e32 vcc, v[22:23], v[24:25]
	s_cbranch_vccz .LBB203_126
; %bb.125:
	v_div_scale_f64 v[22:23], s[10:11], v[20:21], v[20:21], v[18:19]
	v_rcp_f64_e32 v[24:25], v[22:23]
	v_div_scale_f64 v[26:27], vcc, v[18:19], v[20:21], v[18:19]
	v_fma_f64 v[28:29], -v[22:23], v[24:25], 1.0
	v_fmac_f64_e32 v[24:25], v[24:25], v[28:29]
	v_fma_f64 v[28:29], -v[22:23], v[24:25], 1.0
	v_fmac_f64_e32 v[24:25], v[24:25], v[28:29]
	v_mul_f64 v[28:29], v[26:27], v[24:25]
	v_fma_f64 v[22:23], -v[22:23], v[28:29], v[26:27]
	v_div_fmas_f64 v[22:23], v[22:23], v[24:25], v[28:29]
	v_div_fixup_f64 v[24:25], v[22:23], v[20:21], v[18:19]
	v_fma_f64 v[22:23], v[18:19], v[24:25], v[20:21]
	v_div_scale_f64 v[26:27], s[10:11], v[22:23], v[22:23], 1.0
	v_rcp_f64_e32 v[28:29], v[26:27]
	v_fma_f64 v[30:31], -v[26:27], v[28:29], 1.0
	v_fmac_f64_e32 v[28:29], v[28:29], v[30:31]
	v_fma_f64 v[30:31], -v[26:27], v[28:29], 1.0
	v_fmac_f64_e32 v[28:29], v[28:29], v[30:31]
	v_div_scale_f64 v[30:31], vcc, 1.0, v[22:23], 1.0
	v_mul_f64 v[32:33], v[30:31], v[28:29]
	v_fma_f64 v[26:27], -v[26:27], v[32:33], v[30:31]
	s_nop 1
	v_div_fmas_f64 v[26:27], v[26:27], v[28:29], v[32:33]
	v_div_fixup_f64 v[26:27], v[26:27], v[22:23], 1.0
	v_fma_f64 v[22:23], v[24:25], v[10:11], v[12:13]
	v_fma_f64 v[24:25], v[24:25], v[12:13], -v[10:11]
	v_mul_f64 v[22:23], v[22:23], v[26:27]
	v_mul_f64 v[24:25], v[24:25], v[26:27]
	s_andn2_b64 vcc, exec, s[8:9]
	s_cbranch_vccz .LBB203_127
	s_branch .LBB203_128
.LBB203_126:
                                        ; implicit-def: $vgpr24_vgpr25
.LBB203_127:
	v_div_scale_f64 v[22:23], s[8:9], v[18:19], v[18:19], v[20:21]
	v_rcp_f64_e32 v[24:25], v[22:23]
	v_div_scale_f64 v[26:27], vcc, v[20:21], v[18:19], v[20:21]
	v_fma_f64 v[28:29], -v[22:23], v[24:25], 1.0
	v_fmac_f64_e32 v[24:25], v[24:25], v[28:29]
	v_fma_f64 v[28:29], -v[22:23], v[24:25], 1.0
	v_fmac_f64_e32 v[24:25], v[24:25], v[28:29]
	v_mul_f64 v[28:29], v[26:27], v[24:25]
	v_fma_f64 v[22:23], -v[22:23], v[28:29], v[26:27]
	v_div_fmas_f64 v[22:23], v[22:23], v[24:25], v[28:29]
	v_div_fixup_f64 v[24:25], v[22:23], v[18:19], v[20:21]
	v_fmac_f64_e32 v[18:19], v[20:21], v[24:25]
	v_div_scale_f64 v[20:21], s[8:9], v[18:19], v[18:19], 1.0
	v_rcp_f64_e32 v[22:23], v[20:21]
	v_fma_f64 v[26:27], -v[20:21], v[22:23], 1.0
	v_fmac_f64_e32 v[22:23], v[22:23], v[26:27]
	v_fma_f64 v[26:27], -v[20:21], v[22:23], 1.0
	v_fmac_f64_e32 v[22:23], v[22:23], v[26:27]
	v_div_scale_f64 v[26:27], vcc, 1.0, v[18:19], 1.0
	v_mul_f64 v[28:29], v[26:27], v[22:23]
	v_fma_f64 v[20:21], -v[20:21], v[28:29], v[26:27]
	s_nop 1
	v_div_fmas_f64 v[20:21], v[20:21], v[22:23], v[28:29]
	v_div_fixup_f64 v[18:19], v[20:21], v[18:19], 1.0
	v_fma_f64 v[20:21], v[24:25], v[12:13], v[10:11]
	v_fma_f64 v[10:11], -v[24:25], v[10:11], v[12:13]
	v_mul_f64 v[22:23], v[20:21], v[18:19]
	v_mul_f64 v[24:25], v[10:11], v[18:19]
.LBB203_128:
	v_mov_b32_e32 v10, 0
	ds_read_b128 v[18:21], v10 offset:192
	ds_write_b128 v1, v[22:25] offset:128
	ds_read_b128 v[26:29], v10 offset:208
	ds_read_b128 v[30:33], v10 offset:224
	;; [unrolled: 1-line block ×3, first 2 shown]
	s_mov_b64 s[8:9], 0
	s_waitcnt lgkmcnt(4)
	v_mul_f64 v[34:35], v[8:9], v[20:21]
	v_fma_f64 v[34:35], v[6:7], v[18:19], -v[34:35]
	v_mul_f64 v[6:7], v[6:7], v[20:21]
	v_fmac_f64_e32 v[6:7], v[8:9], v[18:19]
	v_add_f64 v[4:5], v[4:5], -v[6:7]
	s_waitcnt lgkmcnt(2)
	v_mul_f64 v[6:7], v[16:17], v[28:29]
	v_add_f64 v[2:3], v[2:3], -v[34:35]
	v_fma_f64 v[6:7], v[14:15], v[26:27], -v[6:7]
	v_mul_f64 v[8:9], v[14:15], v[28:29]
	v_fmac_f64_e32 v[8:9], v[16:17], v[26:27]
	v_add_f64 v[2:3], v[2:3], -v[6:7]
	s_waitcnt lgkmcnt(1)
	v_mul_f64 v[6:7], v[24:25], v[32:33]
	v_add_f64 v[4:5], v[4:5], -v[8:9]
	v_fma_f64 v[6:7], v[22:23], v[30:31], -v[6:7]
	v_mul_f64 v[8:9], v[22:23], v[32:33]
	v_fmac_f64_e32 v[8:9], v[24:25], v[30:31]
	v_add_f64 v[6:7], v[2:3], -v[6:7]
	s_waitcnt lgkmcnt(0)
	v_xor_b32_e32 v2, 0x80000000, v11
	v_cmp_gt_f64_e32 vcc, 0, v[10:11]
	v_add_f64 v[8:9], v[4:5], -v[8:9]
	v_cndmask_b32_e32 v3, v11, v2, vcc
	v_xor_b32_e32 v4, 0x80000000, v13
	v_cmp_gt_f64_e32 vcc, 0, v[12:13]
	v_mov_b32_e32 v2, v10
	v_cndmask_b32_e32 v5, v13, v4, vcc
	v_mov_b32_e32 v4, v12
	v_cmp_ngt_f64_e32 vcc, v[2:3], v[4:5]
	s_cbranch_vccz .LBB203_130
; %bb.129:
	v_div_scale_f64 v[2:3], s[10:11], v[12:13], v[12:13], v[10:11]
	v_rcp_f64_e32 v[4:5], v[2:3]
	v_div_scale_f64 v[14:15], vcc, v[10:11], v[12:13], v[10:11]
	v_fma_f64 v[16:17], -v[2:3], v[4:5], 1.0
	v_fmac_f64_e32 v[4:5], v[4:5], v[16:17]
	v_fma_f64 v[16:17], -v[2:3], v[4:5], 1.0
	v_fmac_f64_e32 v[4:5], v[4:5], v[16:17]
	v_mul_f64 v[16:17], v[14:15], v[4:5]
	v_fma_f64 v[2:3], -v[2:3], v[16:17], v[14:15]
	v_div_fmas_f64 v[2:3], v[2:3], v[4:5], v[16:17]
	v_div_fixup_f64 v[4:5], v[2:3], v[12:13], v[10:11]
	v_fma_f64 v[2:3], v[10:11], v[4:5], v[12:13]
	v_div_scale_f64 v[14:15], s[10:11], v[2:3], v[2:3], 1.0
	v_rcp_f64_e32 v[16:17], v[14:15]
	v_fma_f64 v[18:19], -v[14:15], v[16:17], 1.0
	v_fmac_f64_e32 v[16:17], v[16:17], v[18:19]
	v_fma_f64 v[18:19], -v[14:15], v[16:17], 1.0
	v_fmac_f64_e32 v[16:17], v[16:17], v[18:19]
	v_div_scale_f64 v[18:19], vcc, 1.0, v[2:3], 1.0
	v_mul_f64 v[20:21], v[18:19], v[16:17]
	v_fma_f64 v[14:15], -v[14:15], v[20:21], v[18:19]
	s_nop 1
	v_div_fmas_f64 v[14:15], v[14:15], v[16:17], v[20:21]
	v_div_fixup_f64 v[14:15], v[14:15], v[2:3], 1.0
	v_fma_f64 v[2:3], v[4:5], v[6:7], v[8:9]
	v_fma_f64 v[4:5], v[4:5], v[8:9], -v[6:7]
	v_mul_f64 v[2:3], v[2:3], v[14:15]
	v_mul_f64 v[4:5], v[4:5], v[14:15]
	s_andn2_b64 vcc, exec, s[8:9]
	s_cbranch_vccz .LBB203_131
	s_branch .LBB203_132
.LBB203_130:
                                        ; implicit-def: $vgpr4_vgpr5
.LBB203_131:
	v_div_scale_f64 v[2:3], s[8:9], v[10:11], v[10:11], v[12:13]
	v_rcp_f64_e32 v[4:5], v[2:3]
	v_div_scale_f64 v[14:15], vcc, v[12:13], v[10:11], v[12:13]
	v_fma_f64 v[16:17], -v[2:3], v[4:5], 1.0
	v_fmac_f64_e32 v[4:5], v[4:5], v[16:17]
	v_fma_f64 v[16:17], -v[2:3], v[4:5], 1.0
	v_fmac_f64_e32 v[4:5], v[4:5], v[16:17]
	v_mul_f64 v[16:17], v[14:15], v[4:5]
	v_fma_f64 v[2:3], -v[2:3], v[16:17], v[14:15]
	v_div_fmas_f64 v[2:3], v[2:3], v[4:5], v[16:17]
	v_div_fixup_f64 v[4:5], v[2:3], v[10:11], v[12:13]
	v_fmac_f64_e32 v[10:11], v[12:13], v[4:5]
	v_div_scale_f64 v[2:3], s[8:9], v[10:11], v[10:11], 1.0
	v_rcp_f64_e32 v[12:13], v[2:3]
	v_fma_f64 v[14:15], -v[2:3], v[12:13], 1.0
	v_fmac_f64_e32 v[12:13], v[12:13], v[14:15]
	v_fma_f64 v[14:15], -v[2:3], v[12:13], 1.0
	v_fmac_f64_e32 v[12:13], v[12:13], v[14:15]
	v_div_scale_f64 v[14:15], vcc, 1.0, v[10:11], 1.0
	v_mul_f64 v[16:17], v[14:15], v[12:13]
	v_fma_f64 v[2:3], -v[2:3], v[16:17], v[14:15]
	s_nop 1
	v_div_fmas_f64 v[2:3], v[2:3], v[12:13], v[16:17]
	v_div_fixup_f64 v[10:11], v[2:3], v[10:11], 1.0
	v_fma_f64 v[2:3], v[4:5], v[8:9], v[6:7]
	v_fma_f64 v[4:5], -v[4:5], v[6:7], v[8:9]
	v_mul_f64 v[2:3], v[2:3], v[10:11]
	v_mul_f64 v[4:5], v[4:5], v[10:11]
.LBB203_132:
	s_mov_b32 s1, 4
	ds_write_b128 v1, v[2:5] offset:192
.LBB203_133:
	s_cmp_ge_i32 s1, s34
	s_cbranch_scc1 .LBB203_143
; %bb.134:
	v_mov_b32_e32 v1, 0x100
	v_lshl_or_b32 v1, v0, 4, v1
	s_lshl_b32 s10, s1, 6
	v_lshlrev_b32_e32 v14, 4, v0
	s_branch .LBB203_136
.LBB203_135:                            ;   in Loop: Header=BB203_136 Depth=1
	s_add_i32 s1, s1, 1
	s_add_i32 s10, s10, 64
	s_cmp_ge_i32 s1, s34
	ds_write_b128 v15, v[10:13]
	s_cbranch_scc1 .LBB203_143
.LBB203_136:                            ; =>This Loop Header: Depth=1
                                        ;     Child Loop BB203_138 Depth 2
	v_lshl_or_b32 v6, s1, 6, v14
	ds_read_b128 v[2:5], v6 offset:256
	s_cmp_eq_u32 s1, 0
	s_cbranch_scc1 .LBB203_139
; %bb.137:                              ;   in Loop: Header=BB203_136 Depth=1
	s_mov_b32 s8, 0
	s_mov_b32 s9, s10
	v_mov_b32_e32 v7, v1
.LBB203_138:                            ;   Parent Loop BB203_136 Depth=1
                                        ; =>  This Inner Loop Header: Depth=2
	v_mov_b32_e32 v12, s9
	ds_read_b128 v[8:11], v7
	ds_read_b128 v[16:19], v12
	s_add_i32 s8, s8, 1
	s_add_i32 s9, s9, 16
	v_add_u32_e32 v7, 64, v7
	s_cmp_ge_u32 s8, s1
	s_waitcnt lgkmcnt(0)
	v_mul_f64 v[12:13], v[18:19], v[10:11]
	v_mul_f64 v[10:11], v[16:17], v[10:11]
	v_fma_f64 v[12:13], v[16:17], v[8:9], -v[12:13]
	v_fmac_f64_e32 v[10:11], v[18:19], v[8:9]
	v_add_f64 v[2:3], v[2:3], -v[12:13]
	v_add_f64 v[4:5], v[4:5], -v[10:11]
	s_cbranch_scc0 .LBB203_138
.LBB203_139:                            ;   in Loop: Header=BB203_136 Depth=1
	s_mul_i32 s8, s1, 0x50
	v_add_u32_e32 v15, 0x100, v6
	v_mov_b32_e32 v6, s8
	ds_read_b128 v[6:9], v6
	s_waitcnt lgkmcnt(0)
	v_xor_b32_e32 v11, 0x80000000, v7
	v_cmp_gt_f64_e32 vcc, 0, v[6:7]
	v_xor_b32_e32 v12, 0x80000000, v9
	v_cndmask_b32_e32 v11, v7, v11, vcc
	v_cmp_gt_f64_e32 vcc, 0, v[8:9]
	v_mov_b32_e32 v10, v6
	v_cndmask_b32_e32 v13, v9, v12, vcc
	v_mov_b32_e32 v12, v8
	v_cmp_ngt_f64_e32 vcc, v[10:11], v[12:13]
	s_cbranch_vccz .LBB203_141
; %bb.140:                              ;   in Loop: Header=BB203_136 Depth=1
	v_div_scale_f64 v[10:11], s[8:9], v[8:9], v[8:9], v[6:7]
	v_rcp_f64_e32 v[12:13], v[10:11]
	v_div_scale_f64 v[16:17], vcc, v[6:7], v[8:9], v[6:7]
	v_fma_f64 v[18:19], -v[10:11], v[12:13], 1.0
	v_fmac_f64_e32 v[12:13], v[12:13], v[18:19]
	v_fma_f64 v[18:19], -v[10:11], v[12:13], 1.0
	v_fmac_f64_e32 v[12:13], v[12:13], v[18:19]
	v_mul_f64 v[18:19], v[16:17], v[12:13]
	v_fma_f64 v[10:11], -v[10:11], v[18:19], v[16:17]
	v_div_fmas_f64 v[10:11], v[10:11], v[12:13], v[18:19]
	v_div_fixup_f64 v[12:13], v[10:11], v[8:9], v[6:7]
	v_fma_f64 v[10:11], v[6:7], v[12:13], v[8:9]
	v_div_scale_f64 v[16:17], s[8:9], v[10:11], v[10:11], 1.0
	v_rcp_f64_e32 v[18:19], v[16:17]
	v_fma_f64 v[20:21], -v[16:17], v[18:19], 1.0
	v_fmac_f64_e32 v[18:19], v[18:19], v[20:21]
	v_fma_f64 v[20:21], -v[16:17], v[18:19], 1.0
	v_fmac_f64_e32 v[18:19], v[18:19], v[20:21]
	v_div_scale_f64 v[20:21], vcc, 1.0, v[10:11], 1.0
	v_mul_f64 v[22:23], v[20:21], v[18:19]
	v_fma_f64 v[16:17], -v[16:17], v[22:23], v[20:21]
	s_nop 1
	v_div_fmas_f64 v[16:17], v[16:17], v[18:19], v[22:23]
	v_div_fixup_f64 v[16:17], v[16:17], v[10:11], 1.0
	v_fma_f64 v[10:11], v[2:3], v[12:13], v[4:5]
	v_fma_f64 v[12:13], v[4:5], v[12:13], -v[2:3]
	v_mul_f64 v[10:11], v[10:11], v[16:17]
	v_mul_f64 v[12:13], v[12:13], v[16:17]
	s_cbranch_execnz .LBB203_135
	s_branch .LBB203_142
.LBB203_141:                            ;   in Loop: Header=BB203_136 Depth=1
                                        ; implicit-def: $vgpr10_vgpr11
.LBB203_142:                            ;   in Loop: Header=BB203_136 Depth=1
	v_div_scale_f64 v[10:11], s[8:9], v[6:7], v[6:7], v[8:9]
	v_rcp_f64_e32 v[12:13], v[10:11]
	v_div_scale_f64 v[16:17], vcc, v[8:9], v[6:7], v[8:9]
	v_fma_f64 v[18:19], -v[10:11], v[12:13], 1.0
	v_fmac_f64_e32 v[12:13], v[12:13], v[18:19]
	v_fma_f64 v[18:19], -v[10:11], v[12:13], 1.0
	v_fmac_f64_e32 v[12:13], v[12:13], v[18:19]
	v_mul_f64 v[18:19], v[16:17], v[12:13]
	v_fma_f64 v[10:11], -v[10:11], v[18:19], v[16:17]
	v_div_fmas_f64 v[10:11], v[10:11], v[12:13], v[18:19]
	v_div_fixup_f64 v[12:13], v[10:11], v[6:7], v[8:9]
	v_fmac_f64_e32 v[6:7], v[8:9], v[12:13]
	v_div_scale_f64 v[8:9], s[8:9], v[6:7], v[6:7], 1.0
	v_rcp_f64_e32 v[10:11], v[8:9]
	v_fma_f64 v[16:17], -v[8:9], v[10:11], 1.0
	v_fmac_f64_e32 v[10:11], v[10:11], v[16:17]
	v_fma_f64 v[16:17], -v[8:9], v[10:11], 1.0
	v_fmac_f64_e32 v[10:11], v[10:11], v[16:17]
	v_div_scale_f64 v[16:17], vcc, 1.0, v[6:7], 1.0
	v_mul_f64 v[18:19], v[16:17], v[10:11]
	v_fma_f64 v[8:9], -v[8:9], v[18:19], v[16:17]
	s_nop 1
	v_div_fmas_f64 v[8:9], v[8:9], v[10:11], v[18:19]
	v_div_fixup_f64 v[6:7], v[8:9], v[6:7], 1.0
	v_fma_f64 v[8:9], v[4:5], v[12:13], v[2:3]
	v_fma_f64 v[2:3], -v[2:3], v[12:13], v[4:5]
	v_mul_f64 v[10:11], v[8:9], v[6:7]
	v_mul_f64 v[12:13], v[2:3], v[6:7]
	s_branch .LBB203_135
.LBB203_143:
	s_and_saveexec_b64 s[8:9], s[14:15]
	s_cbranch_execz .LBB203_150
; %bb.144:
	s_ashr_i32 s1, s0, 31
	s_mov_b32 s16, 0
	s_cmp_lt_u32 s33, 4
	v_lshlrev_b32_e32 v4, 4, v0
	s_cbranch_scc1 .LBB203_147
; %bb.145:
	v_mov_b32_e32 v1, s25
	v_add_co_u32_e32 v2, vcc, s24, v4
	v_addc_co_u32_e32 v3, vcc, 0, v1, vcc
	v_mov_b32_e32 v1, 0x100
	s_mul_hi_i32 s19, s0, 48
	s_lshl_b64 s[8:9], s[0:1], 6
	s_lshl_b64 s[10:11], s[0:1], 5
	;; [unrolled: 1-line block ×3, first 2 shown]
	s_and_b32 s16, s33, 0x7ffffffc
	v_lshl_or_b32 v0, v0, 4, v1
	s_mul_i32 s17, s0, 48
	s_mov_b32 s18, 0
	v_mov_b32_e32 v1, s15
	v_mov_b32_e32 v5, s11
	;; [unrolled: 1-line block ×4, first 2 shown]
.LBB203_146:                            ; =>This Inner Loop Header: Depth=1
	v_add_co_u32_e32 v24, vcc, s14, v2
	v_addc_co_u32_e32 v25, vcc, v3, v1, vcc
	ds_read2_b64 v[8:11], v0 offset1:1
	ds_read2_b64 v[12:15], v0 offset0:8 offset1:9
	ds_read2_b64 v[16:19], v0 offset0:16 offset1:17
	;; [unrolled: 1-line block ×3, first 2 shown]
	v_add_co_u32_e32 v26, vcc, s10, v2
	v_addc_co_u32_e32 v27, vcc, v3, v5, vcc
	v_add_co_u32_e32 v28, vcc, s17, v2
	v_addc_co_u32_e32 v29, vcc, v3, v6, vcc
	s_add_i32 s18, s18, 4
	s_waitcnt lgkmcnt(3)
	global_store_dwordx4 v[2:3], v[8:11], off
	s_waitcnt lgkmcnt(2)
	global_store_dwordx4 v[24:25], v[12:15], off
	;; [unrolled: 2-line block ×4, first 2 shown]
	v_add_co_u32_e32 v2, vcc, s8, v2
	v_add_u32_e32 v0, 0x100, v0
	s_cmp_lg_u32 s16, s18
	v_addc_co_u32_e32 v3, vcc, v3, v7, vcc
	s_cbranch_scc1 .LBB203_146
.LBB203_147:
	s_and_b32 s8, s33, 3
	s_cmp_eq_u32 s8, 0
	s_cbranch_scc1 .LBB203_150
; %bb.148:
	s_mul_hi_i32 s11, s0, s16
	s_mul_i32 s10, s0, s16
	s_lshl_b64 s[10:11], s[10:11], 4
	s_add_u32 s9, s12, s10
	s_addc_u32 s10, s13, s11
	s_add_u32 s6, s9, s6
	s_addc_u32 s7, s10, s7
	;; [unrolled: 2-line block ×4, first 2 shown]
	v_mov_b32_e32 v1, s3
	v_add_co_u32_e32 v0, vcc, s2, v4
	s_lshl_b64 s[0:1], s[0:1], 4
	v_lshl_or_b32 v2, s16, 6, v4
	v_addc_co_u32_e32 v1, vcc, 0, v1, vcc
	v_add_u32_e32 v2, 0x100, v2
	v_mov_b32_e32 v3, s1
.LBB203_149:                            ; =>This Inner Loop Header: Depth=1
	ds_read2_b64 v[4:7], v2 offset1:1
	s_add_i32 s8, s8, -1
	v_add_u32_e32 v2, 64, v2
	s_cmp_lg_u32 s8, 0
	s_waitcnt lgkmcnt(0)
	global_store_dwordx4 v[0:1], v[4:7], off
	v_add_co_u32_e32 v0, vcc, s0, v0
	v_addc_co_u32_e32 v1, vcc, v1, v3, vcc
	s_cbranch_scc1 .LBB203_149
.LBB203_150:
	s_endpgm
	.section	.rodata,"a",@progbits
	.p2align	6, 0x0
	.amdhsa_kernel _ZL31rocblas_trsm_small_right_deviceI19rocblas_complex_numIdES1_PKS1_PS1_Li4EEv13rocblas_fill_18rocblas_operation_17rocblas_diagonal_iiT0_T1_lilT2_lili
		.amdhsa_group_segment_fixed_size 512
		.amdhsa_private_segment_fixed_size 0
		.amdhsa_kernarg_size 368
		.amdhsa_user_sgpr_count 6
		.amdhsa_user_sgpr_private_segment_buffer 1
		.amdhsa_user_sgpr_dispatch_ptr 0
		.amdhsa_user_sgpr_queue_ptr 0
		.amdhsa_user_sgpr_kernarg_segment_ptr 1
		.amdhsa_user_sgpr_dispatch_id 0
		.amdhsa_user_sgpr_flat_scratch_init 0
		.amdhsa_user_sgpr_kernarg_preload_length 0
		.amdhsa_user_sgpr_kernarg_preload_offset 0
		.amdhsa_user_sgpr_private_segment_size 0
		.amdhsa_uses_dynamic_stack 0
		.amdhsa_system_sgpr_private_segment_wavefront_offset 0
		.amdhsa_system_sgpr_workgroup_id_x 1
		.amdhsa_system_sgpr_workgroup_id_y 0
		.amdhsa_system_sgpr_workgroup_id_z 1
		.amdhsa_system_sgpr_workgroup_info 0
		.amdhsa_system_vgpr_workitem_id 0
		.amdhsa_next_free_vgpr 38
		.amdhsa_next_free_sgpr 39
		.amdhsa_accum_offset 40
		.amdhsa_reserve_vcc 1
		.amdhsa_reserve_flat_scratch 0
		.amdhsa_float_round_mode_32 0
		.amdhsa_float_round_mode_16_64 0
		.amdhsa_float_denorm_mode_32 3
		.amdhsa_float_denorm_mode_16_64 3
		.amdhsa_dx10_clamp 1
		.amdhsa_ieee_mode 1
		.amdhsa_fp16_overflow 0
		.amdhsa_tg_split 0
		.amdhsa_exception_fp_ieee_invalid_op 0
		.amdhsa_exception_fp_denorm_src 0
		.amdhsa_exception_fp_ieee_div_zero 0
		.amdhsa_exception_fp_ieee_overflow 0
		.amdhsa_exception_fp_ieee_underflow 0
		.amdhsa_exception_fp_ieee_inexact 0
		.amdhsa_exception_int_div_zero 0
	.end_amdhsa_kernel
	.section	.text._ZL31rocblas_trsm_small_right_deviceI19rocblas_complex_numIdES1_PKS1_PS1_Li4EEv13rocblas_fill_18rocblas_operation_17rocblas_diagonal_iiT0_T1_lilT2_lili,"axG",@progbits,_ZL31rocblas_trsm_small_right_deviceI19rocblas_complex_numIdES1_PKS1_PS1_Li4EEv13rocblas_fill_18rocblas_operation_17rocblas_diagonal_iiT0_T1_lilT2_lili,comdat
.Lfunc_end203:
	.size	_ZL31rocblas_trsm_small_right_deviceI19rocblas_complex_numIdES1_PKS1_PS1_Li4EEv13rocblas_fill_18rocblas_operation_17rocblas_diagonal_iiT0_T1_lilT2_lili, .Lfunc_end203-_ZL31rocblas_trsm_small_right_deviceI19rocblas_complex_numIdES1_PKS1_PS1_Li4EEv13rocblas_fill_18rocblas_operation_17rocblas_diagonal_iiT0_T1_lilT2_lili
                                        ; -- End function
	.section	.AMDGPU.csdata,"",@progbits
; Kernel info:
; codeLenInByte = 14132
; NumSgprs: 43
; NumVgprs: 38
; NumAgprs: 0
; TotalNumVgprs: 38
; ScratchSize: 0
; MemoryBound: 0
; FloatMode: 240
; IeeeMode: 1
; LDSByteSize: 512 bytes/workgroup (compile time only)
; SGPRBlocks: 5
; VGPRBlocks: 4
; NumSGPRsForWavesPerEU: 43
; NumVGPRsForWavesPerEU: 38
; AccumOffset: 40
; Occupancy: 8
; WaveLimiterHint : 0
; COMPUTE_PGM_RSRC2:SCRATCH_EN: 0
; COMPUTE_PGM_RSRC2:USER_SGPR: 6
; COMPUTE_PGM_RSRC2:TRAP_HANDLER: 0
; COMPUTE_PGM_RSRC2:TGID_X_EN: 1
; COMPUTE_PGM_RSRC2:TGID_Y_EN: 0
; COMPUTE_PGM_RSRC2:TGID_Z_EN: 1
; COMPUTE_PGM_RSRC2:TIDIG_COMP_CNT: 0
; COMPUTE_PGM_RSRC3_GFX90A:ACCUM_OFFSET: 9
; COMPUTE_PGM_RSRC3_GFX90A:TG_SPLIT: 0
	.section	.text._ZL38rocblas_trsm_small_left_device_sharedBILi8ELi8ELb0E19rocblas_complex_numIdES1_PKS1_PS1_Ev13rocblas_fill_18rocblas_operation_17rocblas_diagonal_iiT3_T4_lilT5_lili,"axG",@progbits,_ZL38rocblas_trsm_small_left_device_sharedBILi8ELi8ELb0E19rocblas_complex_numIdES1_PKS1_PS1_Ev13rocblas_fill_18rocblas_operation_17rocblas_diagonal_iiT3_T4_lilT5_lili,comdat
	.globl	_ZL38rocblas_trsm_small_left_device_sharedBILi8ELi8ELb0E19rocblas_complex_numIdES1_PKS1_PS1_Ev13rocblas_fill_18rocblas_operation_17rocblas_diagonal_iiT3_T4_lilT5_lili ; -- Begin function _ZL38rocblas_trsm_small_left_device_sharedBILi8ELi8ELb0E19rocblas_complex_numIdES1_PKS1_PS1_Ev13rocblas_fill_18rocblas_operation_17rocblas_diagonal_iiT3_T4_lilT5_lili
	.p2align	8
	.type	_ZL38rocblas_trsm_small_left_device_sharedBILi8ELi8ELb0E19rocblas_complex_numIdES1_PKS1_PS1_Ev13rocblas_fill_18rocblas_operation_17rocblas_diagonal_iiT3_T4_lilT5_lili,@function
_ZL38rocblas_trsm_small_left_device_sharedBILi8ELi8ELb0E19rocblas_complex_numIdES1_PKS1_PS1_Ev13rocblas_fill_18rocblas_operation_17rocblas_diagonal_iiT3_T4_lilT5_lili: ; @_ZL38rocblas_trsm_small_left_device_sharedBILi8ELi8ELb0E19rocblas_complex_numIdES1_PKS1_PS1_Ev13rocblas_fill_18rocblas_operation_17rocblas_diagonal_iiT3_T4_lilT5_lili
; %bb.0:
	s_add_u32 s0, s0, s10
	s_load_dwordx4 s[20:23], s[4:5], 0x4
	s_load_dwordx8 s[12:19], s[4:5], 0x18
	s_load_dwordx4 s[24:27], s[4:5], 0x40
	s_load_dwordx2 s[10:11], s[4:5], 0x50
	s_load_dword s39, s[4:5], 0x70
	s_addc_u32 s1, s1, 0
	s_waitcnt lgkmcnt(0)
	s_min_i32 s38, s22, 8
	s_mov_b32 s40, 0
	s_add_i32 s33, s38, -1
	v_cmp_gt_i32_e32 vcc, s38, v0
	s_and_saveexec_b64 s[28:29], vcc
	s_cbranch_execz .LBB204_15
; %bb.1:
	s_load_dword s30, s[4:5], 0x38
	s_mul_i32 s41, s25, s9
	s_mul_hi_u32 s42, s24, s9
	s_mul_i32 s24, s24, s9
	s_waitcnt lgkmcnt(0)
	s_ashr_i32 s31, s30, 31
	s_cmpk_eq_i32 s20, 0x71
	s_cselect_b64 vcc, -1, 0
	s_cmp_lt_u32 s33, 3
	s_cbranch_scc1 .LBB204_4
; %bb.2:
	s_add_i32 s25, s42, s41
	s_and_b32 s40, s38, -4
	s_lshl_b64 s[6:7], s[24:25], 4
	s_lshl_b64 s[34:35], s[18:19], 4
	s_add_u32 s6, s6, s34
	s_addc_u32 s7, s7, s35
	s_add_u32 s6, s16, s6
	v_lshlrev_b32_e32 v2, 4, v0
	s_addc_u32 s7, s17, s7
	v_mov_b32_e32 v3, s7
	v_add_co_u32_e64 v2, s[6:7], s6, v2
	v_addc_co_u32_e64 v3, s[6:7], 0, v3, s[6:7]
	v_add_co_u32_e64 v2, s[6:7], 8, v2
	s_lshl_b64 s[34:35], s[30:31], 6
	s_lshl_b64 s[36:37], s[30:31], 4
	v_lshlrev_b32_e32 v1, 4, v0
	v_addc_co_u32_e64 v3, s[6:7], 0, v3, s[6:7]
	s_mov_b32 s25, 0
	v_mov_b32_e32 v4, s37
	v_mov_b32_e32 v5, s35
.LBB204_3:                              ; =>This Inner Loop Header: Depth=1
	v_add_co_u32_e64 v18, s[6:7], s36, v2
	v_addc_co_u32_e64 v19, s[6:7], v3, v4, s[6:7]
	v_add_co_u32_e64 v20, s[6:7], s36, v18
	global_load_dwordx4 v[6:9], v[2:3], off offset:-8
	v_addc_co_u32_e64 v21, s[6:7], v19, v4, s[6:7]
	global_load_dwordx4 v[10:13], v[18:19], off offset:-8
	global_load_dwordx4 v[14:17], v[20:21], off offset:-8
	v_add_co_u32_e64 v18, s[6:7], s36, v20
	v_addc_co_u32_e64 v19, s[6:7], v21, v4, s[6:7]
	global_load_dwordx4 v[18:21], v[18:19], off offset:-8
	s_add_i32 s25, s25, 4
	v_add_co_u32_e64 v2, s[6:7], s34, v2
	s_cmp_eq_u32 s40, s25
	v_addc_co_u32_e64 v3, s[6:7], v3, v5, s[6:7]
	s_waitcnt vmcnt(3)
	v_xor_b32_e32 v22, 0x80000000, v9
	v_cndmask_b32_e32 v9, v9, v22, vcc
	ds_write_b128 v1, v[6:9]
	s_waitcnt vmcnt(1)
	v_xor_b32_e32 v6, 0x80000000, v17
	v_xor_b32_e32 v22, 0x80000000, v13
	v_cndmask_b32_e32 v17, v17, v6, vcc
	v_cndmask_b32_e32 v13, v13, v22, vcc
	ds_write_b128 v1, v[10:13] offset:128
	s_waitcnt vmcnt(0)
	v_xor_b32_e32 v6, 0x80000000, v21
	v_cndmask_b32_e32 v21, v21, v6, vcc
	ds_write_b128 v1, v[14:17] offset:256
	ds_write_b128 v1, v[18:21] offset:384
	v_add_u32_e32 v1, 0x200, v1
	s_cbranch_scc0 .LBB204_3
.LBB204_4:
	s_and_b32 s34, s38, 3
	s_cmp_eq_u32 s34, 0
	s_cbranch_scc1 .LBB204_7
; %bb.5:
	s_add_i32 s25, s42, s41
	s_lshl_b64 s[6:7], s[24:25], 4
	s_mul_i32 s24, s31, s40
	s_mul_hi_u32 s25, s30, s40
	s_add_i32 s25, s25, s24
	s_mul_i32 s24, s30, s40
	s_lshl_b64 s[24:25], s[24:25], 4
	s_add_u32 s24, s6, s24
	s_addc_u32 s25, s7, s25
	s_lshl_b64 s[6:7], s[18:19], 4
	s_add_u32 s6, s24, s6
	s_addc_u32 s7, s25, s7
	s_add_u32 s6, s16, s6
	v_lshlrev_b32_e32 v2, 4, v0
	s_addc_u32 s7, s17, s7
	v_lshl_or_b32 v1, s40, 7, v2
	v_mov_b32_e32 v3, s7
	v_add_co_u32_e64 v2, s[6:7], s6, v2
	v_addc_co_u32_e64 v3, s[6:7], 0, v3, s[6:7]
	v_add_co_u32_e64 v2, s[6:7], 8, v2
	s_lshl_b64 s[16:17], s[30:31], 4
	v_addc_co_u32_e64 v3, s[6:7], 0, v3, s[6:7]
	v_mov_b32_e32 v4, s17
.LBB204_6:                              ; =>This Inner Loop Header: Depth=1
	global_load_dwordx4 v[6:9], v[2:3], off offset:-8
	v_add_co_u32_e64 v2, s[6:7], s16, v2
	s_add_i32 s34, s34, -1
	v_addc_co_u32_e64 v3, s[6:7], v3, v4, s[6:7]
	s_cmp_lg_u32 s34, 0
	s_waitcnt vmcnt(0)
	v_xor_b32_e32 v5, 0x80000000, v9
	v_cndmask_b32_e32 v9, v9, v5, vcc
	ds_write_b128 v1, v[6:9]
	v_add_u32_e32 v1, 0x80, v1
	s_cbranch_scc1 .LBB204_6
.LBB204_7:
	v_mul_u32_u24_e32 v1, 9, v0
	s_cmpk_lg_i32 s21, 0x84
	v_lshlrev_b32_e32 v1, 4, v1
	s_cbranch_scc0 .LBB204_13
; %bb.8:
	ds_read_b128 v[2:5], v1
	s_waitcnt lgkmcnt(0)
	v_xor_b32_e32 v7, 0x80000000, v3
	v_cmp_gt_f64_e32 vcc, 0, v[2:3]
	v_xor_b32_e32 v8, 0x80000000, v5
	v_cndmask_b32_e32 v7, v3, v7, vcc
	v_cmp_gt_f64_e32 vcc, 0, v[4:5]
	v_mov_b32_e32 v6, v2
	v_cndmask_b32_e32 v9, v5, v8, vcc
	v_mov_b32_e32 v8, v4
	v_cmp_ngt_f64_e32 vcc, v[6:7], v[8:9]
                                        ; implicit-def: $vgpr8_vgpr9
	s_and_saveexec_b64 s[6:7], vcc
	s_xor_b64 s[6:7], exec, s[6:7]
	s_cbranch_execz .LBB204_10
; %bb.9:
	v_div_scale_f64 v[6:7], s[16:17], v[4:5], v[4:5], v[2:3]
	v_rcp_f64_e32 v[8:9], v[6:7]
	v_div_scale_f64 v[10:11], vcc, v[2:3], v[4:5], v[2:3]
	v_fma_f64 v[12:13], -v[6:7], v[8:9], 1.0
	v_fmac_f64_e32 v[8:9], v[8:9], v[12:13]
	v_fma_f64 v[12:13], -v[6:7], v[8:9], 1.0
	v_fmac_f64_e32 v[8:9], v[8:9], v[12:13]
	v_mul_f64 v[12:13], v[10:11], v[8:9]
	v_fma_f64 v[6:7], -v[6:7], v[12:13], v[10:11]
	v_div_fmas_f64 v[6:7], v[6:7], v[8:9], v[12:13]
	v_div_fixup_f64 v[8:9], v[6:7], v[4:5], v[2:3]
	v_fmac_f64_e32 v[4:5], v[2:3], v[8:9]
	v_div_scale_f64 v[2:3], s[16:17], v[4:5], v[4:5], 1.0
	v_rcp_f64_e32 v[6:7], v[2:3]
	v_fma_f64 v[10:11], -v[2:3], v[6:7], 1.0
	v_fmac_f64_e32 v[6:7], v[6:7], v[10:11]
	v_fma_f64 v[10:11], -v[2:3], v[6:7], 1.0
	v_fmac_f64_e32 v[6:7], v[6:7], v[10:11]
	v_div_scale_f64 v[10:11], vcc, 1.0, v[4:5], 1.0
	v_mul_f64 v[12:13], v[10:11], v[6:7]
	v_fma_f64 v[2:3], -v[2:3], v[12:13], v[10:11]
	s_nop 1
	v_div_fmas_f64 v[2:3], v[2:3], v[6:7], v[12:13]
	v_div_fixup_f64 v[2:3], v[2:3], v[4:5], 1.0
	v_add_f64 v[4:5], v[8:9], 0
	v_mul_f64 v[6:7], v[4:5], v[2:3]
	v_fma_f64 v[4:5], v[8:9], 0, -1.0
	v_mul_f64 v[8:9], v[4:5], v[2:3]
                                        ; implicit-def: $vgpr2_vgpr3
.LBB204_10:
	s_andn2_saveexec_b64 s[6:7], s[6:7]
	s_cbranch_execz .LBB204_12
; %bb.11:
	v_div_scale_f64 v[6:7], s[16:17], v[2:3], v[2:3], v[4:5]
	v_rcp_f64_e32 v[8:9], v[6:7]
	v_div_scale_f64 v[10:11], vcc, v[4:5], v[2:3], v[4:5]
	v_fma_f64 v[12:13], -v[6:7], v[8:9], 1.0
	v_fmac_f64_e32 v[8:9], v[8:9], v[12:13]
	v_fma_f64 v[12:13], -v[6:7], v[8:9], 1.0
	v_fmac_f64_e32 v[8:9], v[8:9], v[12:13]
	v_mul_f64 v[12:13], v[10:11], v[8:9]
	v_fma_f64 v[6:7], -v[6:7], v[12:13], v[10:11]
	v_div_fmas_f64 v[6:7], v[6:7], v[8:9], v[12:13]
	v_div_fixup_f64 v[8:9], v[6:7], v[2:3], v[4:5]
	v_fmac_f64_e32 v[2:3], v[4:5], v[8:9]
	v_div_scale_f64 v[4:5], s[16:17], v[2:3], v[2:3], 1.0
	v_rcp_f64_e32 v[6:7], v[4:5]
	v_fma_f64 v[10:11], -v[4:5], v[6:7], 1.0
	v_fmac_f64_e32 v[6:7], v[6:7], v[10:11]
	v_fma_f64 v[10:11], -v[4:5], v[6:7], 1.0
	v_fmac_f64_e32 v[6:7], v[6:7], v[10:11]
	v_div_scale_f64 v[10:11], vcc, 1.0, v[2:3], 1.0
	v_mul_f64 v[12:13], v[10:11], v[6:7]
	v_fma_f64 v[4:5], -v[4:5], v[12:13], v[10:11]
	s_nop 1
	v_div_fmas_f64 v[4:5], v[4:5], v[6:7], v[12:13]
	v_div_fixup_f64 v[2:3], v[4:5], v[2:3], 1.0
	v_fma_f64 v[4:5], v[8:9], 0, 1.0
	v_mul_f64 v[6:7], v[4:5], v[2:3]
	v_add_f64 v[4:5], -v[8:9], 0
	v_mul_f64 v[8:9], v[4:5], v[2:3]
.LBB204_12:
	s_or_b64 exec, exec, s[6:7]
	s_branch .LBB204_14
.LBB204_13:
	v_mov_b32_e32 v6, 0
	v_mov_b32_e32 v7, 0x3ff00000
	v_pk_mov_b32 v[8:9], 0, 0
.LBB204_14:
	ds_write_b128 v1, v[6:9]
.LBB204_15:
	s_or_b64 exec, exec, s[28:29]
	s_load_dwordx2 s[6:7], s[4:5], 0x60
	s_load_dword s16, s[4:5], 0x58
	s_waitcnt lgkmcnt(0)
	s_mul_i32 s5, s9, s7
	s_mul_hi_u32 s7, s9, s6
	s_mul_i32 s4, s9, s6
	s_add_i32 s5, s7, s5
	s_lshl_b64 s[4:5], s[4:5], 4
	s_add_u32 s6, s26, s4
	s_addc_u32 s7, s27, s5
	s_lshl_b64 s[4:5], s[10:11], 4
	s_add_u32 s6, s6, s4
	s_addc_u32 s7, s7, s5
	s_lshl_b32 s4, s8, 3
	s_add_i32 s39, s39, -1
	s_sub_i32 s5, s23, s4
	s_cmp_ge_u32 s8, s39
	s_cselect_b32 s8, s5, 8
	s_mul_hi_i32 s5, s16, s4
	s_mul_i32 s4, s16, s4
	s_lshl_b64 s[4:5], s[4:5], 4
	s_add_u32 s10, s6, s4
	s_addc_u32 s11, s7, s5
	s_cmp_gt_i32 s22, 0
	v_cmp_gt_i32_e32 vcc, s8, v0
	s_cselect_b64 s[4:5], -1, 0
	s_and_b64 s[4:5], vcc, s[4:5]
	s_and_saveexec_b64 s[6:7], s[4:5]
	s_cbranch_execz .LBB204_24
; %bb.16:
	v_mad_i64_i32 v[2:3], s[8:9], s16, v0, 0
	v_lshlrev_b64 v[2:3], 4, v[2:3]
	v_mov_b32_e32 v1, s11
	v_add_co_u32_e32 v2, vcc, s10, v2
	v_addc_co_u32_e32 v3, vcc, v1, v3, vcc
	global_load_dwordx4 v[4:7], v[2:3], off
	v_lshlrev_b32_e32 v1, 4, v0
	s_cmp_eq_u32 s22, 1
	s_waitcnt vmcnt(0)
	v_mul_f64 v[10:11], s[14:15], v[6:7]
	v_mul_f64 v[8:9], s[12:13], v[6:7]
	v_fma_f64 v[6:7], s[12:13], v[4:5], -v[10:11]
	v_fmac_f64_e32 v[8:9], s[14:15], v[4:5]
	ds_write_b128 v1, v[6:9] offset:1024
	s_cbranch_scc1 .LBB204_24
; %bb.17:
	global_load_dwordx4 v[4:7], v[2:3], off offset:16
	v_or_b32_e32 v1, 0x400, v1
	s_cmp_eq_u32 s22, 2
	s_waitcnt vmcnt(0)
	v_mul_f64 v[10:11], s[14:15], v[6:7]
	v_mul_f64 v[8:9], s[12:13], v[6:7]
	v_fma_f64 v[6:7], s[12:13], v[4:5], -v[10:11]
	v_fmac_f64_e32 v[8:9], s[14:15], v[4:5]
	ds_write_b128 v1, v[6:9] offset:128
	s_cbranch_scc1 .LBB204_24
; %bb.18:
	global_load_dwordx4 v[4:7], v[2:3], off offset:32
	s_cmp_eq_u32 s22, 3
	s_waitcnt vmcnt(0)
	v_mul_f64 v[10:11], s[14:15], v[6:7]
	v_mul_f64 v[8:9], s[12:13], v[6:7]
	v_fma_f64 v[6:7], s[12:13], v[4:5], -v[10:11]
	v_fmac_f64_e32 v[8:9], s[14:15], v[4:5]
	ds_write_b128 v1, v[6:9] offset:256
	s_cbranch_scc1 .LBB204_24
; %bb.19:
	global_load_dwordx4 v[4:7], v[2:3], off offset:48
	;; [unrolled: 10-line block ×6, first 2 shown]
	s_waitcnt vmcnt(0)
	v_mul_f64 v[8:9], s[14:15], v[4:5]
	v_mul_f64 v[6:7], s[12:13], v[4:5]
	v_fma_f64 v[4:5], s[12:13], v[2:3], -v[8:9]
	v_fmac_f64_e32 v[6:7], s[14:15], v[2:3]
	ds_write_b128 v1, v[4:7] offset:896
.LBB204_24:
	s_or_b64 exec, exec, s[6:7]
	s_cmpk_eq_i32 s20, 0x6f
	s_mov_b64 s[6:7], -1
	s_waitcnt lgkmcnt(0)
	; wave barrier
	s_waitcnt lgkmcnt(0)
	s_cbranch_scc1 .LBB204_46
; %bb.25:
	v_mov_b32_e32 v1, 0x400
	s_mov_b32 s7, 0
	v_lshl_or_b32 v1, v0, 4, v1
	v_lshlrev_b32_e32 v6, 4, v0
	v_mov_b32_e32 v7, 0
	s_mov_b32 s6, s7
	s_mov_b32 s12, s7
	s_branch .LBB204_27
.LBB204_26:                             ;   in Loop: Header=BB204_27 Depth=1
	s_cmp_ge_i32 s12, s38
	s_cselect_b64 s[8:9], -1, 0
	s_add_i32 s6, s6, 1
	s_cmp_eq_u32 s6, 3
	s_cselect_b64 s[14:15], -1, 0
	s_or_b64 s[8:9], s[8:9], s[14:15]
	s_andn2_b64 vcc, exec, s[8:9]
	s_cbranch_vccz .LBB204_45
.LBB204_27:                             ; =>This Loop Header: Depth=1
                                        ;     Child Loop BB204_30 Depth 2
                                        ;       Child Loop BB204_31 Depth 3
                                        ;       Child Loop BB204_34 Depth 3
                                        ;         Child Loop BB204_35 Depth 4
                                        ;       Child Loop BB204_39 Depth 3
                                        ;         Child Loop BB204_41 Depth 4
	s_lshl_b64 s[8:9], s[6:7], 2
	s_getpc_b64 s[14:15]
	s_add_u32 s14, s14, __const._ZL38rocblas_trsm_small_left_device_sharedBILi8ELi8ELb0E19rocblas_complex_numIdES1_PKS1_PS1_Ev13rocblas_fill_18rocblas_operation_17rocblas_diagonal_iiT3_T4_lilT5_lili.step_sizes@rel32@lo+4
	s_addc_u32 s15, s15, __const._ZL38rocblas_trsm_small_left_device_sharedBILi8ELi8ELb0E19rocblas_complex_numIdES1_PKS1_PS1_Ev13rocblas_fill_18rocblas_operation_17rocblas_diagonal_iiT3_T4_lilT5_lili.step_sizes@rel32@hi+12
	s_add_u32 s8, s8, s14
	s_addc_u32 s9, s9, s15
	s_load_dword s13, s[8:9], 0x0
	s_waitcnt lgkmcnt(0)
	s_add_i32 s14, s13, -1
	s_add_i32 s8, s14, s12
	s_cmp_ge_i32 s8, s38
	s_cbranch_scc1 .LBB204_26
; %bb.28:                               ;   in Loop: Header=BB204_27 Depth=1
	s_lshl_b32 s17, s12, 7
	s_max_i32 s15, s13, 1
	v_add_u32_e32 v8, s17, v1
	s_lshl_b32 s18, s13, 7
	s_mul_i32 s19, s12, 0x90
	s_mul_i32 s20, s13, 0x90
	s_branch .LBB204_30
.LBB204_29:                             ;   in Loop: Header=BB204_30 Depth=2
	s_add_i32 s12, s12, s13
	s_add_i32 s8, s14, s12
	;; [unrolled: 1-line block ×4, first 2 shown]
	s_cmp_ge_i32 s8, s38
	v_add_u32_e32 v8, s18, v8
	s_cbranch_scc1 .LBB204_26
.LBB204_30:                             ;   Parent Loop BB204_27 Depth=1
                                        ; =>  This Loop Header: Depth=2
                                        ;       Child Loop BB204_31 Depth 3
                                        ;       Child Loop BB204_34 Depth 3
                                        ;         Child Loop BB204_35 Depth 4
                                        ;       Child Loop BB204_39 Depth 3
                                        ;         Child Loop BB204_41 Depth 4
	v_mov_b32_e32 v2, 0
	v_mov_b32_e32 v3, v8
	s_mov_b32 s8, s15
.LBB204_31:                             ;   Parent Loop BB204_27 Depth=1
                                        ;     Parent Loop BB204_30 Depth=2
                                        ; =>    This Inner Loop Header: Depth=3
	ds_read_b128 v[10:13], v3
	s_add_i32 s8, s8, -1
	v_add_u32_e32 v3, 0x80, v3
	s_cmp_eq_u32 s8, 0
	s_waitcnt lgkmcnt(0)
	buffer_store_dword v13, v2, s[0:3], 0 offen offset:12
	buffer_store_dword v12, v2, s[0:3], 0 offen offset:8
	;; [unrolled: 1-line block ×3, first 2 shown]
	buffer_store_dword v10, v2, s[0:3], 0 offen
	v_add_u32_e32 v2, 16, v2
	s_cbranch_scc0 .LBB204_31
; %bb.32:                               ;   in Loop: Header=BB204_30 Depth=2
	s_cmp_lt_i32 s12, 1
	s_cbranch_scc1 .LBB204_37
; %bb.33:                               ;   in Loop: Header=BB204_30 Depth=2
	s_mov_b32 s8, 0
	s_mov_b32 s9, s17
.LBB204_34:                             ;   Parent Loop BB204_27 Depth=1
                                        ;     Parent Loop BB204_30 Depth=2
                                        ; =>    This Loop Header: Depth=3
                                        ;         Child Loop BB204_35 Depth 4
	v_lshl_or_b32 v2, s8, 7, v6
	ds_read_b128 v[2:5], v2 offset:1024
	v_mov_b32_e32 v9, 0
	s_mov_b32 s21, s9
	s_mov_b32 s23, s15
.LBB204_35:                             ;   Parent Loop BB204_27 Depth=1
                                        ;     Parent Loop BB204_30 Depth=2
                                        ;       Parent Loop BB204_34 Depth=3
                                        ; =>      This Inner Loop Header: Depth=4
	buffer_load_dword v14, v9, s[0:3], 0 offen
	buffer_load_dword v15, v9, s[0:3], 0 offen offset:4
	buffer_load_dword v16, v9, s[0:3], 0 offen offset:8
	buffer_load_dword v17, v9, s[0:3], 0 offen offset:12
	v_mov_b32_e32 v10, s21
	ds_read_b128 v[10:13], v10
	s_add_i32 s23, s23, -1
	s_addk_i32 s21, 0x80
	s_cmp_eq_u32 s23, 0
	s_waitcnt lgkmcnt(0)
	v_mul_f64 v[18:19], v[4:5], v[12:13]
	v_mul_f64 v[12:13], v[2:3], v[12:13]
	v_fma_f64 v[18:19], v[2:3], v[10:11], -v[18:19]
	v_fmac_f64_e32 v[12:13], v[4:5], v[10:11]
	s_waitcnt vmcnt(2)
	v_add_f64 v[10:11], v[14:15], -v[18:19]
	s_waitcnt vmcnt(0)
	v_add_f64 v[12:13], v[16:17], -v[12:13]
	buffer_store_dword v10, v9, s[0:3], 0 offen
	buffer_store_dword v11, v9, s[0:3], 0 offen offset:4
	buffer_store_dword v12, v9, s[0:3], 0 offen offset:8
	;; [unrolled: 1-line block ×3, first 2 shown]
	v_add_u32_e32 v9, 16, v9
	s_cbranch_scc0 .LBB204_35
; %bb.36:                               ;   in Loop: Header=BB204_34 Depth=3
	s_add_i32 s8, s8, 1
	s_add_i32 s9, s9, 16
	s_cmp_ge_i32 s8, s12
	s_cbranch_scc0 .LBB204_34
.LBB204_37:                             ;   in Loop: Header=BB204_30 Depth=2
	s_lshl_b32 s21, s12, 3
	s_mov_b32 s23, 0
	s_mov_b32 s24, s19
	s_branch .LBB204_39
.LBB204_38:                             ;   in Loop: Header=BB204_39 Depth=3
	s_mul_i32 s8, s26, 0x90
	v_mov_b32_e32 v9, s8
	ds_read_b128 v[10:13], v9
	s_lshl_b32 s8, s23, 4
	s_add_i32 s23, s23, 1
	s_addk_i32 s24, 0x80
	v_add_u32_e32 v9, s8, v7
	s_waitcnt vmcnt(0) lgkmcnt(0)
	v_mul_f64 v[14:15], v[12:13], v[4:5]
	v_mul_f64 v[16:17], v[10:11], v[4:5]
	v_fma_f64 v[14:15], v[10:11], v[2:3], -v[14:15]
	v_fmac_f64_e32 v[16:17], v[12:13], v[2:3]
	v_add_lshl_u32 v2, s25, v0, 4
	s_cmp_eq_u32 s23, s15
	buffer_store_dword v15, v9, s[0:3], 0 offen offset:4
	buffer_store_dword v14, v9, s[0:3], 0 offen
	buffer_store_dword v17, v9, s[0:3], 0 offen offset:12
	buffer_store_dword v16, v9, s[0:3], 0 offen offset:8
	ds_write_b128 v2, v[14:17] offset:1024
	s_cbranch_scc1 .LBB204_29
.LBB204_39:                             ;   Parent Loop BB204_27 Depth=1
                                        ;     Parent Loop BB204_30 Depth=2
                                        ; =>    This Loop Header: Depth=3
                                        ;         Child Loop BB204_41 Depth 4
	s_cmp_lg_u32 s23, 0
	s_cbranch_scc0 .LBB204_43
; %bb.40:                               ;   in Loop: Header=BB204_39 Depth=3
	s_lshl_b32 s8, s23, 4
	v_add_u32_e32 v9, s8, v7
	buffer_load_dword v2, v9, s[0:3], 0 offen
	buffer_load_dword v3, v9, s[0:3], 0 offen offset:4
	buffer_load_dword v4, v9, s[0:3], 0 offen offset:8
	;; [unrolled: 1-line block ×3, first 2 shown]
	s_add_i32 s26, s23, s12
	s_lshl_b32 s25, s26, 3
	v_mov_b32_e32 v10, 0
	s_mov_b32 s8, 0
	s_mov_b32 s9, s24
.LBB204_41:                             ;   Parent Loop BB204_27 Depth=1
                                        ;     Parent Loop BB204_30 Depth=2
                                        ;       Parent Loop BB204_39 Depth=3
                                        ; =>      This Inner Loop Header: Depth=4
	buffer_load_dword v16, v10, s[0:3], 0 offen offset:8
	buffer_load_dword v17, v10, s[0:3], 0 offen offset:12
	buffer_load_dword v18, v10, s[0:3], 0 offen
	buffer_load_dword v19, v10, s[0:3], 0 offen offset:4
	v_mov_b32_e32 v11, s9
	ds_read_b128 v[12:15], v11
	s_add_i32 s8, s8, 1
	s_add_i32 s9, s9, 16
	v_add_u32_e32 v10, 16, v10
	s_cmp_ge_u32 s8, s23
	s_waitcnt vmcnt(2) lgkmcnt(0)
	v_mul_f64 v[20:21], v[14:15], v[16:17]
	v_mul_f64 v[16:17], v[12:13], v[16:17]
	s_waitcnt vmcnt(0)
	v_fma_f64 v[12:13], v[12:13], v[18:19], -v[20:21]
	v_fmac_f64_e32 v[16:17], v[14:15], v[18:19]
	v_add_f64 v[2:3], v[2:3], -v[12:13]
	v_add_f64 v[4:5], v[4:5], -v[16:17]
	buffer_store_dword v2, v9, s[0:3], 0 offen
	buffer_store_dword v3, v9, s[0:3], 0 offen offset:4
	buffer_store_dword v4, v9, s[0:3], 0 offen offset:8
	;; [unrolled: 1-line block ×3, first 2 shown]
	s_cbranch_scc0 .LBB204_41
; %bb.42:                               ;   in Loop: Header=BB204_39 Depth=3
	s_branch .LBB204_38
.LBB204_43:                             ;   in Loop: Header=BB204_39 Depth=3
                                        ; implicit-def: $vgpr2_vgpr3
                                        ; implicit-def: $vgpr4_vgpr5
                                        ; implicit-def: $sgpr26
                                        ; implicit-def: $sgpr25
	s_cbranch_execz .LBB204_38
; %bb.44:                               ;   in Loop: Header=BB204_39 Depth=3
	buffer_load_dword v2, off, s[0:3], 0
	buffer_load_dword v3, off, s[0:3], 0 offset:4
	buffer_load_dword v4, off, s[0:3], 0 offset:8
	;; [unrolled: 1-line block ×3, first 2 shown]
	s_mov_b32 s25, s21
	s_mov_b32 s26, s12
	s_branch .LBB204_38
.LBB204_45:
	s_mov_b64 s[6:7], 0
.LBB204_46:
	s_and_b64 vcc, exec, s[6:7]
	s_cbranch_vccz .LBB204_66
; %bb.47:
	v_mov_b32_e32 v1, 0x400
	s_lshl_b32 s12, s38, 7
	s_mov_b32 s7, 0
	v_lshl_or_b32 v1, v0, 4, v1
	s_addk_i32 s12, 0xff80
	v_lshlrev_b32_e32 v6, 4, v0
	v_mov_b32_e32 v7, 0
	s_mov_b32 s6, s7
	s_mov_b32 s13, s33
	s_branch .LBB204_49
.LBB204_48:                             ;   in Loop: Header=BB204_49 Depth=1
	s_cmp_lt_i32 s13, 0
	s_cselect_b64 s[8:9], -1, 0
	s_add_i32 s6, s6, 1
	s_cmp_eq_u32 s6, 3
	s_cselect_b64 s[14:15], -1, 0
	s_or_b64 s[8:9], s[8:9], s[14:15]
	s_and_b64 vcc, exec, s[8:9]
	s_cbranch_vccnz .LBB204_66
.LBB204_49:                             ; =>This Loop Header: Depth=1
                                        ;     Child Loop BB204_52 Depth 2
                                        ;       Child Loop BB204_53 Depth 3
                                        ;       Child Loop BB204_55 Depth 3
                                        ;         Child Loop BB204_56 Depth 4
                                        ;       Child Loop BB204_60 Depth 3
                                        ;         Child Loop BB204_62 Depth 4
	s_lshl_b64 s[8:9], s[6:7], 2
	s_getpc_b64 s[14:15]
	s_add_u32 s14, s14, __const._ZL38rocblas_trsm_small_left_device_sharedBILi8ELi8ELb0E19rocblas_complex_numIdES1_PKS1_PS1_Ev13rocblas_fill_18rocblas_operation_17rocblas_diagonal_iiT3_T4_lilT5_lili.step_sizes@rel32@lo+4
	s_addc_u32 s15, s15, __const._ZL38rocblas_trsm_small_left_device_sharedBILi8ELi8ELb0E19rocblas_complex_numIdES1_PKS1_PS1_Ev13rocblas_fill_18rocblas_operation_17rocblas_diagonal_iiT3_T4_lilT5_lili.step_sizes@rel32@hi+12
	s_add_u32 s8, s8, s14
	s_addc_u32 s9, s9, s15
	s_load_dword s14, s[8:9], 0x0
	s_waitcnt lgkmcnt(0)
	s_add_i32 s15, s14, -1
	s_cmp_lt_i32 s13, s15
	s_cbranch_scc1 .LBB204_48
; %bb.50:                               ;   in Loop: Header=BB204_49 Depth=1
	s_lshl_b32 s8, s14, 7
	s_sub_i32 s18, 0, s8
	s_lshl_b32 s8, s13, 4
	s_add_i32 s19, s12, s8
	s_lshl_b32 s8, s14, 4
	s_max_i32 s17, s14, 1
	v_lshl_add_u32 v8, s13, 7, v1
	s_sub_i32 s20, 0, s8
	s_mul_i32 s21, s13, 0x90
	s_mul_i32 s23, s14, 0xffffff70
	s_branch .LBB204_52
.LBB204_51:                             ;   in Loop: Header=BB204_52 Depth=2
	s_sub_i32 s13, s13, s14
	s_add_i32 s19, s19, s20
	s_add_i32 s21, s21, s23
	s_cmp_lt_i32 s13, s15
	v_add_u32_e32 v8, s18, v8
	s_cbranch_scc1 .LBB204_48
.LBB204_52:                             ;   Parent Loop BB204_49 Depth=1
                                        ; =>  This Loop Header: Depth=2
                                        ;       Child Loop BB204_53 Depth 3
                                        ;       Child Loop BB204_55 Depth 3
                                        ;         Child Loop BB204_56 Depth 4
                                        ;       Child Loop BB204_60 Depth 3
                                        ;         Child Loop BB204_62 Depth 4
	v_mov_b32_e32 v2, 0
	v_mov_b32_e32 v3, v8
	s_mov_b32 s8, s17
.LBB204_53:                             ;   Parent Loop BB204_49 Depth=1
                                        ;     Parent Loop BB204_52 Depth=2
                                        ; =>    This Inner Loop Header: Depth=3
	ds_read_b128 v[10:13], v3
	s_add_i32 s8, s8, -1
	v_add_u32_e32 v3, 0xffffff80, v3
	s_cmp_eq_u32 s8, 0
	s_waitcnt lgkmcnt(0)
	buffer_store_dword v13, v2, s[0:3], 0 offen offset:12
	buffer_store_dword v12, v2, s[0:3], 0 offen offset:8
	;; [unrolled: 1-line block ×3, first 2 shown]
	buffer_store_dword v10, v2, s[0:3], 0 offen
	v_add_u32_e32 v2, 16, v2
	s_cbranch_scc0 .LBB204_53
; %bb.54:                               ;   in Loop: Header=BB204_52 Depth=2
	s_cmp_le_i32 s33, s13
	s_mov_b32 s8, s19
	s_mov_b32 s9, s33
	s_cbranch_scc1 .LBB204_58
.LBB204_55:                             ;   Parent Loop BB204_49 Depth=1
                                        ;     Parent Loop BB204_52 Depth=2
                                        ; =>    This Loop Header: Depth=3
                                        ;         Child Loop BB204_56 Depth 4
	v_lshl_or_b32 v2, s9, 7, v6
	ds_read_b128 v[2:5], v2 offset:1024
	v_mov_b32_e32 v9, 0
	s_mov_b32 s24, s17
	s_mov_b32 s25, s8
.LBB204_56:                             ;   Parent Loop BB204_49 Depth=1
                                        ;     Parent Loop BB204_52 Depth=2
                                        ;       Parent Loop BB204_55 Depth=3
                                        ; =>      This Inner Loop Header: Depth=4
	buffer_load_dword v14, v9, s[0:3], 0 offen
	buffer_load_dword v15, v9, s[0:3], 0 offen offset:4
	buffer_load_dword v16, v9, s[0:3], 0 offen offset:8
	;; [unrolled: 1-line block ×3, first 2 shown]
	v_mov_b32_e32 v10, s25
	ds_read_b128 v[10:13], v10
	s_add_i32 s25, s25, -16
	s_add_i32 s24, s24, -1
	s_cmp_eq_u32 s24, 0
	s_waitcnt lgkmcnt(0)
	v_mul_f64 v[18:19], v[4:5], v[12:13]
	v_mul_f64 v[12:13], v[2:3], v[12:13]
	v_fma_f64 v[18:19], v[2:3], v[10:11], -v[18:19]
	v_fmac_f64_e32 v[12:13], v[4:5], v[10:11]
	s_waitcnt vmcnt(2)
	v_add_f64 v[10:11], v[14:15], -v[18:19]
	s_waitcnt vmcnt(0)
	v_add_f64 v[12:13], v[16:17], -v[12:13]
	buffer_store_dword v10, v9, s[0:3], 0 offen
	buffer_store_dword v11, v9, s[0:3], 0 offen offset:4
	buffer_store_dword v12, v9, s[0:3], 0 offen offset:8
	;; [unrolled: 1-line block ×3, first 2 shown]
	v_add_u32_e32 v9, 16, v9
	s_cbranch_scc0 .LBB204_56
; %bb.57:                               ;   in Loop: Header=BB204_55 Depth=3
	s_add_i32 s9, s9, -1
	s_addk_i32 s8, 0xff80
	s_cmp_le_i32 s9, s13
	s_cbranch_scc0 .LBB204_55
.LBB204_58:                             ;   in Loop: Header=BB204_52 Depth=2
	s_mov_b32 s24, 0
	s_mov_b32 s25, s21
	s_branch .LBB204_60
.LBB204_59:                             ;   in Loop: Header=BB204_60 Depth=3
	s_mul_i32 s8, s26, 0x90
	v_mov_b32_e32 v9, s8
	ds_read_b128 v[10:13], v9
	s_lshl_b32 s8, s24, 4
	s_add_i32 s24, s24, 1
	s_add_i32 s25, s25, -16
	v_add_u32_e32 v9, s8, v7
	s_waitcnt vmcnt(0) lgkmcnt(0)
	v_mul_f64 v[14:15], v[12:13], v[4:5]
	v_mul_f64 v[16:17], v[10:11], v[4:5]
	v_fma_f64 v[14:15], v[10:11], v[2:3], -v[14:15]
	v_fmac_f64_e32 v[16:17], v[12:13], v[2:3]
	v_lshl_or_b32 v2, s26, 7, v6
	s_cmp_eq_u32 s24, s17
	buffer_store_dword v15, v9, s[0:3], 0 offen offset:4
	buffer_store_dword v14, v9, s[0:3], 0 offen
	buffer_store_dword v17, v9, s[0:3], 0 offen offset:12
	buffer_store_dword v16, v9, s[0:3], 0 offen offset:8
	ds_write_b128 v2, v[14:17] offset:1024
	s_cbranch_scc1 .LBB204_51
.LBB204_60:                             ;   Parent Loop BB204_49 Depth=1
                                        ;     Parent Loop BB204_52 Depth=2
                                        ; =>    This Loop Header: Depth=3
                                        ;         Child Loop BB204_62 Depth 4
	s_cmp_lg_u32 s24, 0
	s_cbranch_scc0 .LBB204_64
; %bb.61:                               ;   in Loop: Header=BB204_60 Depth=3
	s_lshl_b32 s8, s24, 4
	v_add_u32_e32 v9, s8, v7
	buffer_load_dword v2, v9, s[0:3], 0 offen
	buffer_load_dword v3, v9, s[0:3], 0 offen offset:4
	buffer_load_dword v4, v9, s[0:3], 0 offen offset:8
	;; [unrolled: 1-line block ×3, first 2 shown]
	s_sub_i32 s26, s13, s24
	v_mov_b32_e32 v10, 0
	s_mov_b32 s8, 0
	s_mov_b32 s9, s25
.LBB204_62:                             ;   Parent Loop BB204_49 Depth=1
                                        ;     Parent Loop BB204_52 Depth=2
                                        ;       Parent Loop BB204_60 Depth=3
                                        ; =>      This Inner Loop Header: Depth=4
	buffer_load_dword v16, v10, s[0:3], 0 offen offset:8
	buffer_load_dword v17, v10, s[0:3], 0 offen offset:12
	buffer_load_dword v18, v10, s[0:3], 0 offen
	buffer_load_dword v19, v10, s[0:3], 0 offen offset:4
	v_mov_b32_e32 v11, s9
	ds_read_b128 v[12:15], v11
	s_add_i32 s8, s8, 1
	s_addk_i32 s9, 0xff80
	v_add_u32_e32 v10, 16, v10
	s_cmp_ge_u32 s8, s24
	s_waitcnt vmcnt(2) lgkmcnt(0)
	v_mul_f64 v[20:21], v[14:15], v[16:17]
	v_mul_f64 v[16:17], v[12:13], v[16:17]
	s_waitcnt vmcnt(0)
	v_fma_f64 v[12:13], v[12:13], v[18:19], -v[20:21]
	v_fmac_f64_e32 v[16:17], v[14:15], v[18:19]
	v_add_f64 v[2:3], v[2:3], -v[12:13]
	v_add_f64 v[4:5], v[4:5], -v[16:17]
	buffer_store_dword v2, v9, s[0:3], 0 offen
	buffer_store_dword v3, v9, s[0:3], 0 offen offset:4
	buffer_store_dword v4, v9, s[0:3], 0 offen offset:8
	;; [unrolled: 1-line block ×3, first 2 shown]
	s_cbranch_scc0 .LBB204_62
; %bb.63:                               ;   in Loop: Header=BB204_60 Depth=3
	s_branch .LBB204_59
.LBB204_64:                             ;   in Loop: Header=BB204_60 Depth=3
                                        ; implicit-def: $vgpr2_vgpr3
                                        ; implicit-def: $vgpr4_vgpr5
                                        ; implicit-def: $sgpr26
	s_cbranch_execz .LBB204_59
; %bb.65:                               ;   in Loop: Header=BB204_60 Depth=3
	buffer_load_dword v2, off, s[0:3], 0
	buffer_load_dword v3, off, s[0:3], 0 offset:4
	buffer_load_dword v4, off, s[0:3], 0 offset:8
	;; [unrolled: 1-line block ×3, first 2 shown]
	s_mov_b32 s26, s13
	s_branch .LBB204_59
.LBB204_66:
	s_waitcnt lgkmcnt(0)
	; wave barrier
	s_waitcnt lgkmcnt(0)
	s_and_saveexec_b64 s[6:7], s[4:5]
	s_cbranch_execz .LBB204_75
; %bb.67:
	v_mad_i64_i32 v[2:3], s[4:5], s16, v0, 0
	v_lshlrev_b64 v[8:9], 4, v[2:3]
	v_lshlrev_b32_e32 v2, 4, v0
	ds_read2_b64 v[4:7], v2 offset0:128 offset1:129
	v_mov_b32_e32 v1, s11
	v_add_co_u32_e32 v0, vcc, s10, v8
	v_addc_co_u32_e32 v1, vcc, v1, v9, vcc
	s_cmp_eq_u32 s22, 1
	s_waitcnt lgkmcnt(0)
	global_store_dwordx4 v[0:1], v[4:7], off
	s_cbranch_scc1 .LBB204_75
; %bb.68:
	v_or_b32_e32 v2, 0x400, v2
	ds_read2_b64 v[4:7], v2 offset0:16 offset1:17
	s_cmp_eq_u32 s22, 2
	s_waitcnt lgkmcnt(0)
	global_store_dwordx4 v[0:1], v[4:7], off offset:16
	s_cbranch_scc1 .LBB204_75
; %bb.69:
	ds_read2_b64 v[4:7], v2 offset0:32 offset1:33
	s_cmp_eq_u32 s22, 3
	s_waitcnt lgkmcnt(0)
	global_store_dwordx4 v[0:1], v[4:7], off offset:32
	s_cbranch_scc1 .LBB204_75
; %bb.70:
	;; [unrolled: 6-line block ×6, first 2 shown]
	ds_read2_b64 v[2:5], v2 offset0:112 offset1:113
	s_waitcnt lgkmcnt(0)
	global_store_dwordx4 v[0:1], v[2:5], off offset:112
.LBB204_75:
	s_endpgm
	.section	.rodata,"a",@progbits
	.p2align	6, 0x0
	.amdhsa_kernel _ZL38rocblas_trsm_small_left_device_sharedBILi8ELi8ELb0E19rocblas_complex_numIdES1_PKS1_PS1_Ev13rocblas_fill_18rocblas_operation_17rocblas_diagonal_iiT3_T4_lilT5_lili
		.amdhsa_group_segment_fixed_size 2048
		.amdhsa_private_segment_fixed_size 144
		.amdhsa_kernarg_size 368
		.amdhsa_user_sgpr_count 8
		.amdhsa_user_sgpr_private_segment_buffer 1
		.amdhsa_user_sgpr_dispatch_ptr 0
		.amdhsa_user_sgpr_queue_ptr 0
		.amdhsa_user_sgpr_kernarg_segment_ptr 1
		.amdhsa_user_sgpr_dispatch_id 0
		.amdhsa_user_sgpr_flat_scratch_init 1
		.amdhsa_user_sgpr_kernarg_preload_length 0
		.amdhsa_user_sgpr_kernarg_preload_offset 0
		.amdhsa_user_sgpr_private_segment_size 0
		.amdhsa_uses_dynamic_stack 0
		.amdhsa_system_sgpr_private_segment_wavefront_offset 1
		.amdhsa_system_sgpr_workgroup_id_x 1
		.amdhsa_system_sgpr_workgroup_id_y 0
		.amdhsa_system_sgpr_workgroup_id_z 1
		.amdhsa_system_sgpr_workgroup_info 0
		.amdhsa_system_vgpr_workitem_id 0
		.amdhsa_next_free_vgpr 23
		.amdhsa_next_free_sgpr 43
		.amdhsa_accum_offset 24
		.amdhsa_reserve_vcc 1
		.amdhsa_reserve_flat_scratch 0
		.amdhsa_float_round_mode_32 0
		.amdhsa_float_round_mode_16_64 0
		.amdhsa_float_denorm_mode_32 3
		.amdhsa_float_denorm_mode_16_64 3
		.amdhsa_dx10_clamp 1
		.amdhsa_ieee_mode 1
		.amdhsa_fp16_overflow 0
		.amdhsa_tg_split 0
		.amdhsa_exception_fp_ieee_invalid_op 0
		.amdhsa_exception_fp_denorm_src 0
		.amdhsa_exception_fp_ieee_div_zero 0
		.amdhsa_exception_fp_ieee_overflow 0
		.amdhsa_exception_fp_ieee_underflow 0
		.amdhsa_exception_fp_ieee_inexact 0
		.amdhsa_exception_int_div_zero 0
	.end_amdhsa_kernel
	.section	.text._ZL38rocblas_trsm_small_left_device_sharedBILi8ELi8ELb0E19rocblas_complex_numIdES1_PKS1_PS1_Ev13rocblas_fill_18rocblas_operation_17rocblas_diagonal_iiT3_T4_lilT5_lili,"axG",@progbits,_ZL38rocblas_trsm_small_left_device_sharedBILi8ELi8ELb0E19rocblas_complex_numIdES1_PKS1_PS1_Ev13rocblas_fill_18rocblas_operation_17rocblas_diagonal_iiT3_T4_lilT5_lili,comdat
.Lfunc_end204:
	.size	_ZL38rocblas_trsm_small_left_device_sharedBILi8ELi8ELb0E19rocblas_complex_numIdES1_PKS1_PS1_Ev13rocblas_fill_18rocblas_operation_17rocblas_diagonal_iiT3_T4_lilT5_lili, .Lfunc_end204-_ZL38rocblas_trsm_small_left_device_sharedBILi8ELi8ELb0E19rocblas_complex_numIdES1_PKS1_PS1_Ev13rocblas_fill_18rocblas_operation_17rocblas_diagonal_iiT3_T4_lilT5_lili
                                        ; -- End function
	.section	.AMDGPU.csdata,"",@progbits
; Kernel info:
; codeLenInByte = 3848
; NumSgprs: 47
; NumVgprs: 23
; NumAgprs: 0
; TotalNumVgprs: 23
; ScratchSize: 144
; MemoryBound: 0
; FloatMode: 240
; IeeeMode: 1
; LDSByteSize: 2048 bytes/workgroup (compile time only)
; SGPRBlocks: 5
; VGPRBlocks: 2
; NumSGPRsForWavesPerEU: 47
; NumVGPRsForWavesPerEU: 23
; AccumOffset: 24
; Occupancy: 8
; WaveLimiterHint : 0
; COMPUTE_PGM_RSRC2:SCRATCH_EN: 1
; COMPUTE_PGM_RSRC2:USER_SGPR: 8
; COMPUTE_PGM_RSRC2:TRAP_HANDLER: 0
; COMPUTE_PGM_RSRC2:TGID_X_EN: 1
; COMPUTE_PGM_RSRC2:TGID_Y_EN: 0
; COMPUTE_PGM_RSRC2:TGID_Z_EN: 1
; COMPUTE_PGM_RSRC2:TIDIG_COMP_CNT: 0
; COMPUTE_PGM_RSRC3_GFX90A:ACCUM_OFFSET: 5
; COMPUTE_PGM_RSRC3_GFX90A:TG_SPLIT: 0
	.section	.text._ZL30rocblas_trsm_small_left_deviceILi8ELi8ELb0E19rocblas_complex_numIdES1_PKS1_PS1_Ev13rocblas_fill_18rocblas_operation_17rocblas_diagonal_iiT3_T4_lilT5_lili,"axG",@progbits,_ZL30rocblas_trsm_small_left_deviceILi8ELi8ELb0E19rocblas_complex_numIdES1_PKS1_PS1_Ev13rocblas_fill_18rocblas_operation_17rocblas_diagonal_iiT3_T4_lilT5_lili,comdat
	.globl	_ZL30rocblas_trsm_small_left_deviceILi8ELi8ELb0E19rocblas_complex_numIdES1_PKS1_PS1_Ev13rocblas_fill_18rocblas_operation_17rocblas_diagonal_iiT3_T4_lilT5_lili ; -- Begin function _ZL30rocblas_trsm_small_left_deviceILi8ELi8ELb0E19rocblas_complex_numIdES1_PKS1_PS1_Ev13rocblas_fill_18rocblas_operation_17rocblas_diagonal_iiT3_T4_lilT5_lili
	.p2align	8
	.type	_ZL30rocblas_trsm_small_left_deviceILi8ELi8ELb0E19rocblas_complex_numIdES1_PKS1_PS1_Ev13rocblas_fill_18rocblas_operation_17rocblas_diagonal_iiT3_T4_lilT5_lili,@function
_ZL30rocblas_trsm_small_left_deviceILi8ELi8ELb0E19rocblas_complex_numIdES1_PKS1_PS1_Ev13rocblas_fill_18rocblas_operation_17rocblas_diagonal_iiT3_T4_lilT5_lili: ; @_ZL30rocblas_trsm_small_left_deviceILi8ELi8ELb0E19rocblas_complex_numIdES1_PKS1_PS1_Ev13rocblas_fill_18rocblas_operation_17rocblas_diagonal_iiT3_T4_lilT5_lili
; %bb.0:
	s_load_dwordx4 s[20:23], s[6:7], 0x4
	s_load_dwordx8 s[12:19], s[6:7], 0x18
	s_load_dwordx4 s[0:3], s[6:7], 0x40
	s_load_dwordx2 s[10:11], s[6:7], 0x50
	s_load_dword s37, s[6:7], 0x70
	v_and_b32_e32 v1, 0x3ff, v0
	s_waitcnt lgkmcnt(0)
	s_min_i32 s36, s22, 8
	s_mov_b32 s38, 0
	s_add_i32 s33, s36, -1
	v_cmp_gt_i32_e32 vcc, s36, v1
	s_and_saveexec_b64 s[24:25], vcc
	s_cbranch_execz .LBB205_15
; %bb.1:
	s_load_dword s26, s[6:7], 0x38
	v_lshlrev_b32_e32 v4, 4, v1
	s_mul_i32 s22, s1, s9
	s_mul_hi_u32 s39, s0, s9
	s_mul_i32 s28, s0, s9
	s_waitcnt lgkmcnt(0)
	s_ashr_i32 s27, s26, 31
	s_cmpk_eq_i32 s20, 0x71
	s_cselect_b64 vcc, -1, 0
	s_cmp_lt_u32 s33, 3
	s_cbranch_scc1 .LBB205_4
; %bb.2:
	s_add_i32 s29, s39, s22
	s_and_b32 s38, s36, -4
	s_lshl_b64 s[0:1], s[28:29], 4
	s_lshl_b64 s[30:31], s[18:19], 4
	s_add_u32 s0, s0, s30
	s_addc_u32 s1, s1, s31
	s_add_u32 s0, s16, s0
	v_lshlrev_b32_e32 v2, 4, v1
	s_addc_u32 s1, s17, s1
	v_mov_b32_e32 v3, s1
	v_add_co_u32_e64 v2, s[0:1], s0, v2
	v_addc_co_u32_e64 v3, s[0:1], 0, v3, s[0:1]
	v_add_co_u32_e64 v2, s[0:1], 8, v2
	s_lshl_b64 s[30:31], s[26:27], 6
	s_lshl_b64 s[34:35], s[26:27], 4
	v_addc_co_u32_e64 v3, s[0:1], 0, v3, s[0:1]
	s_mov_b32 s29, 0
	v_mov_b32_e32 v5, s35
	v_mov_b32_e32 v6, s31
	;; [unrolled: 1-line block ×3, first 2 shown]
.LBB205_3:                              ; =>This Inner Loop Header: Depth=1
	v_add_co_u32_e64 v20, s[0:1], s34, v2
	v_addc_co_u32_e64 v21, s[0:1], v3, v5, s[0:1]
	v_add_co_u32_e64 v22, s[0:1], s34, v20
	global_load_dwordx4 v[8:11], v[2:3], off offset:-8
	v_addc_co_u32_e64 v23, s[0:1], v21, v5, s[0:1]
	global_load_dwordx4 v[12:15], v[20:21], off offset:-8
	global_load_dwordx4 v[16:19], v[22:23], off offset:-8
	v_add_co_u32_e64 v20, s[0:1], s34, v22
	v_addc_co_u32_e64 v21, s[0:1], v23, v5, s[0:1]
	global_load_dwordx4 v[20:23], v[20:21], off offset:-8
	s_add_i32 s29, s29, 4
	v_add_co_u32_e64 v2, s[0:1], s30, v2
	s_cmp_eq_u32 s38, s29
	v_addc_co_u32_e64 v3, s[0:1], v3, v6, s[0:1]
	s_waitcnt vmcnt(3)
	v_xor_b32_e32 v24, 0x80000000, v11
	v_cndmask_b32_e32 v11, v11, v24, vcc
	ds_write_b128 v7, v[8:11]
	s_waitcnt vmcnt(1)
	v_xor_b32_e32 v8, 0x80000000, v19
	v_xor_b32_e32 v24, 0x80000000, v15
	v_cndmask_b32_e32 v19, v19, v8, vcc
	v_cndmask_b32_e32 v15, v15, v24, vcc
	ds_write_b128 v7, v[12:15] offset:128
	s_waitcnt vmcnt(0)
	v_xor_b32_e32 v8, 0x80000000, v23
	v_cndmask_b32_e32 v23, v23, v8, vcc
	ds_write_b128 v7, v[16:19] offset:256
	ds_write_b128 v7, v[20:23] offset:384
	v_add_u32_e32 v7, 0x200, v7
	s_cbranch_scc0 .LBB205_3
.LBB205_4:
	s_and_b32 s30, s36, 3
	s_cmp_eq_u32 s30, 0
	s_cbranch_scc1 .LBB205_7
; %bb.5:
	s_add_i32 s29, s39, s22
	s_lshl_b64 s[0:1], s[28:29], 4
	s_mul_i32 s22, s27, s38
	s_mul_hi_u32 s28, s26, s38
	s_add_i32 s29, s28, s22
	s_mul_i32 s28, s26, s38
	s_lshl_b64 s[28:29], s[28:29], 4
	s_add_u32 s22, s0, s28
	s_addc_u32 s28, s1, s29
	s_lshl_b64 s[0:1], s[18:19], 4
	s_add_u32 s0, s22, s0
	s_addc_u32 s1, s28, s1
	s_add_u32 s0, s16, s0
	s_addc_u32 s1, s17, s1
	v_mov_b32_e32 v2, s1
	v_add_co_u32_e64 v3, s[0:1], s0, v4
	v_lshl_or_b32 v5, s38, 7, v4
	v_addc_co_u32_e64 v4, s[0:1], 0, v2, s[0:1]
	v_add_co_u32_e64 v2, s[0:1], 8, v3
	s_lshl_b64 s[16:17], s[26:27], 4
	v_addc_co_u32_e64 v3, s[0:1], 0, v4, s[0:1]
	v_mov_b32_e32 v4, s17
.LBB205_6:                              ; =>This Inner Loop Header: Depth=1
	global_load_dwordx4 v[6:9], v[2:3], off offset:-8
	v_add_co_u32_e64 v2, s[0:1], s16, v2
	s_add_i32 s30, s30, -1
	v_addc_co_u32_e64 v3, s[0:1], v3, v4, s[0:1]
	s_cmp_lg_u32 s30, 0
	s_waitcnt vmcnt(0)
	v_xor_b32_e32 v10, 0x80000000, v9
	v_cndmask_b32_e32 v9, v9, v10, vcc
	ds_write_b128 v5, v[6:9]
	v_add_u32_e32 v5, 0x80, v5
	s_cbranch_scc1 .LBB205_6
.LBB205_7:
	v_mul_u32_u24_e32 v2, 9, v1
	s_cmpk_lg_i32 s21, 0x84
	v_lshlrev_b32_e32 v10, 4, v2
	s_cbranch_scc0 .LBB205_13
; %bb.8:
	ds_read_b128 v[2:5], v10
	s_waitcnt lgkmcnt(0)
	v_xor_b32_e32 v7, 0x80000000, v3
	v_cmp_gt_f64_e32 vcc, 0, v[2:3]
	v_xor_b32_e32 v8, 0x80000000, v5
	v_cndmask_b32_e32 v7, v3, v7, vcc
	v_cmp_gt_f64_e32 vcc, 0, v[4:5]
	v_mov_b32_e32 v6, v2
	v_cndmask_b32_e32 v9, v5, v8, vcc
	v_mov_b32_e32 v8, v4
	v_cmp_ngt_f64_e32 vcc, v[6:7], v[8:9]
                                        ; implicit-def: $vgpr8_vgpr9
	s_and_saveexec_b64 s[0:1], vcc
	s_xor_b64 s[0:1], exec, s[0:1]
	s_cbranch_execz .LBB205_10
; %bb.9:
	v_div_scale_f64 v[6:7], s[16:17], v[4:5], v[4:5], v[2:3]
	v_rcp_f64_e32 v[8:9], v[6:7]
	v_div_scale_f64 v[12:13], vcc, v[2:3], v[4:5], v[2:3]
	v_fma_f64 v[14:15], -v[6:7], v[8:9], 1.0
	v_fmac_f64_e32 v[8:9], v[8:9], v[14:15]
	v_fma_f64 v[14:15], -v[6:7], v[8:9], 1.0
	v_fmac_f64_e32 v[8:9], v[8:9], v[14:15]
	v_mul_f64 v[14:15], v[12:13], v[8:9]
	v_fma_f64 v[6:7], -v[6:7], v[14:15], v[12:13]
	v_div_fmas_f64 v[6:7], v[6:7], v[8:9], v[14:15]
	v_div_fixup_f64 v[8:9], v[6:7], v[4:5], v[2:3]
	v_fmac_f64_e32 v[4:5], v[2:3], v[8:9]
	v_div_scale_f64 v[2:3], s[16:17], v[4:5], v[4:5], 1.0
	v_rcp_f64_e32 v[6:7], v[2:3]
	v_fma_f64 v[12:13], -v[2:3], v[6:7], 1.0
	v_fmac_f64_e32 v[6:7], v[6:7], v[12:13]
	v_fma_f64 v[12:13], -v[2:3], v[6:7], 1.0
	v_fmac_f64_e32 v[6:7], v[6:7], v[12:13]
	v_div_scale_f64 v[12:13], vcc, 1.0, v[4:5], 1.0
	v_mul_f64 v[14:15], v[12:13], v[6:7]
	v_fma_f64 v[2:3], -v[2:3], v[14:15], v[12:13]
	s_nop 1
	v_div_fmas_f64 v[2:3], v[2:3], v[6:7], v[14:15]
	v_div_fixup_f64 v[2:3], v[2:3], v[4:5], 1.0
	v_add_f64 v[4:5], v[8:9], 0
	v_mul_f64 v[6:7], v[4:5], v[2:3]
	v_fma_f64 v[4:5], v[8:9], 0, -1.0
	v_mul_f64 v[8:9], v[4:5], v[2:3]
                                        ; implicit-def: $vgpr2_vgpr3
.LBB205_10:
	s_andn2_saveexec_b64 s[0:1], s[0:1]
	s_cbranch_execz .LBB205_12
; %bb.11:
	v_div_scale_f64 v[6:7], s[16:17], v[2:3], v[2:3], v[4:5]
	v_rcp_f64_e32 v[8:9], v[6:7]
	v_div_scale_f64 v[12:13], vcc, v[4:5], v[2:3], v[4:5]
	v_fma_f64 v[14:15], -v[6:7], v[8:9], 1.0
	v_fmac_f64_e32 v[8:9], v[8:9], v[14:15]
	v_fma_f64 v[14:15], -v[6:7], v[8:9], 1.0
	v_fmac_f64_e32 v[8:9], v[8:9], v[14:15]
	v_mul_f64 v[14:15], v[12:13], v[8:9]
	v_fma_f64 v[6:7], -v[6:7], v[14:15], v[12:13]
	v_div_fmas_f64 v[6:7], v[6:7], v[8:9], v[14:15]
	v_div_fixup_f64 v[8:9], v[6:7], v[2:3], v[4:5]
	v_fmac_f64_e32 v[2:3], v[4:5], v[8:9]
	v_div_scale_f64 v[4:5], s[16:17], v[2:3], v[2:3], 1.0
	v_rcp_f64_e32 v[6:7], v[4:5]
	v_fma_f64 v[12:13], -v[4:5], v[6:7], 1.0
	v_fmac_f64_e32 v[6:7], v[6:7], v[12:13]
	v_fma_f64 v[12:13], -v[4:5], v[6:7], 1.0
	v_fmac_f64_e32 v[6:7], v[6:7], v[12:13]
	v_div_scale_f64 v[12:13], vcc, 1.0, v[2:3], 1.0
	v_mul_f64 v[14:15], v[12:13], v[6:7]
	v_fma_f64 v[4:5], -v[4:5], v[14:15], v[12:13]
	s_nop 1
	v_div_fmas_f64 v[4:5], v[4:5], v[6:7], v[14:15]
	v_div_fixup_f64 v[2:3], v[4:5], v[2:3], 1.0
	v_fma_f64 v[4:5], v[8:9], 0, 1.0
	v_mul_f64 v[6:7], v[4:5], v[2:3]
	v_add_f64 v[4:5], -v[8:9], 0
	v_mul_f64 v[8:9], v[4:5], v[2:3]
.LBB205_12:
	s_or_b64 exec, exec, s[0:1]
	s_branch .LBB205_14
.LBB205_13:
	v_mov_b32_e32 v6, 0
	v_mov_b32_e32 v7, 0x3ff00000
	v_pk_mov_b32 v[8:9], 0, 0
.LBB205_14:
	ds_write_b128 v10, v[6:9]
.LBB205_15:
	s_or_b64 exec, exec, s[24:25]
	s_lshl_b32 s16, s8, 3
	s_add_i32 s37, s37, -1
	s_sub_i32 s0, s23, s16
	s_cmp_ge_u32 s8, s37
	s_cselect_b32 s0, s0, 8
	v_cmp_gt_i32_e32 vcc, s0, v1
	s_waitcnt lgkmcnt(0)
	; wave barrier
	s_waitcnt lgkmcnt(0)
	s_and_saveexec_b64 s[0:1], vcc
	s_cbranch_execz .LBB205_58
; %bb.16:
	s_load_dwordx2 s[0:1], s[4:5], 0x4
	s_load_dword s8, s[6:7], 0x58
	s_load_dwordx2 s[18:19], s[6:7], 0x60
	v_bfe_u32 v2, v0, 10, 10
	v_bfe_u32 v0, v0, 20, 10
	s_waitcnt lgkmcnt(0)
	s_lshr_b32 s0, s0, 16
	s_mul_i32 s0, s0, s1
	v_mul_u32_u24_e32 v2, s1, v2
	v_mul_u32_u24_e32 v3, s0, v1
	s_mul_i32 s0, s9, s19
	s_mul_hi_u32 s1, s9, s18
	s_add_i32 s1, s1, s0
	s_mul_i32 s0, s9, s18
	s_lshl_b64 s[0:1], s[0:1], 4
	s_add_u32 s6, s2, s0
	v_add3_u32 v0, v3, v2, v0
	v_mov_b32_e32 v2, 0x400
	s_addc_u32 s7, s3, s1
	s_lshl_b64 s[4:5], s[10:11], 4
	v_lshl_add_u32 v8, v0, 7, v2
	s_add_u32 s9, s6, s4
	v_add_u32_e32 v0, s16, v1
	s_addc_u32 s10, s7, s5
	v_mad_i64_i32 v[0:1], s[6:7], s8, v0, 0
	v_lshlrev_b64 v[4:5], 4, v[0:1]
	v_mov_b32_e32 v0, s10
	v_add_co_u32_e32 v9, vcc, s9, v4
	v_addc_co_u32_e32 v10, vcc, v0, v5, vcc
	s_cmpk_eq_i32 s20, 0x6f
	s_mov_b64 s[6:7], -1
	s_cbranch_scc1 .LBB205_38
; %bb.17:
	s_add_u32 s6, s2, s4
	s_addc_u32 s7, s3, s5
	s_add_u32 s6, s6, s0
	s_addc_u32 s7, s7, s1
	v_mov_b32_e32 v0, s7
	v_add_co_u32_e32 v1, vcc, s6, v4
	v_addc_co_u32_e32 v0, vcc, v0, v5, vcc
	v_add_co_u32_e32 v11, vcc, 8, v1
	s_mov_b32 s7, 0
	v_addc_co_u32_e32 v12, vcc, 0, v0, vcc
	s_mov_b32 s8, s7
	s_mov_b32 s10, s7
	s_branch .LBB205_19
.LBB205_18:                             ;   in Loop: Header=BB205_19 Depth=1
	s_cmp_ge_i32 s10, s36
	s_cselect_b64 s[16:17], -1, 0
	s_add_i32 s8, s8, 1
	s_cmp_eq_u32 s8, 3
	s_cselect_b64 s[18:19], -1, 0
	s_or_b64 s[16:17], s[16:17], s[18:19]
	s_andn2_b64 vcc, exec, s[16:17]
	s_cbranch_vccz .LBB205_37
.LBB205_19:                             ; =>This Loop Header: Depth=1
                                        ;     Child Loop BB205_22 Depth 2
                                        ;       Child Loop BB205_23 Depth 3
                                        ;       Child Loop BB205_26 Depth 3
                                        ;         Child Loop BB205_27 Depth 4
                                        ;       Child Loop BB205_31 Depth 3
                                        ;         Child Loop BB205_33 Depth 4
	s_mov_b32 s9, s7
	s_lshl_b64 s[16:17], s[8:9], 2
	s_getpc_b64 s[18:19]
	s_add_u32 s18, s18, __const._ZL30rocblas_trsm_small_left_deviceILi8ELi8ELb0E19rocblas_complex_numIdES1_PKS1_PS1_Ev13rocblas_fill_18rocblas_operation_17rocblas_diagonal_iiT3_T4_lilT5_lili.step_sizes@rel32@lo+4
	s_addc_u32 s19, s19, __const._ZL30rocblas_trsm_small_left_deviceILi8ELi8ELb0E19rocblas_complex_numIdES1_PKS1_PS1_Ev13rocblas_fill_18rocblas_operation_17rocblas_diagonal_iiT3_T4_lilT5_lili.step_sizes@rel32@hi+12
	s_add_u32 s16, s16, s18
	s_addc_u32 s17, s17, s19
	s_load_dword s16, s[16:17], 0x0
	s_waitcnt lgkmcnt(0)
	s_add_i32 s9, s16, -1
	s_add_i32 s6, s9, s10
	s_cmp_ge_i32 s6, s36
	s_cbranch_scc1 .LBB205_18
; %bb.20:                               ;   in Loop: Header=BB205_19 Depth=1
	s_ashr_i32 s11, s10, 31
	s_lshl_b64 s[18:19], s[10:11], 4
	v_mov_b32_e32 v0, s19
	v_add_co_u32_e32 v6, vcc, s18, v11
	s_ashr_i32 s17, s16, 31
	s_max_i32 s24, s16, 1
	v_addc_co_u32_e32 v7, vcc, v12, v0, vcc
	s_lshl_b64 s[18:19], s[16:17], 4
	s_lshl_b32 s11, s10, 7
	s_lshl_b32 s17, s16, 7
	s_mul_i32 s25, s10, 0x90
	s_mul_i32 s26, s16, 0x90
	s_branch .LBB205_22
.LBB205_21:                             ;   in Loop: Header=BB205_22 Depth=2
	s_add_i32 s10, s10, s16
	s_add_i32 s6, s9, s10
	v_mov_b32_e32 v0, s19
	s_add_i32 s11, s11, s17
	s_add_i32 s25, s25, s26
	v_add_co_u32_e32 v6, vcc, s18, v6
	s_cmp_ge_i32 s6, s36
	v_addc_co_u32_e32 v7, vcc, v7, v0, vcc
	s_cbranch_scc1 .LBB205_18
.LBB205_22:                             ;   Parent Loop BB205_19 Depth=1
                                        ; =>  This Loop Header: Depth=2
                                        ;       Child Loop BB205_23 Depth 3
                                        ;       Child Loop BB205_26 Depth 3
                                        ;         Child Loop BB205_27 Depth 4
                                        ;       Child Loop BB205_31 Depth 3
                                        ;         Child Loop BB205_33 Depth 4
	v_mov_b32_e32 v2, v8
	v_pk_mov_b32 v[0:1], v[6:7], v[6:7] op_sel:[0,1]
	s_mov_b32 s6, s24
.LBB205_23:                             ;   Parent Loop BB205_19 Depth=1
                                        ;     Parent Loop BB205_22 Depth=2
                                        ; =>    This Inner Loop Header: Depth=3
	global_load_dwordx4 v[14:17], v[0:1], off offset:-8
	s_add_i32 s6, s6, -1
	v_add_co_u32_e32 v0, vcc, 16, v0
	v_addc_co_u32_e32 v1, vcc, 0, v1, vcc
	s_cmp_eq_u32 s6, 0
	s_waitcnt vmcnt(0)
	v_mul_f64 v[20:21], s[14:15], v[16:17]
	v_mul_f64 v[18:19], s[12:13], v[16:17]
	v_fma_f64 v[16:17], s[12:13], v[14:15], -v[20:21]
	v_fmac_f64_e32 v[18:19], s[14:15], v[14:15]
	ds_write_b128 v2, v[16:19]
	v_add_u32_e32 v2, 16, v2
	s_cbranch_scc0 .LBB205_23
; %bb.24:                               ;   in Loop: Header=BB205_22 Depth=2
	s_cmp_lt_i32 s10, 1
	s_cbranch_scc1 .LBB205_29
; %bb.25:                               ;   in Loop: Header=BB205_22 Depth=2
	s_mov_b32 s6, 0
	s_mov_b32 s20, s11
.LBB205_26:                             ;   Parent Loop BB205_19 Depth=1
                                        ;     Parent Loop BB205_22 Depth=2
                                        ; =>    This Loop Header: Depth=3
                                        ;         Child Loop BB205_27 Depth 4
	s_lshl_b64 s[22:23], s[6:7], 4
	v_mov_b32_e32 v1, s23
	v_add_co_u32_e32 v0, vcc, s22, v9
	v_addc_co_u32_e32 v1, vcc, v10, v1, vcc
	global_load_dwordx4 v[0:3], v[0:1], off
	v_mov_b32_e32 v13, v8
	s_mov_b32 s21, s20
	s_mov_b32 s22, s24
.LBB205_27:                             ;   Parent Loop BB205_19 Depth=1
                                        ;     Parent Loop BB205_22 Depth=2
                                        ;       Parent Loop BB205_26 Depth=3
                                        ; =>      This Inner Loop Header: Depth=4
	v_mov_b32_e32 v18, s21
	ds_read_b128 v[18:21], v18
	ds_read_b128 v[14:17], v13
	s_add_i32 s22, s22, -1
	s_addk_i32 s21, 0x80
	s_cmp_eq_u32 s22, 0
	s_waitcnt vmcnt(0) lgkmcnt(1)
	v_mul_f64 v[22:23], v[2:3], v[20:21]
	v_mul_f64 v[20:21], v[0:1], v[20:21]
	v_fma_f64 v[22:23], v[0:1], v[18:19], -v[22:23]
	v_fmac_f64_e32 v[20:21], v[2:3], v[18:19]
	s_waitcnt lgkmcnt(0)
	v_add_f64 v[14:15], v[14:15], -v[22:23]
	v_add_f64 v[16:17], v[16:17], -v[20:21]
	ds_write_b128 v13, v[14:17]
	v_add_u32_e32 v13, 16, v13
	s_cbranch_scc0 .LBB205_27
; %bb.28:                               ;   in Loop: Header=BB205_26 Depth=3
	s_add_i32 s6, s6, 1
	s_add_i32 s20, s20, 16
	s_cmp_ge_i32 s6, s10
	s_cbranch_scc0 .LBB205_26
.LBB205_29:                             ;   in Loop: Header=BB205_22 Depth=2
	s_mov_b32 s6, 0
	s_mov_b32 s27, s25
	s_branch .LBB205_31
.LBB205_30:                             ;   in Loop: Header=BB205_31 Depth=3
	s_mul_i32 s21, s20, 0x90
	v_mov_b32_e32 v14, s21
	ds_read_b128 v[14:17], v14
	s_ashr_i32 s21, s20, 31
	s_lshl_b64 s[20:21], s[20:21], 4
	s_add_i32 s6, s6, 1
	s_addk_i32 s27, 0x80
	s_waitcnt lgkmcnt(0)
	v_mul_f64 v[18:19], v[16:17], v[2:3]
	v_mul_f64 v[20:21], v[14:15], v[2:3]
	v_fma_f64 v[18:19], v[14:15], v[0:1], -v[18:19]
	v_fmac_f64_e32 v[20:21], v[16:17], v[0:1]
	v_mov_b32_e32 v1, s21
	v_add_co_u32_e32 v0, vcc, s20, v9
	v_addc_co_u32_e32 v1, vcc, v10, v1, vcc
	s_cmp_eq_u32 s6, s24
	ds_write_b128 v13, v[18:21]
	global_store_dwordx4 v[0:1], v[18:21], off
	s_cbranch_scc1 .LBB205_21
.LBB205_31:                             ;   Parent Loop BB205_19 Depth=1
                                        ;     Parent Loop BB205_22 Depth=2
                                        ; =>    This Loop Header: Depth=3
                                        ;         Child Loop BB205_33 Depth 4
	s_cmp_lg_u32 s6, 0
	v_lshl_add_u32 v13, s6, 4, v8
	s_cbranch_scc0 .LBB205_35
; %bb.32:                               ;   in Loop: Header=BB205_31 Depth=3
	ds_read_b128 v[0:3], v13
	s_add_i32 s20, s6, s10
	s_mov_b32 s21, 0
	s_mov_b32 s22, s27
	v_mov_b32_e32 v14, v8
.LBB205_33:                             ;   Parent Loop BB205_19 Depth=1
                                        ;     Parent Loop BB205_22 Depth=2
                                        ;       Parent Loop BB205_31 Depth=3
                                        ; =>      This Inner Loop Header: Depth=4
	v_mov_b32_e32 v15, s22
	ds_read_b128 v[16:19], v14
	ds_read_b128 v[20:23], v15
	s_add_i32 s21, s21, 1
	s_add_i32 s22, s22, 16
	v_add_u32_e32 v14, 16, v14
	s_cmp_ge_u32 s21, s6
	s_waitcnt lgkmcnt(0)
	v_mul_f64 v[24:25], v[22:23], v[18:19]
	v_mul_f64 v[18:19], v[20:21], v[18:19]
	v_fma_f64 v[20:21], v[20:21], v[16:17], -v[24:25]
	v_fmac_f64_e32 v[18:19], v[22:23], v[16:17]
	v_add_f64 v[0:1], v[0:1], -v[20:21]
	v_add_f64 v[2:3], v[2:3], -v[18:19]
	ds_write_b128 v13, v[0:3]
	s_cbranch_scc0 .LBB205_33
; %bb.34:                               ;   in Loop: Header=BB205_31 Depth=3
	s_branch .LBB205_30
.LBB205_35:                             ;   in Loop: Header=BB205_31 Depth=3
                                        ; implicit-def: $vgpr0_vgpr1
                                        ; implicit-def: $sgpr20
	s_cbranch_execz .LBB205_30
; %bb.36:                               ;   in Loop: Header=BB205_31 Depth=3
	ds_read_b128 v[0:3], v8
	s_mov_b32 s20, s10
	s_branch .LBB205_30
.LBB205_37:
	s_mov_b64 s[6:7], 0
.LBB205_38:
	s_and_b64 vcc, exec, s[6:7]
	s_cbranch_vccz .LBB205_58
; %bb.39:
	s_add_u32 s2, s2, s4
	s_addc_u32 s3, s3, s5
	s_add_u32 s0, s2, s0
	s_addc_u32 s1, s3, s1
	v_mov_b32_e32 v0, s1
	v_add_co_u32_e32 v1, vcc, s0, v4
	v_addc_co_u32_e32 v0, vcc, v0, v5, vcc
	v_add_co_u32_e32 v4, vcc, 8, v1
	s_lshl_b32 s10, s36, 7
	s_mov_b32 s1, 0
	v_addc_co_u32_e32 v5, vcc, 0, v0, vcc
	s_addk_i32 s10, 0xff80
	s_mov_b32 s2, s33
	s_mov_b32 s0, s1
	s_branch .LBB205_41
.LBB205_40:                             ;   in Loop: Header=BB205_41 Depth=1
	s_cmp_lt_i32 s2, 0
	s_cselect_b64 s[4:5], -1, 0
	s_add_i32 s0, s0, 1
	s_cmp_eq_u32 s0, 3
	s_cselect_b64 s[6:7], -1, 0
	s_or_b64 s[4:5], s[4:5], s[6:7]
	s_and_b64 vcc, exec, s[4:5]
	s_cbranch_vccnz .LBB205_58
.LBB205_41:                             ; =>This Loop Header: Depth=1
                                        ;     Child Loop BB205_44 Depth 2
                                        ;       Child Loop BB205_45 Depth 3
                                        ;       Child Loop BB205_47 Depth 3
                                        ;         Child Loop BB205_48 Depth 4
                                        ;       Child Loop BB205_52 Depth 3
                                        ;         Child Loop BB205_54 Depth 4
	s_lshl_b64 s[4:5], s[0:1], 2
	s_getpc_b64 s[6:7]
	s_add_u32 s6, s6, __const._ZL30rocblas_trsm_small_left_deviceILi8ELi8ELb0E19rocblas_complex_numIdES1_PKS1_PS1_Ev13rocblas_fill_18rocblas_operation_17rocblas_diagonal_iiT3_T4_lilT5_lili.step_sizes@rel32@lo+4
	s_addc_u32 s7, s7, __const._ZL30rocblas_trsm_small_left_deviceILi8ELi8ELb0E19rocblas_complex_numIdES1_PKS1_PS1_Ev13rocblas_fill_18rocblas_operation_17rocblas_diagonal_iiT3_T4_lilT5_lili.step_sizes@rel32@hi+12
	s_add_u32 s4, s4, s6
	s_addc_u32 s5, s5, s7
	s_load_dword s11, s[4:5], 0x0
	s_waitcnt lgkmcnt(0)
	s_add_i32 s16, s11, -1
	s_cmp_lt_i32 s2, s16
	s_cbranch_scc1 .LBB205_40
; %bb.42:                               ;   in Loop: Header=BB205_41 Depth=1
	s_lshl_b32 s3, s2, 4
	s_add_i32 s18, s10, s3
	s_lshl_b32 s3, s11, 4
	s_max_i32 s17, s11, 1
	s_sub_i32 s19, 0, s3
	s_mul_i32 s20, s2, 0x90
	s_mul_i32 s21, s11, 0xffffff70
	s_branch .LBB205_44
.LBB205_43:                             ;   in Loop: Header=BB205_44 Depth=2
	s_sub_i32 s2, s2, s11
	s_add_i32 s18, s18, s19
	s_add_i32 s20, s20, s21
	s_cmp_lt_i32 s2, s16
	s_cbranch_scc1 .LBB205_40
.LBB205_44:                             ;   Parent Loop BB205_41 Depth=1
                                        ; =>  This Loop Header: Depth=2
                                        ;       Child Loop BB205_45 Depth 3
                                        ;       Child Loop BB205_47 Depth 3
                                        ;         Child Loop BB205_48 Depth 4
                                        ;       Child Loop BB205_52 Depth 3
                                        ;         Child Loop BB205_54 Depth 4
	s_ashr_i32 s3, s2, 31
	s_lshl_b64 s[4:5], s[2:3], 4
	v_mov_b32_e32 v1, s5
	v_add_co_u32_e32 v0, vcc, s4, v4
	v_addc_co_u32_e32 v1, vcc, v5, v1, vcc
	v_mov_b32_e32 v2, v8
	s_mov_b32 s4, s17
.LBB205_45:                             ;   Parent Loop BB205_41 Depth=1
                                        ;     Parent Loop BB205_44 Depth=2
                                        ; =>    This Inner Loop Header: Depth=3
	global_load_dwordx4 v[12:15], v[0:1], off offset:-8
	s_add_i32 s4, s4, -1
	v_add_co_u32_e32 v0, vcc, -16, v0
	v_addc_co_u32_e32 v1, vcc, -1, v1, vcc
	s_cmp_eq_u32 s4, 0
	s_waitcnt vmcnt(0)
	v_mul_f64 v[6:7], s[14:15], v[14:15]
	v_mul_f64 v[16:17], s[12:13], v[14:15]
	v_fma_f64 v[14:15], s[12:13], v[12:13], -v[6:7]
	v_fmac_f64_e32 v[16:17], s[14:15], v[12:13]
	ds_write_b128 v2, v[14:17]
	v_add_u32_e32 v2, 16, v2
	s_cbranch_scc0 .LBB205_45
; %bb.46:                               ;   in Loop: Header=BB205_44 Depth=2
	s_cmp_le_i32 s33, s2
	s_mov_b32 s6, s18
	s_mov_b32 s4, s33
	s_cbranch_scc1 .LBB205_50
.LBB205_47:                             ;   Parent Loop BB205_41 Depth=1
                                        ;     Parent Loop BB205_44 Depth=2
                                        ; =>    This Loop Header: Depth=3
                                        ;         Child Loop BB205_48 Depth 4
	s_ashr_i32 s5, s4, 31
	s_lshl_b64 s[8:9], s[4:5], 4
	v_mov_b32_e32 v1, s9
	v_add_co_u32_e32 v0, vcc, s8, v9
	v_addc_co_u32_e32 v1, vcc, v10, v1, vcc
	global_load_dwordx4 v[0:3], v[0:1], off
	v_mov_b32_e32 v6, v8
	s_mov_b32 s5, s17
	s_mov_b32 s7, s6
.LBB205_48:                             ;   Parent Loop BB205_41 Depth=1
                                        ;     Parent Loop BB205_44 Depth=2
                                        ;       Parent Loop BB205_47 Depth=3
                                        ; =>      This Inner Loop Header: Depth=4
	v_mov_b32_e32 v7, s7
	ds_read_b128 v[16:19], v7
	ds_read_b128 v[12:15], v6
	s_add_i32 s7, s7, -16
	s_add_i32 s5, s5, -1
	s_cmp_eq_u32 s5, 0
	s_waitcnt vmcnt(0) lgkmcnt(1)
	v_mul_f64 v[20:21], v[2:3], v[18:19]
	v_mul_f64 v[18:19], v[0:1], v[18:19]
	v_fma_f64 v[20:21], v[0:1], v[16:17], -v[20:21]
	v_fmac_f64_e32 v[18:19], v[2:3], v[16:17]
	s_waitcnt lgkmcnt(0)
	v_add_f64 v[12:13], v[12:13], -v[20:21]
	v_add_f64 v[14:15], v[14:15], -v[18:19]
	ds_write_b128 v6, v[12:15]
	v_add_u32_e32 v6, 16, v6
	s_cbranch_scc0 .LBB205_48
; %bb.49:                               ;   in Loop: Header=BB205_47 Depth=3
	s_add_i32 s4, s4, -1
	s_addk_i32 s6, 0xff80
	s_cmp_le_i32 s4, s2
	s_cbranch_scc0 .LBB205_47
.LBB205_50:                             ;   in Loop: Header=BB205_44 Depth=2
	s_mov_b32 s22, 0
	s_mov_b32 s23, s20
	s_branch .LBB205_52
.LBB205_51:                             ;   in Loop: Header=BB205_52 Depth=3
	s_mulk_i32 s6, 0x90
	v_mov_b32_e32 v7, s6
	ds_read_b128 v[12:15], v7
	s_lshl_b64 s[4:5], s[4:5], 4
	v_mov_b32_e32 v7, s5
	s_add_i32 s22, s22, 1
	s_add_i32 s23, s23, -16
	s_waitcnt lgkmcnt(0)
	v_mul_f64 v[16:17], v[14:15], v[2:3]
	v_mul_f64 v[18:19], v[12:13], v[2:3]
	v_fma_f64 v[16:17], v[12:13], v[0:1], -v[16:17]
	v_fmac_f64_e32 v[18:19], v[14:15], v[0:1]
	v_add_co_u32_e32 v0, vcc, s4, v9
	v_addc_co_u32_e32 v1, vcc, v10, v7, vcc
	s_cmp_eq_u32 s22, s17
	ds_write_b128 v6, v[16:19]
	global_store_dwordx4 v[0:1], v[16:19], off
	s_cbranch_scc1 .LBB205_43
.LBB205_52:                             ;   Parent Loop BB205_41 Depth=1
                                        ;     Parent Loop BB205_44 Depth=2
                                        ; =>    This Loop Header: Depth=3
                                        ;         Child Loop BB205_54 Depth 4
	s_cmp_lg_u32 s22, 0
	v_lshl_add_u32 v6, s22, 4, v8
	s_cbranch_scc0 .LBB205_56
; %bb.53:                               ;   in Loop: Header=BB205_52 Depth=3
	ds_read_b128 v[0:3], v6
	s_mov_b32 s4, 0
	v_mov_b32_e32 v7, v8
	s_mov_b32 s5, s23
.LBB205_54:                             ;   Parent Loop BB205_41 Depth=1
                                        ;     Parent Loop BB205_44 Depth=2
                                        ;       Parent Loop BB205_52 Depth=3
                                        ; =>      This Inner Loop Header: Depth=4
	v_mov_b32_e32 v11, s5
	ds_read_b128 v[12:15], v7
	ds_read_b128 v[16:19], v11
	s_add_i32 s4, s4, 1
	s_addk_i32 s5, 0xff80
	v_add_u32_e32 v7, 16, v7
	s_cmp_ge_u32 s4, s22
	s_waitcnt lgkmcnt(0)
	v_mul_f64 v[20:21], v[18:19], v[14:15]
	v_mul_f64 v[14:15], v[16:17], v[14:15]
	v_fma_f64 v[16:17], v[16:17], v[12:13], -v[20:21]
	v_fmac_f64_e32 v[14:15], v[18:19], v[12:13]
	v_add_f64 v[0:1], v[0:1], -v[16:17]
	v_add_f64 v[2:3], v[2:3], -v[14:15]
	ds_write_b128 v6, v[0:3]
	s_cbranch_scc0 .LBB205_54
; %bb.55:                               ;   in Loop: Header=BB205_52 Depth=3
	s_sub_i32 s6, s2, s22
	s_ashr_i32 s7, s6, 31
	s_mov_b64 s[4:5], s[6:7]
	s_branch .LBB205_51
.LBB205_56:                             ;   in Loop: Header=BB205_52 Depth=3
                                        ; implicit-def: $vgpr0_vgpr1
                                        ; implicit-def: $sgpr6
                                        ; implicit-def: $sgpr4_sgpr5
	s_cbranch_execz .LBB205_51
; %bb.57:                               ;   in Loop: Header=BB205_52 Depth=3
	ds_read_b128 v[0:3], v8
	s_mov_b64 s[4:5], s[2:3]
	s_mov_b32 s6, s2
	s_branch .LBB205_51
.LBB205_58:
	s_endpgm
	.section	.rodata,"a",@progbits
	.p2align	6, 0x0
	.amdhsa_kernel _ZL30rocblas_trsm_small_left_deviceILi8ELi8ELb0E19rocblas_complex_numIdES1_PKS1_PS1_Ev13rocblas_fill_18rocblas_operation_17rocblas_diagonal_iiT3_T4_lilT5_lili
		.amdhsa_group_segment_fixed_size 2048
		.amdhsa_private_segment_fixed_size 0
		.amdhsa_kernarg_size 368
		.amdhsa_user_sgpr_count 8
		.amdhsa_user_sgpr_private_segment_buffer 1
		.amdhsa_user_sgpr_dispatch_ptr 1
		.amdhsa_user_sgpr_queue_ptr 0
		.amdhsa_user_sgpr_kernarg_segment_ptr 1
		.amdhsa_user_sgpr_dispatch_id 0
		.amdhsa_user_sgpr_flat_scratch_init 0
		.amdhsa_user_sgpr_kernarg_preload_length 0
		.amdhsa_user_sgpr_kernarg_preload_offset 0
		.amdhsa_user_sgpr_private_segment_size 0
		.amdhsa_uses_dynamic_stack 0
		.amdhsa_system_sgpr_private_segment_wavefront_offset 0
		.amdhsa_system_sgpr_workgroup_id_x 1
		.amdhsa_system_sgpr_workgroup_id_y 0
		.amdhsa_system_sgpr_workgroup_id_z 1
		.amdhsa_system_sgpr_workgroup_info 0
		.amdhsa_system_vgpr_workitem_id 2
		.amdhsa_next_free_vgpr 26
		.amdhsa_next_free_sgpr 40
		.amdhsa_accum_offset 28
		.amdhsa_reserve_vcc 1
		.amdhsa_reserve_flat_scratch 0
		.amdhsa_float_round_mode_32 0
		.amdhsa_float_round_mode_16_64 0
		.amdhsa_float_denorm_mode_32 3
		.amdhsa_float_denorm_mode_16_64 3
		.amdhsa_dx10_clamp 1
		.amdhsa_ieee_mode 1
		.amdhsa_fp16_overflow 0
		.amdhsa_tg_split 0
		.amdhsa_exception_fp_ieee_invalid_op 0
		.amdhsa_exception_fp_denorm_src 0
		.amdhsa_exception_fp_ieee_div_zero 0
		.amdhsa_exception_fp_ieee_overflow 0
		.amdhsa_exception_fp_ieee_underflow 0
		.amdhsa_exception_fp_ieee_inexact 0
		.amdhsa_exception_int_div_zero 0
	.end_amdhsa_kernel
	.section	.text._ZL30rocblas_trsm_small_left_deviceILi8ELi8ELb0E19rocblas_complex_numIdES1_PKS1_PS1_Ev13rocblas_fill_18rocblas_operation_17rocblas_diagonal_iiT3_T4_lilT5_lili,"axG",@progbits,_ZL30rocblas_trsm_small_left_deviceILi8ELi8ELb0E19rocblas_complex_numIdES1_PKS1_PS1_Ev13rocblas_fill_18rocblas_operation_17rocblas_diagonal_iiT3_T4_lilT5_lili,comdat
.Lfunc_end205:
	.size	_ZL30rocblas_trsm_small_left_deviceILi8ELi8ELb0E19rocblas_complex_numIdES1_PKS1_PS1_Ev13rocblas_fill_18rocblas_operation_17rocblas_diagonal_iiT3_T4_lilT5_lili, .Lfunc_end205-_ZL30rocblas_trsm_small_left_deviceILi8ELi8ELb0E19rocblas_complex_numIdES1_PKS1_PS1_Ev13rocblas_fill_18rocblas_operation_17rocblas_diagonal_iiT3_T4_lilT5_lili
                                        ; -- End function
	.section	.AMDGPU.csdata,"",@progbits
; Kernel info:
; codeLenInByte = 2892
; NumSgprs: 44
; NumVgprs: 26
; NumAgprs: 0
; TotalNumVgprs: 26
; ScratchSize: 0
; MemoryBound: 0
; FloatMode: 240
; IeeeMode: 1
; LDSByteSize: 2048 bytes/workgroup (compile time only)
; SGPRBlocks: 5
; VGPRBlocks: 3
; NumSGPRsForWavesPerEU: 44
; NumVGPRsForWavesPerEU: 26
; AccumOffset: 28
; Occupancy: 8
; WaveLimiterHint : 0
; COMPUTE_PGM_RSRC2:SCRATCH_EN: 0
; COMPUTE_PGM_RSRC2:USER_SGPR: 8
; COMPUTE_PGM_RSRC2:TRAP_HANDLER: 0
; COMPUTE_PGM_RSRC2:TGID_X_EN: 1
; COMPUTE_PGM_RSRC2:TGID_Y_EN: 0
; COMPUTE_PGM_RSRC2:TGID_Z_EN: 1
; COMPUTE_PGM_RSRC2:TIDIG_COMP_CNT: 2
; COMPUTE_PGM_RSRC3_GFX90A:ACCUM_OFFSET: 6
; COMPUTE_PGM_RSRC3_GFX90A:TG_SPLIT: 0
	.section	.text._ZL38rocblas_trsm_small_left_device_sharedBILi8ELi8ELb1E19rocblas_complex_numIdES1_PKS1_PS1_Ev13rocblas_fill_18rocblas_operation_17rocblas_diagonal_iiT3_T4_lilT5_lili,"axG",@progbits,_ZL38rocblas_trsm_small_left_device_sharedBILi8ELi8ELb1E19rocblas_complex_numIdES1_PKS1_PS1_Ev13rocblas_fill_18rocblas_operation_17rocblas_diagonal_iiT3_T4_lilT5_lili,comdat
	.globl	_ZL38rocblas_trsm_small_left_device_sharedBILi8ELi8ELb1E19rocblas_complex_numIdES1_PKS1_PS1_Ev13rocblas_fill_18rocblas_operation_17rocblas_diagonal_iiT3_T4_lilT5_lili ; -- Begin function _ZL38rocblas_trsm_small_left_device_sharedBILi8ELi8ELb1E19rocblas_complex_numIdES1_PKS1_PS1_Ev13rocblas_fill_18rocblas_operation_17rocblas_diagonal_iiT3_T4_lilT5_lili
	.p2align	8
	.type	_ZL38rocblas_trsm_small_left_device_sharedBILi8ELi8ELb1E19rocblas_complex_numIdES1_PKS1_PS1_Ev13rocblas_fill_18rocblas_operation_17rocblas_diagonal_iiT3_T4_lilT5_lili,@function
_ZL38rocblas_trsm_small_left_device_sharedBILi8ELi8ELb1E19rocblas_complex_numIdES1_PKS1_PS1_Ev13rocblas_fill_18rocblas_operation_17rocblas_diagonal_iiT3_T4_lilT5_lili: ; @_ZL38rocblas_trsm_small_left_device_sharedBILi8ELi8ELb1E19rocblas_complex_numIdES1_PKS1_PS1_Ev13rocblas_fill_18rocblas_operation_17rocblas_diagonal_iiT3_T4_lilT5_lili
; %bb.0:
	s_add_u32 s0, s0, s10
	s_load_dwordx4 s[20:23], s[4:5], 0x4
	s_load_dwordx8 s[12:19], s[4:5], 0x18
	s_load_dwordx4 s[24:27], s[4:5], 0x40
	s_load_dwordx2 s[10:11], s[4:5], 0x50
	s_load_dword s39, s[4:5], 0x70
	s_addc_u32 s1, s1, 0
	s_waitcnt lgkmcnt(0)
	s_min_i32 s33, s22, 8
	s_mov_b32 s40, 0
	s_add_i32 s38, s33, -1
	v_cmp_gt_i32_e32 vcc, s33, v0
	s_and_saveexec_b64 s[28:29], vcc
	s_cbranch_execz .LBB206_15
; %bb.1:
	s_load_dword s30, s[4:5], 0x38
	s_mul_i32 s41, s25, s9
	s_mul_hi_u32 s42, s24, s9
	s_mul_i32 s24, s24, s9
	s_waitcnt lgkmcnt(0)
	s_ashr_i32 s31, s30, 31
	s_cmpk_eq_i32 s20, 0x71
	s_cselect_b64 vcc, -1, 0
	s_cmp_lt_u32 s38, 3
	s_cbranch_scc1 .LBB206_4
; %bb.2:
	s_add_i32 s25, s42, s41
	s_and_b32 s40, s33, -4
	s_lshl_b64 s[6:7], s[24:25], 4
	s_lshl_b64 s[34:35], s[18:19], 4
	s_add_u32 s6, s6, s34
	s_addc_u32 s7, s7, s35
	s_add_u32 s6, s16, s6
	v_lshlrev_b32_e32 v2, 4, v0
	s_addc_u32 s7, s17, s7
	v_mov_b32_e32 v3, s7
	v_add_co_u32_e64 v2, s[6:7], s6, v2
	v_addc_co_u32_e64 v3, s[6:7], 0, v3, s[6:7]
	v_add_co_u32_e64 v2, s[6:7], 8, v2
	s_lshl_b64 s[34:35], s[30:31], 6
	s_lshl_b64 s[36:37], s[30:31], 4
	v_lshlrev_b32_e32 v1, 4, v0
	v_addc_co_u32_e64 v3, s[6:7], 0, v3, s[6:7]
	s_mov_b32 s25, 0
	v_mov_b32_e32 v4, s37
	v_mov_b32_e32 v5, s35
.LBB206_3:                              ; =>This Inner Loop Header: Depth=1
	v_add_co_u32_e64 v18, s[6:7], s36, v2
	v_addc_co_u32_e64 v19, s[6:7], v3, v4, s[6:7]
	v_add_co_u32_e64 v20, s[6:7], s36, v18
	global_load_dwordx4 v[6:9], v[2:3], off offset:-8
	v_addc_co_u32_e64 v21, s[6:7], v19, v4, s[6:7]
	global_load_dwordx4 v[10:13], v[18:19], off offset:-8
	global_load_dwordx4 v[14:17], v[20:21], off offset:-8
	v_add_co_u32_e64 v18, s[6:7], s36, v20
	v_addc_co_u32_e64 v19, s[6:7], v21, v4, s[6:7]
	global_load_dwordx4 v[18:21], v[18:19], off offset:-8
	s_add_i32 s25, s25, 4
	v_add_co_u32_e64 v2, s[6:7], s34, v2
	s_cmp_eq_u32 s40, s25
	v_addc_co_u32_e64 v3, s[6:7], v3, v5, s[6:7]
	s_waitcnt vmcnt(3)
	v_xor_b32_e32 v22, 0x80000000, v9
	v_cndmask_b32_e32 v9, v9, v22, vcc
	ds_write_b128 v1, v[6:9]
	s_waitcnt vmcnt(1)
	v_xor_b32_e32 v6, 0x80000000, v17
	v_xor_b32_e32 v22, 0x80000000, v13
	v_cndmask_b32_e32 v17, v17, v6, vcc
	v_cndmask_b32_e32 v13, v13, v22, vcc
	ds_write_b128 v1, v[10:13] offset:128
	s_waitcnt vmcnt(0)
	v_xor_b32_e32 v6, 0x80000000, v21
	v_cndmask_b32_e32 v21, v21, v6, vcc
	ds_write_b128 v1, v[14:17] offset:256
	ds_write_b128 v1, v[18:21] offset:384
	v_add_u32_e32 v1, 0x200, v1
	s_cbranch_scc0 .LBB206_3
.LBB206_4:
	s_and_b32 s34, s33, 3
	s_cmp_eq_u32 s34, 0
	s_cbranch_scc1 .LBB206_7
; %bb.5:
	s_add_i32 s25, s42, s41
	s_lshl_b64 s[6:7], s[24:25], 4
	s_mul_i32 s24, s31, s40
	s_mul_hi_u32 s25, s30, s40
	s_add_i32 s25, s25, s24
	s_mul_i32 s24, s30, s40
	s_lshl_b64 s[24:25], s[24:25], 4
	s_add_u32 s24, s6, s24
	s_addc_u32 s25, s7, s25
	s_lshl_b64 s[6:7], s[18:19], 4
	s_add_u32 s6, s24, s6
	s_addc_u32 s7, s25, s7
	s_add_u32 s6, s16, s6
	v_lshlrev_b32_e32 v2, 4, v0
	s_addc_u32 s7, s17, s7
	v_lshl_or_b32 v1, s40, 7, v2
	v_mov_b32_e32 v3, s7
	v_add_co_u32_e64 v2, s[6:7], s6, v2
	v_addc_co_u32_e64 v3, s[6:7], 0, v3, s[6:7]
	v_add_co_u32_e64 v2, s[6:7], 8, v2
	s_lshl_b64 s[16:17], s[30:31], 4
	v_addc_co_u32_e64 v3, s[6:7], 0, v3, s[6:7]
	v_mov_b32_e32 v4, s17
.LBB206_6:                              ; =>This Inner Loop Header: Depth=1
	global_load_dwordx4 v[6:9], v[2:3], off offset:-8
	v_add_co_u32_e64 v2, s[6:7], s16, v2
	s_add_i32 s34, s34, -1
	v_addc_co_u32_e64 v3, s[6:7], v3, v4, s[6:7]
	s_cmp_lg_u32 s34, 0
	s_waitcnt vmcnt(0)
	v_xor_b32_e32 v5, 0x80000000, v9
	v_cndmask_b32_e32 v9, v9, v5, vcc
	ds_write_b128 v1, v[6:9]
	v_add_u32_e32 v1, 0x80, v1
	s_cbranch_scc1 .LBB206_6
.LBB206_7:
	v_mul_u32_u24_e32 v1, 9, v0
	s_cmpk_lg_i32 s21, 0x84
	v_lshlrev_b32_e32 v1, 4, v1
	s_cbranch_scc0 .LBB206_13
; %bb.8:
	ds_read_b128 v[2:5], v1
	s_waitcnt lgkmcnt(0)
	v_xor_b32_e32 v7, 0x80000000, v3
	v_cmp_gt_f64_e32 vcc, 0, v[2:3]
	v_xor_b32_e32 v8, 0x80000000, v5
	v_cndmask_b32_e32 v7, v3, v7, vcc
	v_cmp_gt_f64_e32 vcc, 0, v[4:5]
	v_mov_b32_e32 v6, v2
	v_cndmask_b32_e32 v9, v5, v8, vcc
	v_mov_b32_e32 v8, v4
	v_cmp_ngt_f64_e32 vcc, v[6:7], v[8:9]
                                        ; implicit-def: $vgpr8_vgpr9
	s_and_saveexec_b64 s[6:7], vcc
	s_xor_b64 s[6:7], exec, s[6:7]
	s_cbranch_execz .LBB206_10
; %bb.9:
	v_div_scale_f64 v[6:7], s[16:17], v[4:5], v[4:5], v[2:3]
	v_rcp_f64_e32 v[8:9], v[6:7]
	v_div_scale_f64 v[10:11], vcc, v[2:3], v[4:5], v[2:3]
	v_fma_f64 v[12:13], -v[6:7], v[8:9], 1.0
	v_fmac_f64_e32 v[8:9], v[8:9], v[12:13]
	v_fma_f64 v[12:13], -v[6:7], v[8:9], 1.0
	v_fmac_f64_e32 v[8:9], v[8:9], v[12:13]
	v_mul_f64 v[12:13], v[10:11], v[8:9]
	v_fma_f64 v[6:7], -v[6:7], v[12:13], v[10:11]
	v_div_fmas_f64 v[6:7], v[6:7], v[8:9], v[12:13]
	v_div_fixup_f64 v[8:9], v[6:7], v[4:5], v[2:3]
	v_fmac_f64_e32 v[4:5], v[2:3], v[8:9]
	v_div_scale_f64 v[2:3], s[16:17], v[4:5], v[4:5], 1.0
	v_rcp_f64_e32 v[6:7], v[2:3]
	v_fma_f64 v[10:11], -v[2:3], v[6:7], 1.0
	v_fmac_f64_e32 v[6:7], v[6:7], v[10:11]
	v_fma_f64 v[10:11], -v[2:3], v[6:7], 1.0
	v_fmac_f64_e32 v[6:7], v[6:7], v[10:11]
	v_div_scale_f64 v[10:11], vcc, 1.0, v[4:5], 1.0
	v_mul_f64 v[12:13], v[10:11], v[6:7]
	v_fma_f64 v[2:3], -v[2:3], v[12:13], v[10:11]
	s_nop 1
	v_div_fmas_f64 v[2:3], v[2:3], v[6:7], v[12:13]
	v_div_fixup_f64 v[2:3], v[2:3], v[4:5], 1.0
	v_add_f64 v[4:5], v[8:9], 0
	v_mul_f64 v[6:7], v[4:5], v[2:3]
	v_fma_f64 v[4:5], v[8:9], 0, -1.0
	v_mul_f64 v[8:9], v[4:5], v[2:3]
                                        ; implicit-def: $vgpr2_vgpr3
.LBB206_10:
	s_andn2_saveexec_b64 s[6:7], s[6:7]
	s_cbranch_execz .LBB206_12
; %bb.11:
	v_div_scale_f64 v[6:7], s[16:17], v[2:3], v[2:3], v[4:5]
	v_rcp_f64_e32 v[8:9], v[6:7]
	v_div_scale_f64 v[10:11], vcc, v[4:5], v[2:3], v[4:5]
	v_fma_f64 v[12:13], -v[6:7], v[8:9], 1.0
	v_fmac_f64_e32 v[8:9], v[8:9], v[12:13]
	v_fma_f64 v[12:13], -v[6:7], v[8:9], 1.0
	v_fmac_f64_e32 v[8:9], v[8:9], v[12:13]
	v_mul_f64 v[12:13], v[10:11], v[8:9]
	v_fma_f64 v[6:7], -v[6:7], v[12:13], v[10:11]
	v_div_fmas_f64 v[6:7], v[6:7], v[8:9], v[12:13]
	v_div_fixup_f64 v[8:9], v[6:7], v[2:3], v[4:5]
	v_fmac_f64_e32 v[2:3], v[4:5], v[8:9]
	v_div_scale_f64 v[4:5], s[16:17], v[2:3], v[2:3], 1.0
	v_rcp_f64_e32 v[6:7], v[4:5]
	v_fma_f64 v[10:11], -v[4:5], v[6:7], 1.0
	v_fmac_f64_e32 v[6:7], v[6:7], v[10:11]
	v_fma_f64 v[10:11], -v[4:5], v[6:7], 1.0
	v_fmac_f64_e32 v[6:7], v[6:7], v[10:11]
	v_div_scale_f64 v[10:11], vcc, 1.0, v[2:3], 1.0
	v_mul_f64 v[12:13], v[10:11], v[6:7]
	v_fma_f64 v[4:5], -v[4:5], v[12:13], v[10:11]
	s_nop 1
	v_div_fmas_f64 v[4:5], v[4:5], v[6:7], v[12:13]
	v_div_fixup_f64 v[2:3], v[4:5], v[2:3], 1.0
	v_fma_f64 v[4:5], v[8:9], 0, 1.0
	v_mul_f64 v[6:7], v[4:5], v[2:3]
	v_add_f64 v[4:5], -v[8:9], 0
	v_mul_f64 v[8:9], v[4:5], v[2:3]
.LBB206_12:
	s_or_b64 exec, exec, s[6:7]
	s_branch .LBB206_14
.LBB206_13:
	v_mov_b32_e32 v6, 0
	v_mov_b32_e32 v7, 0x3ff00000
	v_pk_mov_b32 v[8:9], 0, 0
.LBB206_14:
	ds_write_b128 v1, v[6:9]
.LBB206_15:
	s_or_b64 exec, exec, s[28:29]
	s_load_dwordx2 s[6:7], s[4:5], 0x60
	s_load_dword s16, s[4:5], 0x58
	s_waitcnt lgkmcnt(0)
	s_mul_i32 s5, s9, s7
	s_mul_hi_u32 s7, s9, s6
	s_mul_i32 s4, s9, s6
	s_add_i32 s5, s7, s5
	s_lshl_b64 s[4:5], s[4:5], 4
	s_add_u32 s6, s26, s4
	s_addc_u32 s7, s27, s5
	s_lshl_b64 s[4:5], s[10:11], 4
	s_add_u32 s6, s6, s4
	s_addc_u32 s7, s7, s5
	s_lshl_b32 s4, s8, 3
	s_add_i32 s39, s39, -1
	s_sub_i32 s5, s23, s4
	s_cmp_ge_u32 s8, s39
	s_cselect_b32 s8, s5, 8
	s_mul_hi_i32 s5, s16, s4
	s_mul_i32 s4, s16, s4
	s_lshl_b64 s[4:5], s[4:5], 4
	s_add_u32 s10, s6, s4
	s_addc_u32 s11, s7, s5
	s_cmp_gt_i32 s22, 0
	v_cmp_gt_i32_e32 vcc, s8, v0
	s_cselect_b64 s[4:5], -1, 0
	s_and_b64 s[4:5], vcc, s[4:5]
	s_and_saveexec_b64 s[6:7], s[4:5]
	s_cbranch_execz .LBB206_24
; %bb.16:
	v_mad_i64_i32 v[2:3], s[8:9], s16, v0, 0
	v_lshlrev_b64 v[2:3], 4, v[2:3]
	v_mov_b32_e32 v1, s11
	v_add_co_u32_e32 v2, vcc, s10, v2
	v_addc_co_u32_e32 v3, vcc, v1, v3, vcc
	global_load_dwordx4 v[4:7], v[2:3], off
	v_lshlrev_b32_e32 v1, 4, v0
	s_cmp_eq_u32 s22, 1
	s_waitcnt vmcnt(0)
	v_mul_f64 v[10:11], s[14:15], v[6:7]
	v_mul_f64 v[8:9], s[12:13], v[6:7]
	v_fma_f64 v[6:7], s[12:13], v[4:5], -v[10:11]
	v_fmac_f64_e32 v[8:9], s[14:15], v[4:5]
	ds_write_b128 v1, v[6:9] offset:1024
	s_cbranch_scc1 .LBB206_24
; %bb.17:
	global_load_dwordx4 v[4:7], v[2:3], off offset:16
	v_or_b32_e32 v1, 0x400, v1
	s_cmp_eq_u32 s22, 2
	s_waitcnt vmcnt(0)
	v_mul_f64 v[10:11], s[14:15], v[6:7]
	v_mul_f64 v[8:9], s[12:13], v[6:7]
	v_fma_f64 v[6:7], s[12:13], v[4:5], -v[10:11]
	v_fmac_f64_e32 v[8:9], s[14:15], v[4:5]
	ds_write_b128 v1, v[6:9] offset:128
	s_cbranch_scc1 .LBB206_24
; %bb.18:
	global_load_dwordx4 v[4:7], v[2:3], off offset:32
	s_cmp_eq_u32 s22, 3
	s_waitcnt vmcnt(0)
	v_mul_f64 v[10:11], s[14:15], v[6:7]
	v_mul_f64 v[8:9], s[12:13], v[6:7]
	v_fma_f64 v[6:7], s[12:13], v[4:5], -v[10:11]
	v_fmac_f64_e32 v[8:9], s[14:15], v[4:5]
	ds_write_b128 v1, v[6:9] offset:256
	s_cbranch_scc1 .LBB206_24
; %bb.19:
	global_load_dwordx4 v[4:7], v[2:3], off offset:48
	;; [unrolled: 10-line block ×6, first 2 shown]
	s_waitcnt vmcnt(0)
	v_mul_f64 v[8:9], s[14:15], v[4:5]
	v_mul_f64 v[6:7], s[12:13], v[4:5]
	v_fma_f64 v[4:5], s[12:13], v[2:3], -v[8:9]
	v_fmac_f64_e32 v[6:7], s[14:15], v[2:3]
	ds_write_b128 v1, v[4:7] offset:896
.LBB206_24:
	s_or_b64 exec, exec, s[6:7]
	s_cmpk_eq_i32 s20, 0x6f
	s_mov_b64 s[6:7], -1
	s_waitcnt lgkmcnt(0)
	; wave barrier
	s_waitcnt lgkmcnt(0)
	s_cbranch_scc1 .LBB206_45
; %bb.25:
	v_mov_b32_e32 v1, 0x400
	s_lshl_b32 s12, s33, 4
	s_mov_b32 s7, 0
	v_lshl_or_b32 v1, v0, 4, v1
	s_add_i32 s12, s12, -16
	v_lshlrev_b32_e32 v6, 4, v0
	v_mov_b32_e32 v7, 0
	s_mov_b32 s6, s7
	s_mov_b32 s13, s38
	s_branch .LBB206_27
.LBB206_26:                             ;   in Loop: Header=BB206_27 Depth=1
	s_cmp_lt_i32 s13, 0
	s_cselect_b64 s[8:9], -1, 0
	s_add_i32 s6, s6, 1
	s_cmp_eq_u32 s6, 3
	s_cselect_b64 s[14:15], -1, 0
	s_or_b64 s[8:9], s[8:9], s[14:15]
	s_andn2_b64 vcc, exec, s[8:9]
	s_cbranch_vccz .LBB206_44
.LBB206_27:                             ; =>This Loop Header: Depth=1
                                        ;     Child Loop BB206_30 Depth 2
                                        ;       Child Loop BB206_31 Depth 3
                                        ;       Child Loop BB206_33 Depth 3
                                        ;         Child Loop BB206_34 Depth 4
                                        ;       Child Loop BB206_38 Depth 3
                                        ;         Child Loop BB206_40 Depth 4
	s_lshl_b64 s[8:9], s[6:7], 2
	s_getpc_b64 s[14:15]
	s_add_u32 s14, s14, __const._ZL38rocblas_trsm_small_left_device_sharedBILi8ELi8ELb1E19rocblas_complex_numIdES1_PKS1_PS1_Ev13rocblas_fill_18rocblas_operation_17rocblas_diagonal_iiT3_T4_lilT5_lili.step_sizes@rel32@lo+4
	s_addc_u32 s15, s15, __const._ZL38rocblas_trsm_small_left_device_sharedBILi8ELi8ELb1E19rocblas_complex_numIdES1_PKS1_PS1_Ev13rocblas_fill_18rocblas_operation_17rocblas_diagonal_iiT3_T4_lilT5_lili.step_sizes@rel32@hi+12
	s_add_u32 s8, s8, s14
	s_addc_u32 s9, s9, s15
	s_load_dword s14, s[8:9], 0x0
	s_waitcnt lgkmcnt(0)
	s_add_i32 s15, s14, -1
	s_cmp_lt_i32 s13, s15
	s_cbranch_scc1 .LBB206_26
; %bb.28:                               ;   in Loop: Header=BB206_27 Depth=1
	s_lshl_b32 s8, s13, 7
	s_lshl_b32 s9, s14, 7
	s_max_i32 s17, s14, 1
	v_add_u32_e32 v8, s8, v1
	s_sub_i32 s18, 0, s9
	s_add_i32 s19, s12, s8
	s_mul_i32 s20, s13, 0x90
	s_mul_i32 s21, s14, 0xffffff70
	s_branch .LBB206_30
.LBB206_29:                             ;   in Loop: Header=BB206_30 Depth=2
	s_sub_i32 s13, s13, s14
	s_add_i32 s19, s19, s18
	s_add_i32 s20, s20, s21
	s_cmp_lt_i32 s13, s15
	v_add_u32_e32 v8, s18, v8
	s_cbranch_scc1 .LBB206_26
.LBB206_30:                             ;   Parent Loop BB206_27 Depth=1
                                        ; =>  This Loop Header: Depth=2
                                        ;       Child Loop BB206_31 Depth 3
                                        ;       Child Loop BB206_33 Depth 3
                                        ;         Child Loop BB206_34 Depth 4
                                        ;       Child Loop BB206_38 Depth 3
                                        ;         Child Loop BB206_40 Depth 4
	v_mov_b32_e32 v2, 0
	v_mov_b32_e32 v3, v8
	s_mov_b32 s8, s17
.LBB206_31:                             ;   Parent Loop BB206_27 Depth=1
                                        ;     Parent Loop BB206_30 Depth=2
                                        ; =>    This Inner Loop Header: Depth=3
	ds_read_b128 v[10:13], v3
	s_add_i32 s8, s8, -1
	v_add_u32_e32 v3, 0xffffff80, v3
	s_cmp_eq_u32 s8, 0
	s_waitcnt lgkmcnt(0)
	buffer_store_dword v13, v2, s[0:3], 0 offen offset:12
	buffer_store_dword v12, v2, s[0:3], 0 offen offset:8
	buffer_store_dword v11, v2, s[0:3], 0 offen offset:4
	buffer_store_dword v10, v2, s[0:3], 0 offen
	v_add_u32_e32 v2, 16, v2
	s_cbranch_scc0 .LBB206_31
; %bb.32:                               ;   in Loop: Header=BB206_30 Depth=2
	s_cmp_le_i32 s38, s13
	s_mov_b32 s8, s19
	s_mov_b32 s9, s38
	s_cbranch_scc1 .LBB206_36
.LBB206_33:                             ;   Parent Loop BB206_27 Depth=1
                                        ;     Parent Loop BB206_30 Depth=2
                                        ; =>    This Loop Header: Depth=3
                                        ;         Child Loop BB206_34 Depth 4
	v_lshl_or_b32 v2, s9, 7, v6
	ds_read_b128 v[2:5], v2 offset:1024
	v_mov_b32_e32 v9, 0
	s_mov_b32 s23, s8
	s_mov_b32 s24, s17
.LBB206_34:                             ;   Parent Loop BB206_27 Depth=1
                                        ;     Parent Loop BB206_30 Depth=2
                                        ;       Parent Loop BB206_33 Depth=3
                                        ; =>      This Inner Loop Header: Depth=4
	buffer_load_dword v14, v9, s[0:3], 0 offen
	buffer_load_dword v15, v9, s[0:3], 0 offen offset:4
	buffer_load_dword v16, v9, s[0:3], 0 offen offset:8
	buffer_load_dword v17, v9, s[0:3], 0 offen offset:12
	v_mov_b32_e32 v10, s23
	ds_read_b128 v[10:13], v10
	s_add_i32 s24, s24, -1
	s_addk_i32 s23, 0xff80
	s_cmp_eq_u32 s24, 0
	s_waitcnt lgkmcnt(0)
	v_mul_f64 v[18:19], v[4:5], v[12:13]
	v_mul_f64 v[12:13], v[2:3], v[12:13]
	v_fma_f64 v[18:19], v[2:3], v[10:11], -v[18:19]
	v_fmac_f64_e32 v[12:13], v[4:5], v[10:11]
	s_waitcnt vmcnt(2)
	v_add_f64 v[10:11], v[14:15], -v[18:19]
	s_waitcnt vmcnt(0)
	v_add_f64 v[12:13], v[16:17], -v[12:13]
	buffer_store_dword v10, v9, s[0:3], 0 offen
	buffer_store_dword v11, v9, s[0:3], 0 offen offset:4
	buffer_store_dword v12, v9, s[0:3], 0 offen offset:8
	;; [unrolled: 1-line block ×3, first 2 shown]
	v_add_u32_e32 v9, 16, v9
	s_cbranch_scc0 .LBB206_34
; %bb.35:                               ;   in Loop: Header=BB206_33 Depth=3
	s_add_i32 s9, s9, -1
	s_add_i32 s8, s8, -16
	s_cmp_le_i32 s9, s13
	s_cbranch_scc0 .LBB206_33
.LBB206_36:                             ;   in Loop: Header=BB206_30 Depth=2
	s_lshl_b32 s23, s13, 3
	s_mov_b32 s24, 0
	s_mov_b32 s25, s20
	s_branch .LBB206_38
.LBB206_37:                             ;   in Loop: Header=BB206_38 Depth=3
	s_mul_i32 s8, s27, 0x90
	v_mov_b32_e32 v9, s8
	ds_read_b128 v[10:13], v9
	s_lshl_b32 s8, s24, 4
	s_add_i32 s24, s24, 1
	s_addk_i32 s25, 0xff80
	v_add_u32_e32 v9, s8, v7
	s_waitcnt vmcnt(0) lgkmcnt(0)
	v_mul_f64 v[14:15], v[12:13], v[4:5]
	v_mul_f64 v[16:17], v[10:11], v[4:5]
	v_fma_f64 v[14:15], v[10:11], v[2:3], -v[14:15]
	v_fmac_f64_e32 v[16:17], v[12:13], v[2:3]
	v_add_lshl_u32 v2, s26, v0, 4
	s_cmp_eq_u32 s24, s17
	buffer_store_dword v15, v9, s[0:3], 0 offen offset:4
	buffer_store_dword v14, v9, s[0:3], 0 offen
	buffer_store_dword v17, v9, s[0:3], 0 offen offset:12
	buffer_store_dword v16, v9, s[0:3], 0 offen offset:8
	ds_write_b128 v2, v[14:17] offset:1024
	s_cbranch_scc1 .LBB206_29
.LBB206_38:                             ;   Parent Loop BB206_27 Depth=1
                                        ;     Parent Loop BB206_30 Depth=2
                                        ; =>    This Loop Header: Depth=3
                                        ;         Child Loop BB206_40 Depth 4
	s_cmp_lg_u32 s24, 0
	s_cbranch_scc0 .LBB206_42
; %bb.39:                               ;   in Loop: Header=BB206_38 Depth=3
	s_lshl_b32 s8, s24, 4
	v_add_u32_e32 v9, s8, v7
	buffer_load_dword v2, v9, s[0:3], 0 offen
	buffer_load_dword v3, v9, s[0:3], 0 offen offset:4
	buffer_load_dword v4, v9, s[0:3], 0 offen offset:8
	;; [unrolled: 1-line block ×3, first 2 shown]
	s_sub_i32 s27, s13, s24
	s_lshl_b32 s26, s27, 3
	v_mov_b32_e32 v10, 0
	s_mov_b32 s8, 0
	s_mov_b32 s9, s25
.LBB206_40:                             ;   Parent Loop BB206_27 Depth=1
                                        ;     Parent Loop BB206_30 Depth=2
                                        ;       Parent Loop BB206_38 Depth=3
                                        ; =>      This Inner Loop Header: Depth=4
	buffer_load_dword v16, v10, s[0:3], 0 offen offset:8
	buffer_load_dword v17, v10, s[0:3], 0 offen offset:12
	buffer_load_dword v18, v10, s[0:3], 0 offen
	buffer_load_dword v19, v10, s[0:3], 0 offen offset:4
	v_mov_b32_e32 v11, s9
	ds_read_b128 v[12:15], v11
	s_add_i32 s8, s8, 1
	s_add_i32 s9, s9, -16
	v_add_u32_e32 v10, 16, v10
	s_cmp_ge_u32 s8, s24
	s_waitcnt vmcnt(2) lgkmcnt(0)
	v_mul_f64 v[20:21], v[14:15], v[16:17]
	v_mul_f64 v[16:17], v[12:13], v[16:17]
	s_waitcnt vmcnt(0)
	v_fma_f64 v[12:13], v[12:13], v[18:19], -v[20:21]
	v_fmac_f64_e32 v[16:17], v[14:15], v[18:19]
	v_add_f64 v[2:3], v[2:3], -v[12:13]
	v_add_f64 v[4:5], v[4:5], -v[16:17]
	buffer_store_dword v2, v9, s[0:3], 0 offen
	buffer_store_dword v3, v9, s[0:3], 0 offen offset:4
	buffer_store_dword v4, v9, s[0:3], 0 offen offset:8
	;; [unrolled: 1-line block ×3, first 2 shown]
	s_cbranch_scc0 .LBB206_40
; %bb.41:                               ;   in Loop: Header=BB206_38 Depth=3
	s_branch .LBB206_37
.LBB206_42:                             ;   in Loop: Header=BB206_38 Depth=3
                                        ; implicit-def: $vgpr2_vgpr3
                                        ; implicit-def: $vgpr4_vgpr5
                                        ; implicit-def: $sgpr27
                                        ; implicit-def: $sgpr26
	s_cbranch_execz .LBB206_37
; %bb.43:                               ;   in Loop: Header=BB206_38 Depth=3
	buffer_load_dword v2, off, s[0:3], 0
	buffer_load_dword v3, off, s[0:3], 0 offset:4
	buffer_load_dword v4, off, s[0:3], 0 offset:8
	;; [unrolled: 1-line block ×3, first 2 shown]
	s_mov_b32 s26, s23
	s_mov_b32 s27, s13
	s_branch .LBB206_37
.LBB206_44:
	s_mov_b64 s[6:7], 0
.LBB206_45:
	s_and_b64 vcc, exec, s[6:7]
	s_cbranch_vccz .LBB206_66
; %bb.46:
	v_mov_b32_e32 v1, 0x400
	s_mov_b32 s7, 0
	v_lshl_or_b32 v1, v0, 4, v1
	v_lshlrev_b32_e32 v6, 4, v0
	v_mov_b32_e32 v7, 0
	s_mov_b32 s6, s7
	s_mov_b32 s12, s7
	s_branch .LBB206_48
.LBB206_47:                             ;   in Loop: Header=BB206_48 Depth=1
	s_cmp_ge_i32 s12, s33
	s_cselect_b64 s[8:9], -1, 0
	s_add_i32 s6, s6, 1
	s_cmp_eq_u32 s6, 3
	s_cselect_b64 s[14:15], -1, 0
	s_or_b64 s[8:9], s[8:9], s[14:15]
	s_and_b64 vcc, exec, s[8:9]
	s_cbranch_vccnz .LBB206_66
.LBB206_48:                             ; =>This Loop Header: Depth=1
                                        ;     Child Loop BB206_51 Depth 2
                                        ;       Child Loop BB206_52 Depth 3
                                        ;       Child Loop BB206_55 Depth 3
                                        ;         Child Loop BB206_56 Depth 4
                                        ;       Child Loop BB206_60 Depth 3
                                        ;         Child Loop BB206_62 Depth 4
	s_lshl_b64 s[8:9], s[6:7], 2
	s_getpc_b64 s[14:15]
	s_add_u32 s14, s14, __const._ZL38rocblas_trsm_small_left_device_sharedBILi8ELi8ELb1E19rocblas_complex_numIdES1_PKS1_PS1_Ev13rocblas_fill_18rocblas_operation_17rocblas_diagonal_iiT3_T4_lilT5_lili.step_sizes@rel32@lo+4
	s_addc_u32 s15, s15, __const._ZL38rocblas_trsm_small_left_device_sharedBILi8ELi8ELb1E19rocblas_complex_numIdES1_PKS1_PS1_Ev13rocblas_fill_18rocblas_operation_17rocblas_diagonal_iiT3_T4_lilT5_lili.step_sizes@rel32@hi+12
	s_add_u32 s8, s8, s14
	s_addc_u32 s9, s9, s15
	s_load_dword s13, s[8:9], 0x0
	s_waitcnt lgkmcnt(0)
	s_add_i32 s14, s13, -1
	s_add_i32 s8, s14, s12
	s_cmp_ge_i32 s8, s33
	s_cbranch_scc1 .LBB206_47
; %bb.49:                               ;   in Loop: Header=BB206_48 Depth=1
	s_max_i32 s15, s13, 1
	v_lshl_add_u32 v8, s12, 7, v1
	s_lshl_b32 s17, s13, 7
	s_lshl_b32 s18, s12, 4
	;; [unrolled: 1-line block ×3, first 2 shown]
	s_mul_i32 s20, s12, 0x90
	s_mul_i32 s21, s13, 0x90
	s_branch .LBB206_51
.LBB206_50:                             ;   in Loop: Header=BB206_51 Depth=2
	s_add_i32 s12, s12, s13
	s_add_i32 s8, s14, s12
	;; [unrolled: 1-line block ×4, first 2 shown]
	s_cmp_ge_i32 s8, s33
	v_add_u32_e32 v8, s17, v8
	s_cbranch_scc1 .LBB206_47
.LBB206_51:                             ;   Parent Loop BB206_48 Depth=1
                                        ; =>  This Loop Header: Depth=2
                                        ;       Child Loop BB206_52 Depth 3
                                        ;       Child Loop BB206_55 Depth 3
                                        ;         Child Loop BB206_56 Depth 4
                                        ;       Child Loop BB206_60 Depth 3
                                        ;         Child Loop BB206_62 Depth 4
	v_mov_b32_e32 v2, 0
	v_mov_b32_e32 v3, v8
	s_mov_b32 s8, s15
.LBB206_52:                             ;   Parent Loop BB206_48 Depth=1
                                        ;     Parent Loop BB206_51 Depth=2
                                        ; =>    This Inner Loop Header: Depth=3
	ds_read_b128 v[10:13], v3
	s_add_i32 s8, s8, -1
	v_add_u32_e32 v3, 0x80, v3
	s_cmp_eq_u32 s8, 0
	s_waitcnt lgkmcnt(0)
	buffer_store_dword v13, v2, s[0:3], 0 offen offset:12
	buffer_store_dword v12, v2, s[0:3], 0 offen offset:8
	;; [unrolled: 1-line block ×3, first 2 shown]
	buffer_store_dword v10, v2, s[0:3], 0 offen
	v_add_u32_e32 v2, 16, v2
	s_cbranch_scc0 .LBB206_52
; %bb.53:                               ;   in Loop: Header=BB206_51 Depth=2
	s_cmp_lt_i32 s12, 1
	s_cbranch_scc1 .LBB206_58
; %bb.54:                               ;   in Loop: Header=BB206_51 Depth=2
	s_mov_b32 s8, 0
	s_mov_b32 s9, s18
.LBB206_55:                             ;   Parent Loop BB206_48 Depth=1
                                        ;     Parent Loop BB206_51 Depth=2
                                        ; =>    This Loop Header: Depth=3
                                        ;         Child Loop BB206_56 Depth 4
	v_lshl_or_b32 v2, s8, 7, v6
	ds_read_b128 v[2:5], v2 offset:1024
	v_mov_b32_e32 v9, 0
	s_mov_b32 s23, s9
	s_mov_b32 s24, s15
.LBB206_56:                             ;   Parent Loop BB206_48 Depth=1
                                        ;     Parent Loop BB206_51 Depth=2
                                        ;       Parent Loop BB206_55 Depth=3
                                        ; =>      This Inner Loop Header: Depth=4
	buffer_load_dword v14, v9, s[0:3], 0 offen
	buffer_load_dword v15, v9, s[0:3], 0 offen offset:4
	buffer_load_dword v16, v9, s[0:3], 0 offen offset:8
	;; [unrolled: 1-line block ×3, first 2 shown]
	v_mov_b32_e32 v10, s23
	ds_read_b128 v[10:13], v10
	s_add_i32 s24, s24, -1
	s_add_i32 s23, s23, 16
	s_cmp_eq_u32 s24, 0
	s_waitcnt lgkmcnt(0)
	v_mul_f64 v[18:19], v[4:5], v[12:13]
	v_mul_f64 v[12:13], v[2:3], v[12:13]
	v_fma_f64 v[18:19], v[2:3], v[10:11], -v[18:19]
	v_fmac_f64_e32 v[12:13], v[4:5], v[10:11]
	s_waitcnt vmcnt(2)
	v_add_f64 v[10:11], v[14:15], -v[18:19]
	s_waitcnt vmcnt(0)
	v_add_f64 v[12:13], v[16:17], -v[12:13]
	buffer_store_dword v10, v9, s[0:3], 0 offen
	buffer_store_dword v11, v9, s[0:3], 0 offen offset:4
	buffer_store_dword v12, v9, s[0:3], 0 offen offset:8
	;; [unrolled: 1-line block ×3, first 2 shown]
	v_add_u32_e32 v9, 16, v9
	s_cbranch_scc0 .LBB206_56
; %bb.57:                               ;   in Loop: Header=BB206_55 Depth=3
	s_add_i32 s8, s8, 1
	s_addk_i32 s9, 0x80
	s_cmp_ge_i32 s8, s12
	s_cbranch_scc0 .LBB206_55
.LBB206_58:                             ;   in Loop: Header=BB206_51 Depth=2
	s_mov_b32 s23, 0
	s_mov_b32 s24, s20
	s_branch .LBB206_60
.LBB206_59:                             ;   in Loop: Header=BB206_60 Depth=3
	s_mul_i32 s8, s25, 0x90
	v_mov_b32_e32 v9, s8
	ds_read_b128 v[10:13], v9
	s_lshl_b32 s8, s23, 4
	s_add_i32 s23, s23, 1
	s_add_i32 s24, s24, 16
	v_add_u32_e32 v9, s8, v7
	s_waitcnt vmcnt(0) lgkmcnt(0)
	v_mul_f64 v[14:15], v[12:13], v[4:5]
	v_mul_f64 v[16:17], v[10:11], v[4:5]
	v_fma_f64 v[14:15], v[10:11], v[2:3], -v[14:15]
	v_fmac_f64_e32 v[16:17], v[12:13], v[2:3]
	v_lshl_or_b32 v2, s25, 7, v6
	s_cmp_eq_u32 s23, s15
	buffer_store_dword v15, v9, s[0:3], 0 offen offset:4
	buffer_store_dword v14, v9, s[0:3], 0 offen
	buffer_store_dword v17, v9, s[0:3], 0 offen offset:12
	buffer_store_dword v16, v9, s[0:3], 0 offen offset:8
	ds_write_b128 v2, v[14:17] offset:1024
	s_cbranch_scc1 .LBB206_50
.LBB206_60:                             ;   Parent Loop BB206_48 Depth=1
                                        ;     Parent Loop BB206_51 Depth=2
                                        ; =>    This Loop Header: Depth=3
                                        ;         Child Loop BB206_62 Depth 4
	s_cmp_lg_u32 s23, 0
	s_cbranch_scc0 .LBB206_64
; %bb.61:                               ;   in Loop: Header=BB206_60 Depth=3
	s_lshl_b32 s8, s23, 4
	v_add_u32_e32 v9, s8, v7
	buffer_load_dword v2, v9, s[0:3], 0 offen
	buffer_load_dword v3, v9, s[0:3], 0 offen offset:4
	buffer_load_dword v4, v9, s[0:3], 0 offen offset:8
	;; [unrolled: 1-line block ×3, first 2 shown]
	s_add_i32 s25, s23, s12
	v_mov_b32_e32 v10, 0
	s_mov_b32 s8, 0
	s_mov_b32 s9, s24
.LBB206_62:                             ;   Parent Loop BB206_48 Depth=1
                                        ;     Parent Loop BB206_51 Depth=2
                                        ;       Parent Loop BB206_60 Depth=3
                                        ; =>      This Inner Loop Header: Depth=4
	buffer_load_dword v16, v10, s[0:3], 0 offen offset:8
	buffer_load_dword v17, v10, s[0:3], 0 offen offset:12
	buffer_load_dword v18, v10, s[0:3], 0 offen
	buffer_load_dword v19, v10, s[0:3], 0 offen offset:4
	v_mov_b32_e32 v11, s9
	ds_read_b128 v[12:15], v11
	s_add_i32 s8, s8, 1
	s_addk_i32 s9, 0x80
	v_add_u32_e32 v10, 16, v10
	s_cmp_ge_u32 s8, s23
	s_waitcnt vmcnt(2) lgkmcnt(0)
	v_mul_f64 v[20:21], v[14:15], v[16:17]
	v_mul_f64 v[16:17], v[12:13], v[16:17]
	s_waitcnt vmcnt(0)
	v_fma_f64 v[12:13], v[12:13], v[18:19], -v[20:21]
	v_fmac_f64_e32 v[16:17], v[14:15], v[18:19]
	v_add_f64 v[2:3], v[2:3], -v[12:13]
	v_add_f64 v[4:5], v[4:5], -v[16:17]
	buffer_store_dword v2, v9, s[0:3], 0 offen
	buffer_store_dword v3, v9, s[0:3], 0 offen offset:4
	buffer_store_dword v4, v9, s[0:3], 0 offen offset:8
	;; [unrolled: 1-line block ×3, first 2 shown]
	s_cbranch_scc0 .LBB206_62
; %bb.63:                               ;   in Loop: Header=BB206_60 Depth=3
	s_branch .LBB206_59
.LBB206_64:                             ;   in Loop: Header=BB206_60 Depth=3
                                        ; implicit-def: $vgpr2_vgpr3
                                        ; implicit-def: $vgpr4_vgpr5
                                        ; implicit-def: $sgpr25
	s_cbranch_execz .LBB206_59
; %bb.65:                               ;   in Loop: Header=BB206_60 Depth=3
	buffer_load_dword v2, off, s[0:3], 0
	buffer_load_dword v3, off, s[0:3], 0 offset:4
	buffer_load_dword v4, off, s[0:3], 0 offset:8
	;; [unrolled: 1-line block ×3, first 2 shown]
	s_mov_b32 s25, s12
	s_branch .LBB206_59
.LBB206_66:
	s_waitcnt lgkmcnt(0)
	; wave barrier
	s_waitcnt lgkmcnt(0)
	s_and_saveexec_b64 s[6:7], s[4:5]
	s_cbranch_execz .LBB206_75
; %bb.67:
	v_mad_i64_i32 v[2:3], s[4:5], s16, v0, 0
	v_lshlrev_b64 v[8:9], 4, v[2:3]
	v_lshlrev_b32_e32 v2, 4, v0
	ds_read2_b64 v[4:7], v2 offset0:128 offset1:129
	v_mov_b32_e32 v1, s11
	v_add_co_u32_e32 v0, vcc, s10, v8
	v_addc_co_u32_e32 v1, vcc, v1, v9, vcc
	s_cmp_eq_u32 s22, 1
	s_waitcnt lgkmcnt(0)
	global_store_dwordx4 v[0:1], v[4:7], off
	s_cbranch_scc1 .LBB206_75
; %bb.68:
	v_or_b32_e32 v2, 0x400, v2
	ds_read2_b64 v[4:7], v2 offset0:16 offset1:17
	s_cmp_eq_u32 s22, 2
	s_waitcnt lgkmcnt(0)
	global_store_dwordx4 v[0:1], v[4:7], off offset:16
	s_cbranch_scc1 .LBB206_75
; %bb.69:
	ds_read2_b64 v[4:7], v2 offset0:32 offset1:33
	s_cmp_eq_u32 s22, 3
	s_waitcnt lgkmcnt(0)
	global_store_dwordx4 v[0:1], v[4:7], off offset:32
	s_cbranch_scc1 .LBB206_75
; %bb.70:
	;; [unrolled: 6-line block ×6, first 2 shown]
	ds_read2_b64 v[2:5], v2 offset0:112 offset1:113
	s_waitcnt lgkmcnt(0)
	global_store_dwordx4 v[0:1], v[2:5], off offset:112
.LBB206_75:
	s_endpgm
	.section	.rodata,"a",@progbits
	.p2align	6, 0x0
	.amdhsa_kernel _ZL38rocblas_trsm_small_left_device_sharedBILi8ELi8ELb1E19rocblas_complex_numIdES1_PKS1_PS1_Ev13rocblas_fill_18rocblas_operation_17rocblas_diagonal_iiT3_T4_lilT5_lili
		.amdhsa_group_segment_fixed_size 2048
		.amdhsa_private_segment_fixed_size 144
		.amdhsa_kernarg_size 368
		.amdhsa_user_sgpr_count 8
		.amdhsa_user_sgpr_private_segment_buffer 1
		.amdhsa_user_sgpr_dispatch_ptr 0
		.amdhsa_user_sgpr_queue_ptr 0
		.amdhsa_user_sgpr_kernarg_segment_ptr 1
		.amdhsa_user_sgpr_dispatch_id 0
		.amdhsa_user_sgpr_flat_scratch_init 1
		.amdhsa_user_sgpr_kernarg_preload_length 0
		.amdhsa_user_sgpr_kernarg_preload_offset 0
		.amdhsa_user_sgpr_private_segment_size 0
		.amdhsa_uses_dynamic_stack 0
		.amdhsa_system_sgpr_private_segment_wavefront_offset 1
		.amdhsa_system_sgpr_workgroup_id_x 1
		.amdhsa_system_sgpr_workgroup_id_y 0
		.amdhsa_system_sgpr_workgroup_id_z 1
		.amdhsa_system_sgpr_workgroup_info 0
		.amdhsa_system_vgpr_workitem_id 0
		.amdhsa_next_free_vgpr 23
		.amdhsa_next_free_sgpr 43
		.amdhsa_accum_offset 24
		.amdhsa_reserve_vcc 1
		.amdhsa_reserve_flat_scratch 0
		.amdhsa_float_round_mode_32 0
		.amdhsa_float_round_mode_16_64 0
		.amdhsa_float_denorm_mode_32 3
		.amdhsa_float_denorm_mode_16_64 3
		.amdhsa_dx10_clamp 1
		.amdhsa_ieee_mode 1
		.amdhsa_fp16_overflow 0
		.amdhsa_tg_split 0
		.amdhsa_exception_fp_ieee_invalid_op 0
		.amdhsa_exception_fp_denorm_src 0
		.amdhsa_exception_fp_ieee_div_zero 0
		.amdhsa_exception_fp_ieee_overflow 0
		.amdhsa_exception_fp_ieee_underflow 0
		.amdhsa_exception_fp_ieee_inexact 0
		.amdhsa_exception_int_div_zero 0
	.end_amdhsa_kernel
	.section	.text._ZL38rocblas_trsm_small_left_device_sharedBILi8ELi8ELb1E19rocblas_complex_numIdES1_PKS1_PS1_Ev13rocblas_fill_18rocblas_operation_17rocblas_diagonal_iiT3_T4_lilT5_lili,"axG",@progbits,_ZL38rocblas_trsm_small_left_device_sharedBILi8ELi8ELb1E19rocblas_complex_numIdES1_PKS1_PS1_Ev13rocblas_fill_18rocblas_operation_17rocblas_diagonal_iiT3_T4_lilT5_lili,comdat
.Lfunc_end206:
	.size	_ZL38rocblas_trsm_small_left_device_sharedBILi8ELi8ELb1E19rocblas_complex_numIdES1_PKS1_PS1_Ev13rocblas_fill_18rocblas_operation_17rocblas_diagonal_iiT3_T4_lilT5_lili, .Lfunc_end206-_ZL38rocblas_trsm_small_left_device_sharedBILi8ELi8ELb1E19rocblas_complex_numIdES1_PKS1_PS1_Ev13rocblas_fill_18rocblas_operation_17rocblas_diagonal_iiT3_T4_lilT5_lili
                                        ; -- End function
	.section	.AMDGPU.csdata,"",@progbits
; Kernel info:
; codeLenInByte = 3844
; NumSgprs: 47
; NumVgprs: 23
; NumAgprs: 0
; TotalNumVgprs: 23
; ScratchSize: 144
; MemoryBound: 0
; FloatMode: 240
; IeeeMode: 1
; LDSByteSize: 2048 bytes/workgroup (compile time only)
; SGPRBlocks: 5
; VGPRBlocks: 2
; NumSGPRsForWavesPerEU: 47
; NumVGPRsForWavesPerEU: 23
; AccumOffset: 24
; Occupancy: 8
; WaveLimiterHint : 0
; COMPUTE_PGM_RSRC2:SCRATCH_EN: 1
; COMPUTE_PGM_RSRC2:USER_SGPR: 8
; COMPUTE_PGM_RSRC2:TRAP_HANDLER: 0
; COMPUTE_PGM_RSRC2:TGID_X_EN: 1
; COMPUTE_PGM_RSRC2:TGID_Y_EN: 0
; COMPUTE_PGM_RSRC2:TGID_Z_EN: 1
; COMPUTE_PGM_RSRC2:TIDIG_COMP_CNT: 0
; COMPUTE_PGM_RSRC3_GFX90A:ACCUM_OFFSET: 5
; COMPUTE_PGM_RSRC3_GFX90A:TG_SPLIT: 0
	.section	.text._ZL30rocblas_trsm_small_left_deviceILi8ELi8ELb1E19rocblas_complex_numIdES1_PKS1_PS1_Ev13rocblas_fill_18rocblas_operation_17rocblas_diagonal_iiT3_T4_lilT5_lili,"axG",@progbits,_ZL30rocblas_trsm_small_left_deviceILi8ELi8ELb1E19rocblas_complex_numIdES1_PKS1_PS1_Ev13rocblas_fill_18rocblas_operation_17rocblas_diagonal_iiT3_T4_lilT5_lili,comdat
	.globl	_ZL30rocblas_trsm_small_left_deviceILi8ELi8ELb1E19rocblas_complex_numIdES1_PKS1_PS1_Ev13rocblas_fill_18rocblas_operation_17rocblas_diagonal_iiT3_T4_lilT5_lili ; -- Begin function _ZL30rocblas_trsm_small_left_deviceILi8ELi8ELb1E19rocblas_complex_numIdES1_PKS1_PS1_Ev13rocblas_fill_18rocblas_operation_17rocblas_diagonal_iiT3_T4_lilT5_lili
	.p2align	8
	.type	_ZL30rocblas_trsm_small_left_deviceILi8ELi8ELb1E19rocblas_complex_numIdES1_PKS1_PS1_Ev13rocblas_fill_18rocblas_operation_17rocblas_diagonal_iiT3_T4_lilT5_lili,@function
_ZL30rocblas_trsm_small_left_deviceILi8ELi8ELb1E19rocblas_complex_numIdES1_PKS1_PS1_Ev13rocblas_fill_18rocblas_operation_17rocblas_diagonal_iiT3_T4_lilT5_lili: ; @_ZL30rocblas_trsm_small_left_deviceILi8ELi8ELb1E19rocblas_complex_numIdES1_PKS1_PS1_Ev13rocblas_fill_18rocblas_operation_17rocblas_diagonal_iiT3_T4_lilT5_lili
; %bb.0:
	s_load_dwordx4 s[20:23], s[6:7], 0x4
	s_load_dwordx8 s[12:19], s[6:7], 0x18
	s_load_dwordx4 s[0:3], s[6:7], 0x40
	s_load_dwordx2 s[10:11], s[6:7], 0x50
	s_load_dword s36, s[6:7], 0x70
	v_and_b32_e32 v1, 0x3ff, v0
	s_waitcnt lgkmcnt(0)
	s_min_i32 s22, s22, 8
	s_mov_b32 s37, 0
	s_add_i32 s33, s22, -1
	v_cmp_gt_i32_e32 vcc, s22, v1
	s_and_saveexec_b64 s[24:25], vcc
	s_cbranch_execz .LBB207_15
; %bb.1:
	s_load_dword s26, s[6:7], 0x38
	v_lshlrev_b32_e32 v4, 4, v1
	s_mul_i32 s38, s1, s9
	s_mul_hi_u32 s39, s0, s9
	s_mul_i32 s28, s0, s9
	s_waitcnt lgkmcnt(0)
	s_ashr_i32 s27, s26, 31
	s_cmpk_eq_i32 s20, 0x71
	s_cselect_b64 vcc, -1, 0
	s_cmp_lt_u32 s33, 3
	s_cbranch_scc1 .LBB207_4
; %bb.2:
	s_add_i32 s29, s39, s38
	s_and_b32 s37, s22, -4
	s_lshl_b64 s[0:1], s[28:29], 4
	s_lshl_b64 s[30:31], s[18:19], 4
	s_add_u32 s0, s0, s30
	s_addc_u32 s1, s1, s31
	s_add_u32 s0, s16, s0
	v_lshlrev_b32_e32 v2, 4, v1
	s_addc_u32 s1, s17, s1
	v_mov_b32_e32 v3, s1
	v_add_co_u32_e64 v2, s[0:1], s0, v2
	v_addc_co_u32_e64 v3, s[0:1], 0, v3, s[0:1]
	v_add_co_u32_e64 v2, s[0:1], 8, v2
	s_lshl_b64 s[30:31], s[26:27], 6
	s_lshl_b64 s[34:35], s[26:27], 4
	v_addc_co_u32_e64 v3, s[0:1], 0, v3, s[0:1]
	s_mov_b32 s29, 0
	v_mov_b32_e32 v5, s35
	v_mov_b32_e32 v6, s31
	;; [unrolled: 1-line block ×3, first 2 shown]
.LBB207_3:                              ; =>This Inner Loop Header: Depth=1
	v_add_co_u32_e64 v20, s[0:1], s34, v2
	v_addc_co_u32_e64 v21, s[0:1], v3, v5, s[0:1]
	v_add_co_u32_e64 v22, s[0:1], s34, v20
	global_load_dwordx4 v[8:11], v[2:3], off offset:-8
	v_addc_co_u32_e64 v23, s[0:1], v21, v5, s[0:1]
	global_load_dwordx4 v[12:15], v[20:21], off offset:-8
	global_load_dwordx4 v[16:19], v[22:23], off offset:-8
	v_add_co_u32_e64 v20, s[0:1], s34, v22
	v_addc_co_u32_e64 v21, s[0:1], v23, v5, s[0:1]
	global_load_dwordx4 v[20:23], v[20:21], off offset:-8
	s_add_i32 s29, s29, 4
	v_add_co_u32_e64 v2, s[0:1], s30, v2
	s_cmp_eq_u32 s37, s29
	v_addc_co_u32_e64 v3, s[0:1], v3, v6, s[0:1]
	s_waitcnt vmcnt(3)
	v_xor_b32_e32 v24, 0x80000000, v11
	v_cndmask_b32_e32 v11, v11, v24, vcc
	ds_write_b128 v7, v[8:11]
	s_waitcnt vmcnt(1)
	v_xor_b32_e32 v8, 0x80000000, v19
	v_xor_b32_e32 v24, 0x80000000, v15
	v_cndmask_b32_e32 v19, v19, v8, vcc
	v_cndmask_b32_e32 v15, v15, v24, vcc
	ds_write_b128 v7, v[12:15] offset:128
	s_waitcnt vmcnt(0)
	v_xor_b32_e32 v8, 0x80000000, v23
	v_cndmask_b32_e32 v23, v23, v8, vcc
	ds_write_b128 v7, v[16:19] offset:256
	ds_write_b128 v7, v[20:23] offset:384
	v_add_u32_e32 v7, 0x200, v7
	s_cbranch_scc0 .LBB207_3
.LBB207_4:
	s_and_b32 s30, s22, 3
	s_cmp_eq_u32 s30, 0
	s_cbranch_scc1 .LBB207_7
; %bb.5:
	s_add_i32 s29, s39, s38
	s_lshl_b64 s[0:1], s[28:29], 4
	s_mul_i32 s28, s27, s37
	s_mul_hi_u32 s29, s26, s37
	s_add_i32 s29, s29, s28
	s_mul_i32 s28, s26, s37
	s_lshl_b64 s[28:29], s[28:29], 4
	s_add_u32 s28, s0, s28
	s_addc_u32 s29, s1, s29
	s_lshl_b64 s[0:1], s[18:19], 4
	s_add_u32 s0, s28, s0
	s_addc_u32 s1, s29, s1
	s_add_u32 s0, s16, s0
	s_addc_u32 s1, s17, s1
	v_mov_b32_e32 v2, s1
	v_add_co_u32_e64 v3, s[0:1], s0, v4
	v_lshl_or_b32 v5, s37, 7, v4
	v_addc_co_u32_e64 v4, s[0:1], 0, v2, s[0:1]
	v_add_co_u32_e64 v2, s[0:1], 8, v3
	s_lshl_b64 s[16:17], s[26:27], 4
	v_addc_co_u32_e64 v3, s[0:1], 0, v4, s[0:1]
	v_mov_b32_e32 v4, s17
.LBB207_6:                              ; =>This Inner Loop Header: Depth=1
	global_load_dwordx4 v[6:9], v[2:3], off offset:-8
	v_add_co_u32_e64 v2, s[0:1], s16, v2
	s_add_i32 s30, s30, -1
	v_addc_co_u32_e64 v3, s[0:1], v3, v4, s[0:1]
	s_cmp_lg_u32 s30, 0
	s_waitcnt vmcnt(0)
	v_xor_b32_e32 v10, 0x80000000, v9
	v_cndmask_b32_e32 v9, v9, v10, vcc
	ds_write_b128 v5, v[6:9]
	v_add_u32_e32 v5, 0x80, v5
	s_cbranch_scc1 .LBB207_6
.LBB207_7:
	v_mul_u32_u24_e32 v2, 9, v1
	s_cmpk_lg_i32 s21, 0x84
	v_lshlrev_b32_e32 v10, 4, v2
	s_cbranch_scc0 .LBB207_13
; %bb.8:
	ds_read_b128 v[2:5], v10
	s_waitcnt lgkmcnt(0)
	v_xor_b32_e32 v7, 0x80000000, v3
	v_cmp_gt_f64_e32 vcc, 0, v[2:3]
	v_xor_b32_e32 v8, 0x80000000, v5
	v_cndmask_b32_e32 v7, v3, v7, vcc
	v_cmp_gt_f64_e32 vcc, 0, v[4:5]
	v_mov_b32_e32 v6, v2
	v_cndmask_b32_e32 v9, v5, v8, vcc
	v_mov_b32_e32 v8, v4
	v_cmp_ngt_f64_e32 vcc, v[6:7], v[8:9]
                                        ; implicit-def: $vgpr8_vgpr9
	s_and_saveexec_b64 s[0:1], vcc
	s_xor_b64 s[0:1], exec, s[0:1]
	s_cbranch_execz .LBB207_10
; %bb.9:
	v_div_scale_f64 v[6:7], s[16:17], v[4:5], v[4:5], v[2:3]
	v_rcp_f64_e32 v[8:9], v[6:7]
	v_div_scale_f64 v[12:13], vcc, v[2:3], v[4:5], v[2:3]
	v_fma_f64 v[14:15], -v[6:7], v[8:9], 1.0
	v_fmac_f64_e32 v[8:9], v[8:9], v[14:15]
	v_fma_f64 v[14:15], -v[6:7], v[8:9], 1.0
	v_fmac_f64_e32 v[8:9], v[8:9], v[14:15]
	v_mul_f64 v[14:15], v[12:13], v[8:9]
	v_fma_f64 v[6:7], -v[6:7], v[14:15], v[12:13]
	v_div_fmas_f64 v[6:7], v[6:7], v[8:9], v[14:15]
	v_div_fixup_f64 v[8:9], v[6:7], v[4:5], v[2:3]
	v_fmac_f64_e32 v[4:5], v[2:3], v[8:9]
	v_div_scale_f64 v[2:3], s[16:17], v[4:5], v[4:5], 1.0
	v_rcp_f64_e32 v[6:7], v[2:3]
	v_fma_f64 v[12:13], -v[2:3], v[6:7], 1.0
	v_fmac_f64_e32 v[6:7], v[6:7], v[12:13]
	v_fma_f64 v[12:13], -v[2:3], v[6:7], 1.0
	v_fmac_f64_e32 v[6:7], v[6:7], v[12:13]
	v_div_scale_f64 v[12:13], vcc, 1.0, v[4:5], 1.0
	v_mul_f64 v[14:15], v[12:13], v[6:7]
	v_fma_f64 v[2:3], -v[2:3], v[14:15], v[12:13]
	s_nop 1
	v_div_fmas_f64 v[2:3], v[2:3], v[6:7], v[14:15]
	v_div_fixup_f64 v[2:3], v[2:3], v[4:5], 1.0
	v_add_f64 v[4:5], v[8:9], 0
	v_mul_f64 v[6:7], v[4:5], v[2:3]
	v_fma_f64 v[4:5], v[8:9], 0, -1.0
	v_mul_f64 v[8:9], v[4:5], v[2:3]
                                        ; implicit-def: $vgpr2_vgpr3
.LBB207_10:
	s_andn2_saveexec_b64 s[0:1], s[0:1]
	s_cbranch_execz .LBB207_12
; %bb.11:
	v_div_scale_f64 v[6:7], s[16:17], v[2:3], v[2:3], v[4:5]
	v_rcp_f64_e32 v[8:9], v[6:7]
	v_div_scale_f64 v[12:13], vcc, v[4:5], v[2:3], v[4:5]
	v_fma_f64 v[14:15], -v[6:7], v[8:9], 1.0
	v_fmac_f64_e32 v[8:9], v[8:9], v[14:15]
	v_fma_f64 v[14:15], -v[6:7], v[8:9], 1.0
	v_fmac_f64_e32 v[8:9], v[8:9], v[14:15]
	v_mul_f64 v[14:15], v[12:13], v[8:9]
	v_fma_f64 v[6:7], -v[6:7], v[14:15], v[12:13]
	v_div_fmas_f64 v[6:7], v[6:7], v[8:9], v[14:15]
	v_div_fixup_f64 v[8:9], v[6:7], v[2:3], v[4:5]
	v_fmac_f64_e32 v[2:3], v[4:5], v[8:9]
	v_div_scale_f64 v[4:5], s[16:17], v[2:3], v[2:3], 1.0
	v_rcp_f64_e32 v[6:7], v[4:5]
	v_fma_f64 v[12:13], -v[4:5], v[6:7], 1.0
	v_fmac_f64_e32 v[6:7], v[6:7], v[12:13]
	v_fma_f64 v[12:13], -v[4:5], v[6:7], 1.0
	v_fmac_f64_e32 v[6:7], v[6:7], v[12:13]
	v_div_scale_f64 v[12:13], vcc, 1.0, v[2:3], 1.0
	v_mul_f64 v[14:15], v[12:13], v[6:7]
	v_fma_f64 v[4:5], -v[4:5], v[14:15], v[12:13]
	s_nop 1
	v_div_fmas_f64 v[4:5], v[4:5], v[6:7], v[14:15]
	v_div_fixup_f64 v[2:3], v[4:5], v[2:3], 1.0
	v_fma_f64 v[4:5], v[8:9], 0, 1.0
	v_mul_f64 v[6:7], v[4:5], v[2:3]
	v_add_f64 v[4:5], -v[8:9], 0
	v_mul_f64 v[8:9], v[4:5], v[2:3]
.LBB207_12:
	s_or_b64 exec, exec, s[0:1]
	s_branch .LBB207_14
.LBB207_13:
	v_mov_b32_e32 v6, 0
	v_mov_b32_e32 v7, 0x3ff00000
	v_pk_mov_b32 v[8:9], 0, 0
.LBB207_14:
	ds_write_b128 v10, v[6:9]
.LBB207_15:
	s_or_b64 exec, exec, s[24:25]
	s_lshl_b32 s16, s8, 3
	s_add_i32 s36, s36, -1
	s_sub_i32 s0, s23, s16
	s_cmp_ge_u32 s8, s36
	s_cselect_b32 s0, s0, 8
	v_cmp_gt_i32_e32 vcc, s0, v1
	s_waitcnt lgkmcnt(0)
	; wave barrier
	s_waitcnt lgkmcnt(0)
	s_and_saveexec_b64 s[0:1], vcc
	s_cbranch_execz .LBB207_58
; %bb.16:
	s_load_dwordx2 s[0:1], s[4:5], 0x4
	s_load_dword s8, s[6:7], 0x58
	s_load_dwordx2 s[18:19], s[6:7], 0x60
	v_bfe_u32 v2, v0, 10, 10
	v_bfe_u32 v0, v0, 20, 10
	s_waitcnt lgkmcnt(0)
	s_lshr_b32 s0, s0, 16
	s_mul_i32 s0, s0, s1
	v_mul_u32_u24_e32 v2, s1, v2
	v_mul_u32_u24_e32 v3, s0, v1
	s_mul_i32 s0, s9, s19
	s_mul_hi_u32 s1, s9, s18
	s_add_i32 s1, s1, s0
	s_mul_i32 s0, s9, s18
	s_lshl_b64 s[0:1], s[0:1], 4
	s_add_u32 s6, s2, s0
	v_add3_u32 v0, v3, v2, v0
	v_mov_b32_e32 v2, 0x400
	s_addc_u32 s7, s3, s1
	s_lshl_b64 s[4:5], s[10:11], 4
	v_lshl_add_u32 v6, v0, 7, v2
	s_add_u32 s9, s6, s4
	v_add_u32_e32 v0, s16, v1
	s_addc_u32 s10, s7, s5
	v_mad_i64_i32 v[0:1], s[6:7], s8, v0, 0
	v_lshlrev_b64 v[4:5], 4, v[0:1]
	v_mov_b32_e32 v0, s10
	v_add_co_u32_e32 v7, vcc, s9, v4
	v_addc_co_u32_e32 v8, vcc, v0, v5, vcc
	s_cmpk_eq_i32 s20, 0x6f
	s_mov_b64 s[6:7], -1
	s_cbranch_scc1 .LBB207_37
; %bb.17:
	s_add_u32 s6, s2, s4
	s_addc_u32 s7, s3, s5
	s_add_u32 s6, s6, s0
	s_addc_u32 s7, s7, s1
	v_mov_b32_e32 v0, s7
	v_add_co_u32_e32 v1, vcc, s6, v4
	v_addc_co_u32_e32 v0, vcc, v0, v5, vcc
	v_add_co_u32_e32 v9, vcc, 8, v1
	s_lshl_b32 s20, s22, 4
	s_mov_b32 s7, 0
	v_addc_co_u32_e32 v10, vcc, 0, v0, vcc
	s_add_i32 s20, s20, -16
	s_mov_b32 s6, s7
	s_mov_b32 s8, s33
	s_branch .LBB207_19
.LBB207_18:                             ;   in Loop: Header=BB207_19 Depth=1
	s_cmp_lt_i32 s8, 0
	s_cselect_b64 s[10:11], -1, 0
	s_add_i32 s6, s6, 1
	s_cmp_eq_u32 s6, 3
	s_cselect_b64 s[16:17], -1, 0
	s_or_b64 s[10:11], s[10:11], s[16:17]
	s_andn2_b64 vcc, exec, s[10:11]
	s_cbranch_vccz .LBB207_36
.LBB207_19:                             ; =>This Loop Header: Depth=1
                                        ;     Child Loop BB207_22 Depth 2
                                        ;       Child Loop BB207_23 Depth 3
                                        ;       Child Loop BB207_25 Depth 3
                                        ;         Child Loop BB207_26 Depth 4
                                        ;       Child Loop BB207_30 Depth 3
                                        ;         Child Loop BB207_32 Depth 4
	s_lshl_b64 s[10:11], s[6:7], 2
	s_getpc_b64 s[16:17]
	s_add_u32 s16, s16, __const._ZL30rocblas_trsm_small_left_deviceILi8ELi8ELb1E19rocblas_complex_numIdES1_PKS1_PS1_Ev13rocblas_fill_18rocblas_operation_17rocblas_diagonal_iiT3_T4_lilT5_lili.step_sizes@rel32@lo+4
	s_addc_u32 s17, s17, __const._ZL30rocblas_trsm_small_left_deviceILi8ELi8ELb1E19rocblas_complex_numIdES1_PKS1_PS1_Ev13rocblas_fill_18rocblas_operation_17rocblas_diagonal_iiT3_T4_lilT5_lili.step_sizes@rel32@hi+12
	s_add_u32 s10, s10, s16
	s_addc_u32 s11, s11, s17
	s_load_dword s21, s[10:11], 0x0
	s_waitcnt lgkmcnt(0)
	s_add_i32 s23, s21, -1
	s_cmp_lt_i32 s8, s23
	s_cbranch_scc1 .LBB207_18
; %bb.20:                               ;   in Loop: Header=BB207_19 Depth=1
	s_lshl_b32 s9, s8, 7
	s_add_i32 s25, s20, s9
	s_lshl_b32 s9, s21, 7
	s_max_i32 s24, s21, 1
	s_sub_i32 s26, 0, s9
	s_mul_i32 s27, s8, 0x90
	s_mul_i32 s28, s21, 0xffffff70
	s_branch .LBB207_22
.LBB207_21:                             ;   in Loop: Header=BB207_22 Depth=2
	s_sub_i32 s8, s8, s21
	s_add_i32 s25, s25, s26
	s_add_i32 s27, s27, s28
	s_cmp_lt_i32 s8, s23
	s_cbranch_scc1 .LBB207_18
.LBB207_22:                             ;   Parent Loop BB207_19 Depth=1
                                        ; =>  This Loop Header: Depth=2
                                        ;       Child Loop BB207_23 Depth 3
                                        ;       Child Loop BB207_25 Depth 3
                                        ;         Child Loop BB207_26 Depth 4
                                        ;       Child Loop BB207_30 Depth 3
                                        ;         Child Loop BB207_32 Depth 4
	s_ashr_i32 s9, s8, 31
	s_lshl_b64 s[10:11], s[8:9], 4
	v_mov_b32_e32 v1, s11
	v_add_co_u32_e32 v0, vcc, s10, v9
	v_addc_co_u32_e32 v1, vcc, v10, v1, vcc
	v_mov_b32_e32 v2, v6
	s_mov_b32 s10, s24
.LBB207_23:                             ;   Parent Loop BB207_19 Depth=1
                                        ;     Parent Loop BB207_22 Depth=2
                                        ; =>    This Inner Loop Header: Depth=3
	global_load_dwordx4 v[12:15], v[0:1], off offset:-8
	s_add_i32 s10, s10, -1
	v_add_co_u32_e32 v0, vcc, -16, v0
	v_addc_co_u32_e32 v1, vcc, -1, v1, vcc
	s_cmp_eq_u32 s10, 0
	s_waitcnt vmcnt(0)
	v_mul_f64 v[18:19], s[14:15], v[14:15]
	v_mul_f64 v[16:17], s[12:13], v[14:15]
	v_fma_f64 v[14:15], s[12:13], v[12:13], -v[18:19]
	v_fmac_f64_e32 v[16:17], s[14:15], v[12:13]
	ds_write_b128 v2, v[14:17]
	v_add_u32_e32 v2, 16, v2
	s_cbranch_scc0 .LBB207_23
; %bb.24:                               ;   in Loop: Header=BB207_22 Depth=2
	s_cmp_le_i32 s33, s8
	s_mov_b32 s16, s25
	s_mov_b32 s10, s33
	s_cbranch_scc1 .LBB207_28
.LBB207_25:                             ;   Parent Loop BB207_19 Depth=1
                                        ;     Parent Loop BB207_22 Depth=2
                                        ; =>    This Loop Header: Depth=3
                                        ;         Child Loop BB207_26 Depth 4
	s_ashr_i32 s11, s10, 31
	s_lshl_b64 s[18:19], s[10:11], 4
	v_mov_b32_e32 v1, s19
	v_add_co_u32_e32 v0, vcc, s18, v7
	v_addc_co_u32_e32 v1, vcc, v8, v1, vcc
	global_load_dwordx4 v[0:3], v[0:1], off
	v_mov_b32_e32 v11, v6
	s_mov_b32 s11, s16
	s_mov_b32 s17, s24
.LBB207_26:                             ;   Parent Loop BB207_19 Depth=1
                                        ;     Parent Loop BB207_22 Depth=2
                                        ;       Parent Loop BB207_25 Depth=3
                                        ; =>      This Inner Loop Header: Depth=4
	v_mov_b32_e32 v16, s11
	ds_read_b128 v[16:19], v16
	ds_read_b128 v[12:15], v11
	s_add_i32 s17, s17, -1
	s_addk_i32 s11, 0xff80
	s_cmp_eq_u32 s17, 0
	s_waitcnt vmcnt(0) lgkmcnt(1)
	v_mul_f64 v[20:21], v[2:3], v[18:19]
	v_mul_f64 v[18:19], v[0:1], v[18:19]
	v_fma_f64 v[20:21], v[0:1], v[16:17], -v[20:21]
	v_fmac_f64_e32 v[18:19], v[2:3], v[16:17]
	s_waitcnt lgkmcnt(0)
	v_add_f64 v[12:13], v[12:13], -v[20:21]
	v_add_f64 v[14:15], v[14:15], -v[18:19]
	ds_write_b128 v11, v[12:15]
	v_add_u32_e32 v11, 16, v11
	s_cbranch_scc0 .LBB207_26
; %bb.27:                               ;   in Loop: Header=BB207_25 Depth=3
	s_add_i32 s10, s10, -1
	s_add_i32 s16, s16, -16
	s_cmp_le_i32 s10, s8
	s_cbranch_scc0 .LBB207_25
.LBB207_28:                             ;   in Loop: Header=BB207_22 Depth=2
	s_mov_b32 s29, 0
	s_mov_b32 s30, s27
	s_branch .LBB207_30
.LBB207_29:                             ;   in Loop: Header=BB207_30 Depth=3
	s_mulk_i32 s16, 0x90
	v_mov_b32_e32 v12, s16
	ds_read_b128 v[12:15], v12
	s_lshl_b64 s[10:11], s[10:11], 4
	v_mov_b32_e32 v20, s11
	s_add_i32 s29, s29, 1
	s_addk_i32 s30, 0xff80
	s_waitcnt lgkmcnt(0)
	v_mul_f64 v[16:17], v[14:15], v[2:3]
	v_mul_f64 v[18:19], v[12:13], v[2:3]
	v_fma_f64 v[16:17], v[12:13], v[0:1], -v[16:17]
	v_fmac_f64_e32 v[18:19], v[14:15], v[0:1]
	v_add_co_u32_e32 v0, vcc, s10, v7
	v_addc_co_u32_e32 v1, vcc, v8, v20, vcc
	s_cmp_eq_u32 s29, s24
	ds_write_b128 v11, v[16:19]
	global_store_dwordx4 v[0:1], v[16:19], off
	s_cbranch_scc1 .LBB207_21
.LBB207_30:                             ;   Parent Loop BB207_19 Depth=1
                                        ;     Parent Loop BB207_22 Depth=2
                                        ; =>    This Loop Header: Depth=3
                                        ;         Child Loop BB207_32 Depth 4
	s_cmp_lg_u32 s29, 0
	v_lshl_add_u32 v11, s29, 4, v6
	s_cbranch_scc0 .LBB207_34
; %bb.31:                               ;   in Loop: Header=BB207_30 Depth=3
	ds_read_b128 v[0:3], v11
	s_mov_b32 s10, 0
	v_mov_b32_e32 v12, v6
	s_mov_b32 s11, s30
.LBB207_32:                             ;   Parent Loop BB207_19 Depth=1
                                        ;     Parent Loop BB207_22 Depth=2
                                        ;       Parent Loop BB207_30 Depth=3
                                        ; =>      This Inner Loop Header: Depth=4
	v_mov_b32_e32 v13, s11
	ds_read_b128 v[14:17], v12
	ds_read_b128 v[18:21], v13
	s_add_i32 s10, s10, 1
	s_add_i32 s11, s11, -16
	v_add_u32_e32 v12, 16, v12
	s_cmp_ge_u32 s10, s29
	s_waitcnt lgkmcnt(0)
	v_mul_f64 v[22:23], v[20:21], v[16:17]
	v_mul_f64 v[16:17], v[18:19], v[16:17]
	v_fma_f64 v[18:19], v[18:19], v[14:15], -v[22:23]
	v_fmac_f64_e32 v[16:17], v[20:21], v[14:15]
	v_add_f64 v[0:1], v[0:1], -v[18:19]
	v_add_f64 v[2:3], v[2:3], -v[16:17]
	ds_write_b128 v11, v[0:3]
	s_cbranch_scc0 .LBB207_32
; %bb.33:                               ;   in Loop: Header=BB207_30 Depth=3
	s_sub_i32 s16, s8, s29
	s_ashr_i32 s17, s16, 31
	s_mov_b64 s[10:11], s[16:17]
	s_branch .LBB207_29
.LBB207_34:                             ;   in Loop: Header=BB207_30 Depth=3
                                        ; implicit-def: $vgpr0_vgpr1
                                        ; implicit-def: $sgpr16
                                        ; implicit-def: $sgpr10_sgpr11
	s_cbranch_execz .LBB207_29
; %bb.35:                               ;   in Loop: Header=BB207_30 Depth=3
	ds_read_b128 v[0:3], v6
	s_mov_b64 s[10:11], s[8:9]
	s_mov_b32 s16, s8
	s_branch .LBB207_29
.LBB207_36:
	s_mov_b64 s[6:7], 0
.LBB207_37:
	s_and_b64 vcc, exec, s[6:7]
	s_cbranch_vccz .LBB207_58
; %bb.38:
	s_add_u32 s2, s2, s4
	s_addc_u32 s3, s3, s5
	s_add_u32 s0, s2, s0
	s_addc_u32 s1, s3, s1
	v_mov_b32_e32 v0, s1
	v_add_co_u32_e32 v1, vcc, s0, v4
	v_addc_co_u32_e32 v0, vcc, v0, v5, vcc
	v_add_co_u32_e32 v9, vcc, 8, v1
	s_mov_b32 s1, 0
	v_addc_co_u32_e32 v10, vcc, 0, v0, vcc
	s_mov_b32 s2, s1
	s_mov_b32 s4, s1
	s_branch .LBB207_40
.LBB207_39:                             ;   in Loop: Header=BB207_40 Depth=1
	s_cmp_ge_i32 s2, s22
	s_cselect_b64 s[6:7], -1, 0
	s_add_i32 s4, s4, 1
	s_cmp_eq_u32 s4, 3
	s_cselect_b64 s[8:9], -1, 0
	s_or_b64 s[6:7], s[6:7], s[8:9]
	s_and_b64 vcc, exec, s[6:7]
	s_cbranch_vccnz .LBB207_58
.LBB207_40:                             ; =>This Loop Header: Depth=1
                                        ;     Child Loop BB207_43 Depth 2
                                        ;       Child Loop BB207_44 Depth 3
                                        ;       Child Loop BB207_47 Depth 3
                                        ;         Child Loop BB207_48 Depth 4
                                        ;       Child Loop BB207_52 Depth 3
                                        ;         Child Loop BB207_54 Depth 4
	s_mov_b32 s5, s1
	s_lshl_b64 s[6:7], s[4:5], 2
	s_getpc_b64 s[8:9]
	s_add_u32 s8, s8, __const._ZL30rocblas_trsm_small_left_deviceILi8ELi8ELb1E19rocblas_complex_numIdES1_PKS1_PS1_Ev13rocblas_fill_18rocblas_operation_17rocblas_diagonal_iiT3_T4_lilT5_lili.step_sizes@rel32@lo+4
	s_addc_u32 s9, s9, __const._ZL30rocblas_trsm_small_left_deviceILi8ELi8ELb1E19rocblas_complex_numIdES1_PKS1_PS1_Ev13rocblas_fill_18rocblas_operation_17rocblas_diagonal_iiT3_T4_lilT5_lili.step_sizes@rel32@hi+12
	s_add_u32 s6, s6, s8
	s_addc_u32 s7, s7, s9
	s_load_dword s6, s[6:7], 0x0
	s_waitcnt lgkmcnt(0)
	s_add_i32 s5, s6, -1
	s_add_i32 s0, s5, s2
	s_cmp_ge_i32 s0, s22
	s_cbranch_scc1 .LBB207_39
; %bb.41:                               ;   in Loop: Header=BB207_40 Depth=1
	s_ashr_i32 s3, s2, 31
	s_lshl_b64 s[8:9], s[2:3], 4
	v_mov_b32_e32 v0, s9
	v_add_co_u32_e32 v4, vcc, s8, v9
	s_ashr_i32 s7, s6, 31
	s_max_i32 s18, s6, 1
	v_addc_co_u32_e32 v5, vcc, v10, v0, vcc
	s_lshl_b64 s[8:9], s[6:7], 4
	s_lshl_b32 s3, s2, 4
	s_lshl_b32 s7, s6, 4
	s_mul_i32 s19, s2, 0x90
	s_mul_i32 s20, s6, 0x90
	s_branch .LBB207_43
.LBB207_42:                             ;   in Loop: Header=BB207_43 Depth=2
	s_add_i32 s2, s2, s6
	s_add_i32 s0, s5, s2
	v_mov_b32_e32 v0, s9
	s_add_i32 s3, s3, s7
	s_add_i32 s19, s19, s20
	v_add_co_u32_e32 v4, vcc, s8, v4
	s_cmp_ge_i32 s0, s22
	v_addc_co_u32_e32 v5, vcc, v5, v0, vcc
	s_cbranch_scc1 .LBB207_39
.LBB207_43:                             ;   Parent Loop BB207_40 Depth=1
                                        ; =>  This Loop Header: Depth=2
                                        ;       Child Loop BB207_44 Depth 3
                                        ;       Child Loop BB207_47 Depth 3
                                        ;         Child Loop BB207_48 Depth 4
                                        ;       Child Loop BB207_52 Depth 3
                                        ;         Child Loop BB207_54 Depth 4
	v_mov_b32_e32 v2, v6
	v_pk_mov_b32 v[0:1], v[4:5], v[4:5] op_sel:[0,1]
	s_mov_b32 s0, s18
.LBB207_44:                             ;   Parent Loop BB207_40 Depth=1
                                        ;     Parent Loop BB207_43 Depth=2
                                        ; =>    This Inner Loop Header: Depth=3
	global_load_dwordx4 v[12:15], v[0:1], off offset:-8
	s_add_i32 s0, s0, -1
	v_add_co_u32_e32 v0, vcc, 16, v0
	v_addc_co_u32_e32 v1, vcc, 0, v1, vcc
	s_cmp_eq_u32 s0, 0
	s_waitcnt vmcnt(0)
	v_mul_f64 v[18:19], s[14:15], v[14:15]
	v_mul_f64 v[16:17], s[12:13], v[14:15]
	v_fma_f64 v[14:15], s[12:13], v[12:13], -v[18:19]
	v_fmac_f64_e32 v[16:17], s[14:15], v[12:13]
	ds_write_b128 v2, v[14:17]
	v_add_u32_e32 v2, 16, v2
	s_cbranch_scc0 .LBB207_44
; %bb.45:                               ;   in Loop: Header=BB207_43 Depth=2
	s_cmp_lt_i32 s2, 1
	s_cbranch_scc1 .LBB207_50
; %bb.46:                               ;   in Loop: Header=BB207_43 Depth=2
	s_mov_b32 s0, 0
	s_mov_b32 s10, s3
.LBB207_47:                             ;   Parent Loop BB207_40 Depth=1
                                        ;     Parent Loop BB207_43 Depth=2
                                        ; =>    This Loop Header: Depth=3
                                        ;         Child Loop BB207_48 Depth 4
	s_lshl_b64 s[16:17], s[0:1], 4
	v_mov_b32_e32 v1, s17
	v_add_co_u32_e32 v0, vcc, s16, v7
	v_addc_co_u32_e32 v1, vcc, v8, v1, vcc
	global_load_dwordx4 v[0:3], v[0:1], off
	v_mov_b32_e32 v11, v6
	s_mov_b32 s11, s10
	s_mov_b32 s16, s18
.LBB207_48:                             ;   Parent Loop BB207_40 Depth=1
                                        ;     Parent Loop BB207_43 Depth=2
                                        ;       Parent Loop BB207_47 Depth=3
                                        ; =>      This Inner Loop Header: Depth=4
	v_mov_b32_e32 v16, s11
	ds_read_b128 v[16:19], v16
	ds_read_b128 v[12:15], v11
	s_add_i32 s16, s16, -1
	s_add_i32 s11, s11, 16
	s_cmp_eq_u32 s16, 0
	s_waitcnt vmcnt(0) lgkmcnt(1)
	v_mul_f64 v[20:21], v[2:3], v[18:19]
	v_mul_f64 v[18:19], v[0:1], v[18:19]
	v_fma_f64 v[20:21], v[0:1], v[16:17], -v[20:21]
	v_fmac_f64_e32 v[18:19], v[2:3], v[16:17]
	s_waitcnt lgkmcnt(0)
	v_add_f64 v[12:13], v[12:13], -v[20:21]
	v_add_f64 v[14:15], v[14:15], -v[18:19]
	ds_write_b128 v11, v[12:15]
	v_add_u32_e32 v11, 16, v11
	s_cbranch_scc0 .LBB207_48
; %bb.49:                               ;   in Loop: Header=BB207_47 Depth=3
	s_add_i32 s0, s0, 1
	s_addk_i32 s10, 0x80
	s_cmp_ge_i32 s0, s2
	s_cbranch_scc0 .LBB207_47
.LBB207_50:                             ;   in Loop: Header=BB207_43 Depth=2
	s_mov_b32 s0, 0
	s_mov_b32 s21, s19
	s_branch .LBB207_52
.LBB207_51:                             ;   in Loop: Header=BB207_52 Depth=3
	s_mul_i32 s11, s10, 0x90
	v_mov_b32_e32 v12, s11
	ds_read_b128 v[12:15], v12
	s_ashr_i32 s11, s10, 31
	s_lshl_b64 s[10:11], s[10:11], 4
	s_add_i32 s0, s0, 1
	s_add_i32 s21, s21, 16
	s_waitcnt lgkmcnt(0)
	v_mul_f64 v[16:17], v[14:15], v[2:3]
	v_mul_f64 v[18:19], v[12:13], v[2:3]
	v_fma_f64 v[16:17], v[12:13], v[0:1], -v[16:17]
	v_fmac_f64_e32 v[18:19], v[14:15], v[0:1]
	v_mov_b32_e32 v1, s11
	v_add_co_u32_e32 v0, vcc, s10, v7
	v_addc_co_u32_e32 v1, vcc, v8, v1, vcc
	s_cmp_eq_u32 s0, s18
	ds_write_b128 v11, v[16:19]
	global_store_dwordx4 v[0:1], v[16:19], off
	s_cbranch_scc1 .LBB207_42
.LBB207_52:                             ;   Parent Loop BB207_40 Depth=1
                                        ;     Parent Loop BB207_43 Depth=2
                                        ; =>    This Loop Header: Depth=3
                                        ;         Child Loop BB207_54 Depth 4
	s_cmp_lg_u32 s0, 0
	v_lshl_add_u32 v11, s0, 4, v6
	s_cbranch_scc0 .LBB207_56
; %bb.53:                               ;   in Loop: Header=BB207_52 Depth=3
	ds_read_b128 v[0:3], v11
	s_add_i32 s10, s0, s2
	s_mov_b32 s11, 0
	v_mov_b32_e32 v12, v6
	s_mov_b32 s16, s21
.LBB207_54:                             ;   Parent Loop BB207_40 Depth=1
                                        ;     Parent Loop BB207_43 Depth=2
                                        ;       Parent Loop BB207_52 Depth=3
                                        ; =>      This Inner Loop Header: Depth=4
	v_mov_b32_e32 v13, s16
	ds_read_b128 v[14:17], v12
	ds_read_b128 v[18:21], v13
	s_add_i32 s11, s11, 1
	s_addk_i32 s16, 0x80
	v_add_u32_e32 v12, 16, v12
	s_cmp_ge_u32 s11, s0
	s_waitcnt lgkmcnt(0)
	v_mul_f64 v[22:23], v[20:21], v[16:17]
	v_mul_f64 v[16:17], v[18:19], v[16:17]
	v_fma_f64 v[18:19], v[18:19], v[14:15], -v[22:23]
	v_fmac_f64_e32 v[16:17], v[20:21], v[14:15]
	v_add_f64 v[0:1], v[0:1], -v[18:19]
	v_add_f64 v[2:3], v[2:3], -v[16:17]
	ds_write_b128 v11, v[0:3]
	s_cbranch_scc0 .LBB207_54
; %bb.55:                               ;   in Loop: Header=BB207_52 Depth=3
	s_branch .LBB207_51
.LBB207_56:                             ;   in Loop: Header=BB207_52 Depth=3
                                        ; implicit-def: $vgpr0_vgpr1
                                        ; implicit-def: $sgpr10
	s_cbranch_execz .LBB207_51
; %bb.57:                               ;   in Loop: Header=BB207_52 Depth=3
	ds_read_b128 v[0:3], v6
	s_mov_b32 s10, s2
	s_branch .LBB207_51
.LBB207_58:
	s_endpgm
	.section	.rodata,"a",@progbits
	.p2align	6, 0x0
	.amdhsa_kernel _ZL30rocblas_trsm_small_left_deviceILi8ELi8ELb1E19rocblas_complex_numIdES1_PKS1_PS1_Ev13rocblas_fill_18rocblas_operation_17rocblas_diagonal_iiT3_T4_lilT5_lili
		.amdhsa_group_segment_fixed_size 2048
		.amdhsa_private_segment_fixed_size 0
		.amdhsa_kernarg_size 368
		.amdhsa_user_sgpr_count 8
		.amdhsa_user_sgpr_private_segment_buffer 1
		.amdhsa_user_sgpr_dispatch_ptr 1
		.amdhsa_user_sgpr_queue_ptr 0
		.amdhsa_user_sgpr_kernarg_segment_ptr 1
		.amdhsa_user_sgpr_dispatch_id 0
		.amdhsa_user_sgpr_flat_scratch_init 0
		.amdhsa_user_sgpr_kernarg_preload_length 0
		.amdhsa_user_sgpr_kernarg_preload_offset 0
		.amdhsa_user_sgpr_private_segment_size 0
		.amdhsa_uses_dynamic_stack 0
		.amdhsa_system_sgpr_private_segment_wavefront_offset 0
		.amdhsa_system_sgpr_workgroup_id_x 1
		.amdhsa_system_sgpr_workgroup_id_y 0
		.amdhsa_system_sgpr_workgroup_id_z 1
		.amdhsa_system_sgpr_workgroup_info 0
		.amdhsa_system_vgpr_workitem_id 2
		.amdhsa_next_free_vgpr 25
		.amdhsa_next_free_sgpr 40
		.amdhsa_accum_offset 28
		.amdhsa_reserve_vcc 1
		.amdhsa_reserve_flat_scratch 0
		.amdhsa_float_round_mode_32 0
		.amdhsa_float_round_mode_16_64 0
		.amdhsa_float_denorm_mode_32 3
		.amdhsa_float_denorm_mode_16_64 3
		.amdhsa_dx10_clamp 1
		.amdhsa_ieee_mode 1
		.amdhsa_fp16_overflow 0
		.amdhsa_tg_split 0
		.amdhsa_exception_fp_ieee_invalid_op 0
		.amdhsa_exception_fp_denorm_src 0
		.amdhsa_exception_fp_ieee_div_zero 0
		.amdhsa_exception_fp_ieee_overflow 0
		.amdhsa_exception_fp_ieee_underflow 0
		.amdhsa_exception_fp_ieee_inexact 0
		.amdhsa_exception_int_div_zero 0
	.end_amdhsa_kernel
	.section	.text._ZL30rocblas_trsm_small_left_deviceILi8ELi8ELb1E19rocblas_complex_numIdES1_PKS1_PS1_Ev13rocblas_fill_18rocblas_operation_17rocblas_diagonal_iiT3_T4_lilT5_lili,"axG",@progbits,_ZL30rocblas_trsm_small_left_deviceILi8ELi8ELb1E19rocblas_complex_numIdES1_PKS1_PS1_Ev13rocblas_fill_18rocblas_operation_17rocblas_diagonal_iiT3_T4_lilT5_lili,comdat
.Lfunc_end207:
	.size	_ZL30rocblas_trsm_small_left_deviceILi8ELi8ELb1E19rocblas_complex_numIdES1_PKS1_PS1_Ev13rocblas_fill_18rocblas_operation_17rocblas_diagonal_iiT3_T4_lilT5_lili, .Lfunc_end207-_ZL30rocblas_trsm_small_left_deviceILi8ELi8ELb1E19rocblas_complex_numIdES1_PKS1_PS1_Ev13rocblas_fill_18rocblas_operation_17rocblas_diagonal_iiT3_T4_lilT5_lili
                                        ; -- End function
	.section	.AMDGPU.csdata,"",@progbits
; Kernel info:
; codeLenInByte = 2892
; NumSgprs: 44
; NumVgprs: 25
; NumAgprs: 0
; TotalNumVgprs: 25
; ScratchSize: 0
; MemoryBound: 0
; FloatMode: 240
; IeeeMode: 1
; LDSByteSize: 2048 bytes/workgroup (compile time only)
; SGPRBlocks: 5
; VGPRBlocks: 3
; NumSGPRsForWavesPerEU: 44
; NumVGPRsForWavesPerEU: 25
; AccumOffset: 28
; Occupancy: 8
; WaveLimiterHint : 0
; COMPUTE_PGM_RSRC2:SCRATCH_EN: 0
; COMPUTE_PGM_RSRC2:USER_SGPR: 8
; COMPUTE_PGM_RSRC2:TRAP_HANDLER: 0
; COMPUTE_PGM_RSRC2:TGID_X_EN: 1
; COMPUTE_PGM_RSRC2:TGID_Y_EN: 0
; COMPUTE_PGM_RSRC2:TGID_Z_EN: 1
; COMPUTE_PGM_RSRC2:TIDIG_COMP_CNT: 2
; COMPUTE_PGM_RSRC3_GFX90A:ACCUM_OFFSET: 6
; COMPUTE_PGM_RSRC3_GFX90A:TG_SPLIT: 0
	.section	.text._ZL31rocblas_trsm_small_right_deviceI19rocblas_complex_numIdES1_PKS1_PS1_Li8EEv13rocblas_fill_18rocblas_operation_17rocblas_diagonal_iiT0_T1_lilT2_lili,"axG",@progbits,_ZL31rocblas_trsm_small_right_deviceI19rocblas_complex_numIdES1_PKS1_PS1_Li8EEv13rocblas_fill_18rocblas_operation_17rocblas_diagonal_iiT0_T1_lilT2_lili,comdat
	.globl	_ZL31rocblas_trsm_small_right_deviceI19rocblas_complex_numIdES1_PKS1_PS1_Li8EEv13rocblas_fill_18rocblas_operation_17rocblas_diagonal_iiT0_T1_lilT2_lili ; -- Begin function _ZL31rocblas_trsm_small_right_deviceI19rocblas_complex_numIdES1_PKS1_PS1_Li8EEv13rocblas_fill_18rocblas_operation_17rocblas_diagonal_iiT0_T1_lilT2_lili
	.p2align	8
	.type	_ZL31rocblas_trsm_small_right_deviceI19rocblas_complex_numIdES1_PKS1_PS1_Li8EEv13rocblas_fill_18rocblas_operation_17rocblas_diagonal_iiT0_T1_lilT2_lili,@function
_ZL31rocblas_trsm_small_right_deviceI19rocblas_complex_numIdES1_PKS1_PS1_Li8EEv13rocblas_fill_18rocblas_operation_17rocblas_diagonal_iiT0_T1_lilT2_lili: ; @_ZL31rocblas_trsm_small_right_deviceI19rocblas_complex_numIdES1_PKS1_PS1_Li8EEv13rocblas_fill_18rocblas_operation_17rocblas_diagonal_iiT0_T1_lilT2_lili
; %bb.0:
	s_load_dwordx4 s[16:19], s[4:5], 0x0
	s_load_dword s33, s[4:5], 0x10
	s_load_dwordx8 s[8:15], s[4:5], 0x18
	s_load_dwordx2 s[20:21], s[4:5], 0x50
	s_load_dwordx4 s[0:3], s[4:5], 0x40
	s_mov_b32 s36, 0
	s_waitcnt lgkmcnt(0)
	s_min_i32 s34, s33, 8
	s_add_i32 s35, s34, -1
	v_cmp_gt_i32_e32 vcc, s34, v0
	s_and_saveexec_b64 s[22:23], vcc
	s_cbranch_execz .LBB208_9
; %bb.1:
	s_load_dword s24, s[4:5], 0x38
	s_mul_i32 s37, s1, s7
	s_mul_hi_u32 s38, s0, s7
	s_mul_i32 s26, s0, s7
	s_waitcnt lgkmcnt(0)
	s_ashr_i32 s25, s24, 31
	s_cmpk_eq_i32 s17, 0x71
	s_cselect_b64 vcc, -1, 0
	s_cmp_lt_u32 s35, 3
	s_cbranch_scc1 .LBB208_4
; %bb.2:
	s_add_i32 s27, s38, s37
	s_and_b32 s36, s34, -4
	s_lshl_b64 s[0:1], s[26:27], 4
	s_lshl_b64 s[28:29], s[14:15], 4
	s_add_u32 s0, s0, s28
	s_addc_u32 s1, s1, s29
	s_add_u32 s0, s12, s0
	v_lshlrev_b32_e32 v2, 4, v0
	s_addc_u32 s1, s13, s1
	v_mov_b32_e32 v3, s1
	v_add_co_u32_e64 v2, s[0:1], s0, v2
	v_addc_co_u32_e64 v3, s[0:1], 0, v3, s[0:1]
	v_add_co_u32_e64 v2, s[0:1], 8, v2
	s_lshl_b64 s[28:29], s[24:25], 6
	s_lshl_b64 s[30:31], s[24:25], 4
	v_lshlrev_b32_e32 v1, 4, v0
	v_addc_co_u32_e64 v3, s[0:1], 0, v3, s[0:1]
	s_mov_b32 s27, 0
	v_mov_b32_e32 v4, s31
	v_mov_b32_e32 v5, s29
.LBB208_3:                              ; =>This Inner Loop Header: Depth=1
	v_add_co_u32_e64 v18, s[0:1], s30, v2
	v_addc_co_u32_e64 v19, s[0:1], v3, v4, s[0:1]
	v_add_co_u32_e64 v20, s[0:1], s30, v18
	global_load_dwordx4 v[6:9], v[2:3], off offset:-8
	v_addc_co_u32_e64 v21, s[0:1], v19, v4, s[0:1]
	global_load_dwordx4 v[10:13], v[18:19], off offset:-8
	global_load_dwordx4 v[14:17], v[20:21], off offset:-8
	v_add_co_u32_e64 v18, s[0:1], s30, v20
	v_addc_co_u32_e64 v19, s[0:1], v21, v4, s[0:1]
	global_load_dwordx4 v[18:21], v[18:19], off offset:-8
	s_add_i32 s27, s27, 4
	v_add_co_u32_e64 v2, s[0:1], s28, v2
	s_cmp_eq_u32 s36, s27
	v_addc_co_u32_e64 v3, s[0:1], v3, v5, s[0:1]
	s_waitcnt vmcnt(3)
	v_xor_b32_e32 v22, 0x80000000, v9
	v_cndmask_b32_e32 v9, v9, v22, vcc
	ds_write_b128 v1, v[6:9]
	s_waitcnt vmcnt(1)
	v_xor_b32_e32 v6, 0x80000000, v17
	v_xor_b32_e32 v22, 0x80000000, v13
	v_cndmask_b32_e32 v17, v17, v6, vcc
	v_cndmask_b32_e32 v13, v13, v22, vcc
	ds_write_b128 v1, v[10:13] offset:128
	s_waitcnt vmcnt(0)
	v_xor_b32_e32 v6, 0x80000000, v21
	v_cndmask_b32_e32 v21, v21, v6, vcc
	ds_write_b128 v1, v[14:17] offset:256
	ds_write_b128 v1, v[18:21] offset:384
	v_add_u32_e32 v1, 0x200, v1
	s_cbranch_scc0 .LBB208_3
.LBB208_4:
	s_and_b32 s28, s34, 3
	s_cmp_eq_u32 s28, 0
	s_cbranch_scc1 .LBB208_7
; %bb.5:
	s_add_i32 s27, s38, s37
	s_lshl_b64 s[0:1], s[26:27], 4
	s_mul_i32 s26, s25, s36
	s_mul_hi_u32 s27, s24, s36
	s_add_i32 s27, s27, s26
	s_mul_i32 s26, s24, s36
	s_lshl_b64 s[26:27], s[26:27], 4
	s_add_u32 s26, s0, s26
	s_addc_u32 s27, s1, s27
	s_lshl_b64 s[0:1], s[14:15], 4
	s_add_u32 s0, s26, s0
	s_addc_u32 s1, s27, s1
	s_add_u32 s0, s12, s0
	v_lshlrev_b32_e32 v2, 4, v0
	s_addc_u32 s1, s13, s1
	v_lshl_or_b32 v1, s36, 7, v2
	v_mov_b32_e32 v3, s1
	v_add_co_u32_e64 v2, s[0:1], s0, v2
	v_addc_co_u32_e64 v3, s[0:1], 0, v3, s[0:1]
	v_add_co_u32_e64 v2, s[0:1], 8, v2
	s_lshl_b64 s[12:13], s[24:25], 4
	v_addc_co_u32_e64 v3, s[0:1], 0, v3, s[0:1]
	v_mov_b32_e32 v4, s13
.LBB208_6:                              ; =>This Inner Loop Header: Depth=1
	global_load_dwordx4 v[6:9], v[2:3], off offset:-8
	v_add_co_u32_e64 v2, s[0:1], s12, v2
	s_add_i32 s28, s28, -1
	v_addc_co_u32_e64 v3, s[0:1], v3, v4, s[0:1]
	s_cmp_lg_u32 s28, 0
	s_waitcnt vmcnt(0)
	v_xor_b32_e32 v5, 0x80000000, v9
	v_cndmask_b32_e32 v9, v9, v5, vcc
	ds_write_b128 v1, v[6:9]
	v_add_u32_e32 v1, 0x80, v1
	s_cbranch_scc1 .LBB208_6
.LBB208_7:
	s_cmpk_eq_i32 s18, 0x84
	s_cbranch_scc0 .LBB208_9
; %bb.8:
	v_mul_u32_u24_e32 v1, 9, v0
	v_mov_b32_e32 v2, 0
	v_lshlrev_b32_e32 v1, 4, v1
	v_mov_b32_e32 v3, 0x3ff00000
	v_mov_b32_e32 v4, v2
	;; [unrolled: 1-line block ×3, first 2 shown]
	ds_write_b128 v1, v[2:5]
.LBB208_9:
	s_or_b64 exec, exec, s[22:23]
	s_load_dword s1, s[4:5], 0x70
	s_load_dwordx2 s[12:13], s[4:5], 0x60
	s_load_dword s0, s[4:5], 0x58
	s_mov_b32 s26, 0
	s_waitcnt lgkmcnt(0)
	s_mul_i32 s5, s7, s13
	s_mul_hi_u32 s13, s7, s12
	s_mul_i32 s4, s7, s12
	s_add_i32 s5, s13, s5
	s_lshl_b64 s[12:13], s[4:5], 4
	s_add_u32 s7, s2, s12
	s_addc_u32 s14, s3, s13
	s_lshl_b64 s[4:5], s[20:21], 4
	s_add_u32 s15, s7, s4
	s_addc_u32 s14, s14, s5
	s_lshl_b32 s7, s6, 3
	s_add_i32 s1, s1, -1
	s_sub_i32 s7, s19, s7
	s_cmp_ge_u32 s6, s1
	s_cselect_b32 s1, s7, 8
	s_ashr_i32 s7, s6, 31
	s_lshl_b64 s[6:7], s[6:7], 7
	s_add_u32 s24, s15, s6
	s_addc_u32 s25, s14, s7
	s_cmp_gt_i32 s33, 0
	v_cmp_gt_i32_e32 vcc, s1, v0
	s_cselect_b64 s[14:15], -1, 0
	s_and_b64 s[14:15], vcc, s[14:15]
	s_and_saveexec_b64 s[18:19], s[14:15]
	s_cbranch_execz .LBB208_16
; %bb.10:
	s_ashr_i32 s1, s0, 31
	s_cmp_lt_u32 s33, 4
	s_cbranch_scc1 .LBB208_13
; %bb.11:
	v_lshlrev_b32_e32 v1, 4, v0
	v_mov_b32_e32 v3, s25
	v_add_co_u32_e32 v2, vcc, s24, v1
	v_mov_b32_e32 v1, 0x400
	s_lshl_b64 s[20:21], s[0:1], 6
	s_lshl_b64 s[22:23], s[0:1], 4
	v_addc_co_u32_e32 v3, vcc, 0, v3, vcc
	s_and_b32 s26, s33, 0x7ffffffc
	v_lshl_or_b32 v1, v0, 4, v1
	s_mov_b32 s27, 0
	v_mov_b32_e32 v4, s23
	v_mov_b32_e32 v5, s21
.LBB208_12:                             ; =>This Inner Loop Header: Depth=1
	v_add_co_u32_e32 v14, vcc, s22, v2
	v_addc_co_u32_e32 v15, vcc, v3, v4, vcc
	v_add_co_u32_e32 v18, vcc, s22, v14
	global_load_dwordx4 v[6:9], v[2:3], off
	global_load_dwordx4 v[10:13], v[14:15], off
	v_addc_co_u32_e32 v19, vcc, v15, v4, vcc
	global_load_dwordx4 v[14:17], v[18:19], off
	v_add_co_u32_e32 v18, vcc, s22, v18
	v_addc_co_u32_e32 v19, vcc, v19, v4, vcc
	global_load_dwordx4 v[18:21], v[18:19], off
	s_add_i32 s27, s27, 4
	v_add_co_u32_e32 v2, vcc, s20, v2
	s_cmp_lg_u32 s26, s27
	v_addc_co_u32_e32 v3, vcc, v3, v5, vcc
	s_waitcnt vmcnt(3)
	v_mul_f64 v[22:23], s[10:11], v[8:9]
	v_mul_f64 v[24:25], s[8:9], v[8:9]
	v_fma_f64 v[22:23], s[8:9], v[6:7], -v[22:23]
	v_fmac_f64_e32 v[24:25], s[10:11], v[6:7]
	s_waitcnt vmcnt(2)
	v_mul_f64 v[6:7], s[10:11], v[12:13]
	v_mul_f64 v[8:9], s[8:9], v[12:13]
	v_fma_f64 v[6:7], s[8:9], v[10:11], -v[6:7]
	v_fmac_f64_e32 v[8:9], s[10:11], v[10:11]
	s_waitcnt vmcnt(1)
	v_mul_f64 v[12:13], s[10:11], v[16:17]
	v_mul_f64 v[10:11], s[8:9], v[16:17]
	ds_write_b128 v1, v[6:9] offset:128
	v_fma_f64 v[8:9], s[8:9], v[14:15], -v[12:13]
	v_fmac_f64_e32 v[10:11], s[10:11], v[14:15]
	s_waitcnt vmcnt(0)
	v_mul_f64 v[6:7], s[10:11], v[20:21]
	v_mul_f64 v[12:13], s[8:9], v[20:21]
	ds_write_b128 v1, v[8:11] offset:256
	v_fma_f64 v[10:11], s[8:9], v[18:19], -v[6:7]
	v_fmac_f64_e32 v[12:13], s[10:11], v[18:19]
	ds_write_b128 v1, v[22:25]
	ds_write_b128 v1, v[10:13] offset:384
	v_add_u32_e32 v1, 0x200, v1
	s_cbranch_scc1 .LBB208_12
.LBB208_13:
	s_and_b32 s22, s33, 3
	s_cmp_eq_u32 s22, 0
	s_cbranch_scc1 .LBB208_16
; %bb.14:
	s_mul_hi_i32 s21, s0, s26
	s_mul_i32 s20, s0, s26
	s_lshl_b64 s[20:21], s[20:21], 4
	s_add_u32 s20, s12, s20
	s_addc_u32 s21, s13, s21
	s_add_u32 s20, s20, s6
	s_addc_u32 s21, s21, s7
	s_add_u32 s20, s20, s4
	s_addc_u32 s21, s21, s5
	s_add_u32 s20, s2, s20
	v_lshlrev_b32_e32 v2, 4, v0
	s_addc_u32 s21, s3, s21
	v_lshl_or_b32 v1, s26, 7, v2
	v_mov_b32_e32 v3, s21
	v_add_co_u32_e32 v2, vcc, s20, v2
	v_addc_co_u32_e32 v3, vcc, 0, v3, vcc
	v_add_co_u32_e32 v2, vcc, 8, v2
	s_lshl_b64 s[20:21], s[0:1], 4
	v_add_u32_e32 v1, 0x400, v1
	v_addc_co_u32_e32 v3, vcc, 0, v3, vcc
	v_mov_b32_e32 v4, s21
.LBB208_15:                             ; =>This Inner Loop Header: Depth=1
	global_load_dwordx4 v[6:9], v[2:3], off offset:-8
	s_add_i32 s22, s22, -1
	v_add_co_u32_e32 v2, vcc, s20, v2
	v_addc_co_u32_e32 v3, vcc, v3, v4, vcc
	s_cmp_lg_u32 s22, 0
	s_waitcnt vmcnt(0)
	v_mul_f64 v[12:13], s[10:11], v[8:9]
	v_mul_f64 v[10:11], s[8:9], v[8:9]
	v_fma_f64 v[8:9], s[8:9], v[6:7], -v[12:13]
	v_fmac_f64_e32 v[10:11], s[10:11], v[6:7]
	ds_write_b128 v1, v[8:11]
	v_add_u32_e32 v1, 0x80, v1
	s_cbranch_scc1 .LBB208_15
.LBB208_16:
	s_or_b64 exec, exec, s[18:19]
	s_cmpk_eq_i32 s17, 0x6f
	s_cselect_b64 s[8:9], -1, 0
	s_cmpk_eq_i32 s16, 0x79
	s_cselect_b64 s[18:19], -1, 0
	s_cmpk_lg_i32 s16, 0x79
	s_cselect_b64 s[10:11], -1, 0
	s_and_b64 s[18:19], s[18:19], s[8:9]
	s_andn2_b64 vcc, exec, s[18:19]
	s_mov_b64 s[18:19], -1
	s_waitcnt lgkmcnt(0)
	; wave barrier
	s_waitcnt lgkmcnt(0)
	s_cbranch_vccz .LBB208_124
; %bb.17:
	s_cmpk_lg_i32 s16, 0x7a
	s_cselect_b64 s[18:19], -1, 0
	s_xor_b64 s[8:9], s[8:9], -1
	s_or_b64 s[18:19], s[18:19], s[8:9]
	s_cmp_gt_i32 s33, 3
	s_mov_b64 s[16:17], -1
	s_cselect_b64 s[8:9], -1, 0
	s_and_b64 vcc, exec, s[18:19]
	s_cbranch_vccz .LBB208_91
; %bb.18:
	s_andn2_b64 vcc, exec, s[10:11]
	s_mov_b64 s[10:11], -1
	s_cbranch_vccnz .LBB208_58
; %bb.19:
	s_andn2_b64 vcc, exec, s[8:9]
	s_mov_b32 s17, 0
	s_cbranch_vccnz .LBB208_42
; %bb.20:
	v_mov_b32_e32 v1, 0x400
	v_lshl_or_b32 v1, v0, 4, v1
	s_mov_b32 s1, 0
	s_mov_b32 s16, 0
.LBB208_21:                             ; =>This Loop Header: Depth=1
                                        ;     Child Loop BB208_23 Depth 2
	s_lshl_b32 s11, s16, 3
	v_or_b32_e32 v2, s11, v0
	s_or_b32 s18, s11, 8
	v_lshlrev_b32_e32 v10, 4, v2
	v_or_b32_e32 v2, s18, v0
	s_or_b32 s17, s11, 16
	v_lshlrev_b32_e32 v11, 4, v2
	v_or_b32_e32 v2, s17, v0
	s_lshl_b32 s10, s16, 7
	v_lshlrev_b32_e32 v12, 4, v2
	ds_read_b128 v[18:21], v10 offset:1024
	ds_read_b128 v[14:17], v11 offset:1024
	v_lshl_or_b32 v13, v0, 4, s10
	ds_read_b128 v[6:9], v12 offset:1024
	ds_read_b128 v[2:5], v13 offset:1408
	s_cmp_eq_u32 s16, 0
	s_cbranch_scc1 .LBB208_24
; %bb.22:                               ;   in Loop: Header=BB208_21 Depth=1
	s_mov_b32 s10, 0
	v_mov_b32_e32 v22, v1
	s_mov_b32 s11, s1
.LBB208_23:                             ;   Parent Loop BB208_21 Depth=1
                                        ; =>  This Inner Loop Header: Depth=2
	v_mov_b32_e32 v23, s11
	ds_read_b128 v[24:27], v22
	ds_read_b128 v[28:31], v23
	ds_read_b128 v[32:35], v23 offset:16
	ds_read_b128 v[36:39], v23 offset:32
	ds_read_b128 v[40:43], v23 offset:48
	s_add_i32 s10, s10, 1
	s_addk_i32 s11, 0x80
	v_add_u32_e32 v22, 0x80, v22
	s_waitcnt lgkmcnt(3)
	v_mul_f64 v[44:45], v[26:27], v[30:31]
	v_mul_f64 v[30:31], v[24:25], v[30:31]
	s_waitcnt lgkmcnt(2)
	v_mul_f64 v[46:47], v[26:27], v[34:35]
	v_mul_f64 v[34:35], v[24:25], v[34:35]
	;; [unrolled: 3-line block ×4, first 2 shown]
	v_fma_f64 v[44:45], v[24:25], v[28:29], -v[44:45]
	v_fmac_f64_e32 v[30:31], v[26:27], v[28:29]
	v_fma_f64 v[28:29], v[24:25], v[32:33], -v[46:47]
	v_fmac_f64_e32 v[34:35], v[26:27], v[32:33]
	;; [unrolled: 2-line block ×4, first 2 shown]
	s_cmp_ge_u32 s10, s16
	v_add_f64 v[18:19], v[18:19], -v[44:45]
	v_add_f64 v[20:21], v[20:21], -v[30:31]
	;; [unrolled: 1-line block ×8, first 2 shown]
	s_cbranch_scc0 .LBB208_23
.LBB208_24:                             ;   in Loop: Header=BB208_21 Depth=1
	s_mul_i32 s19, s16, 0x90
	v_add_u32_e32 v29, 0x400, v10
	v_mov_b32_e32 v10, s19
	ds_read_b128 v[22:25], v10
	v_add_u32_e32 v28, 0x400, v11
	v_add_u32_e32 v27, 0x400, v12
	;; [unrolled: 1-line block ×3, first 2 shown]
	s_waitcnt lgkmcnt(0)
	v_xor_b32_e32 v11, 0x80000000, v23
	v_cmp_gt_f64_e32 vcc, 0, v[22:23]
	v_xor_b32_e32 v12, 0x80000000, v25
	v_cndmask_b32_e32 v11, v23, v11, vcc
	v_cmp_gt_f64_e32 vcc, 0, v[24:25]
	v_mov_b32_e32 v10, v22
	v_cndmask_b32_e32 v13, v25, v12, vcc
	v_mov_b32_e32 v12, v24
	v_cmp_ngt_f64_e32 vcc, v[10:11], v[12:13]
	s_cbranch_vccz .LBB208_26
; %bb.25:                               ;   in Loop: Header=BB208_21 Depth=1
	v_div_scale_f64 v[10:11], s[10:11], v[24:25], v[24:25], v[22:23]
	v_rcp_f64_e32 v[12:13], v[10:11]
	v_div_scale_f64 v[30:31], vcc, v[22:23], v[24:25], v[22:23]
	v_fma_f64 v[32:33], -v[10:11], v[12:13], 1.0
	v_fmac_f64_e32 v[12:13], v[12:13], v[32:33]
	v_fma_f64 v[32:33], -v[10:11], v[12:13], 1.0
	v_fmac_f64_e32 v[12:13], v[12:13], v[32:33]
	v_mul_f64 v[32:33], v[30:31], v[12:13]
	v_fma_f64 v[10:11], -v[10:11], v[32:33], v[30:31]
	v_div_fmas_f64 v[10:11], v[10:11], v[12:13], v[32:33]
	v_div_fixup_f64 v[12:13], v[10:11], v[24:25], v[22:23]
	v_fma_f64 v[10:11], v[22:23], v[12:13], v[24:25]
	v_div_scale_f64 v[30:31], s[10:11], v[10:11], v[10:11], 1.0
	v_rcp_f64_e32 v[32:33], v[30:31]
	v_fma_f64 v[34:35], -v[30:31], v[32:33], 1.0
	v_fmac_f64_e32 v[32:33], v[32:33], v[34:35]
	v_fma_f64 v[34:35], -v[30:31], v[32:33], 1.0
	v_fmac_f64_e32 v[32:33], v[32:33], v[34:35]
	v_div_scale_f64 v[34:35], vcc, 1.0, v[10:11], 1.0
	v_mul_f64 v[36:37], v[34:35], v[32:33]
	v_fma_f64 v[30:31], -v[30:31], v[36:37], v[34:35]
	s_nop 1
	v_div_fmas_f64 v[30:31], v[30:31], v[32:33], v[36:37]
	v_div_fixup_f64 v[30:31], v[30:31], v[10:11], 1.0
	v_fma_f64 v[10:11], v[18:19], v[12:13], v[20:21]
	v_fma_f64 v[12:13], v[20:21], v[12:13], -v[18:19]
	v_mul_f64 v[10:11], v[10:11], v[30:31]
	v_mul_f64 v[12:13], v[12:13], v[30:31]
	s_cbranch_execz .LBB208_27
	s_branch .LBB208_28
.LBB208_26:                             ;   in Loop: Header=BB208_21 Depth=1
                                        ; implicit-def: $vgpr12_vgpr13
.LBB208_27:                             ;   in Loop: Header=BB208_21 Depth=1
	v_div_scale_f64 v[10:11], s[10:11], v[22:23], v[22:23], v[24:25]
	v_rcp_f64_e32 v[12:13], v[10:11]
	v_div_scale_f64 v[30:31], vcc, v[24:25], v[22:23], v[24:25]
	v_fma_f64 v[32:33], -v[10:11], v[12:13], 1.0
	v_fmac_f64_e32 v[12:13], v[12:13], v[32:33]
	v_fma_f64 v[32:33], -v[10:11], v[12:13], 1.0
	v_fmac_f64_e32 v[12:13], v[12:13], v[32:33]
	v_mul_f64 v[32:33], v[30:31], v[12:13]
	v_fma_f64 v[10:11], -v[10:11], v[32:33], v[30:31]
	v_div_fmas_f64 v[10:11], v[10:11], v[12:13], v[32:33]
	v_div_fixup_f64 v[12:13], v[10:11], v[22:23], v[24:25]
	v_fmac_f64_e32 v[22:23], v[24:25], v[12:13]
	v_div_scale_f64 v[10:11], s[10:11], v[22:23], v[22:23], 1.0
	v_rcp_f64_e32 v[24:25], v[10:11]
	v_fma_f64 v[30:31], -v[10:11], v[24:25], 1.0
	v_fmac_f64_e32 v[24:25], v[24:25], v[30:31]
	v_fma_f64 v[30:31], -v[10:11], v[24:25], 1.0
	v_fmac_f64_e32 v[24:25], v[24:25], v[30:31]
	v_div_scale_f64 v[30:31], vcc, 1.0, v[22:23], 1.0
	v_mul_f64 v[32:33], v[30:31], v[24:25]
	v_fma_f64 v[10:11], -v[10:11], v[32:33], v[30:31]
	s_nop 1
	v_div_fmas_f64 v[10:11], v[10:11], v[24:25], v[32:33]
	v_div_fixup_f64 v[22:23], v[10:11], v[22:23], 1.0
	v_fma_f64 v[10:11], v[20:21], v[12:13], v[18:19]
	v_fma_f64 v[12:13], -v[18:19], v[12:13], v[20:21]
	v_mul_f64 v[10:11], v[10:11], v[22:23]
	v_mul_f64 v[12:13], v[12:13], v[22:23]
.LBB208_28:                             ;   in Loop: Header=BB208_21 Depth=1
	v_mov_b32_e32 v18, s19
	ds_read_b128 v[22:25], v18 offset:16
	ds_read_b128 v[18:21], v18 offset:144
	ds_write_b128 v29, v[10:13]
	s_waitcnt lgkmcnt(2)
	v_mul_f64 v[30:31], v[12:13], v[24:25]
	v_mul_f64 v[24:25], v[10:11], v[24:25]
	v_fma_f64 v[30:31], v[10:11], v[22:23], -v[30:31]
	v_fmac_f64_e32 v[24:25], v[12:13], v[22:23]
	v_add_f64 v[22:23], v[14:15], -v[30:31]
	s_waitcnt lgkmcnt(1)
	v_xor_b32_e32 v14, 0x80000000, v19
	v_cmp_gt_f64_e32 vcc, 0, v[18:19]
	v_add_f64 v[24:25], v[16:17], -v[24:25]
	v_cndmask_b32_e32 v15, v19, v14, vcc
	v_xor_b32_e32 v16, 0x80000000, v21
	v_cmp_gt_f64_e32 vcc, 0, v[20:21]
	v_mov_b32_e32 v14, v18
	v_cndmask_b32_e32 v17, v21, v16, vcc
	v_mov_b32_e32 v16, v20
	v_cmp_ngt_f64_e32 vcc, v[14:15], v[16:17]
	s_cbranch_vccz .LBB208_30
; %bb.29:                               ;   in Loop: Header=BB208_21 Depth=1
	v_div_scale_f64 v[14:15], s[10:11], v[20:21], v[20:21], v[18:19]
	v_rcp_f64_e32 v[16:17], v[14:15]
	v_div_scale_f64 v[30:31], vcc, v[18:19], v[20:21], v[18:19]
	v_fma_f64 v[32:33], -v[14:15], v[16:17], 1.0
	v_fmac_f64_e32 v[16:17], v[16:17], v[32:33]
	v_fma_f64 v[32:33], -v[14:15], v[16:17], 1.0
	v_fmac_f64_e32 v[16:17], v[16:17], v[32:33]
	v_mul_f64 v[32:33], v[30:31], v[16:17]
	v_fma_f64 v[14:15], -v[14:15], v[32:33], v[30:31]
	v_div_fmas_f64 v[14:15], v[14:15], v[16:17], v[32:33]
	v_div_fixup_f64 v[16:17], v[14:15], v[20:21], v[18:19]
	v_fma_f64 v[14:15], v[18:19], v[16:17], v[20:21]
	v_div_scale_f64 v[30:31], s[10:11], v[14:15], v[14:15], 1.0
	v_rcp_f64_e32 v[32:33], v[30:31]
	v_fma_f64 v[34:35], -v[30:31], v[32:33], 1.0
	v_fmac_f64_e32 v[32:33], v[32:33], v[34:35]
	v_fma_f64 v[34:35], -v[30:31], v[32:33], 1.0
	v_fmac_f64_e32 v[32:33], v[32:33], v[34:35]
	v_div_scale_f64 v[34:35], vcc, 1.0, v[14:15], 1.0
	v_mul_f64 v[36:37], v[34:35], v[32:33]
	v_fma_f64 v[30:31], -v[30:31], v[36:37], v[34:35]
	s_nop 1
	v_div_fmas_f64 v[30:31], v[30:31], v[32:33], v[36:37]
	v_div_fixup_f64 v[30:31], v[30:31], v[14:15], 1.0
	v_fma_f64 v[14:15], v[16:17], v[22:23], v[24:25]
	v_fma_f64 v[16:17], v[16:17], v[24:25], -v[22:23]
	v_mul_f64 v[14:15], v[14:15], v[30:31]
	v_mul_f64 v[16:17], v[16:17], v[30:31]
	s_cbranch_execz .LBB208_31
	s_branch .LBB208_32
.LBB208_30:                             ;   in Loop: Header=BB208_21 Depth=1
                                        ; implicit-def: $vgpr16_vgpr17
.LBB208_31:                             ;   in Loop: Header=BB208_21 Depth=1
	v_div_scale_f64 v[14:15], s[10:11], v[18:19], v[18:19], v[20:21]
	v_rcp_f64_e32 v[16:17], v[14:15]
	v_div_scale_f64 v[30:31], vcc, v[20:21], v[18:19], v[20:21]
	v_fma_f64 v[32:33], -v[14:15], v[16:17], 1.0
	v_fmac_f64_e32 v[16:17], v[16:17], v[32:33]
	v_fma_f64 v[32:33], -v[14:15], v[16:17], 1.0
	v_fmac_f64_e32 v[16:17], v[16:17], v[32:33]
	v_mul_f64 v[32:33], v[30:31], v[16:17]
	v_fma_f64 v[14:15], -v[14:15], v[32:33], v[30:31]
	v_div_fmas_f64 v[14:15], v[14:15], v[16:17], v[32:33]
	v_div_fixup_f64 v[16:17], v[14:15], v[18:19], v[20:21]
	v_fmac_f64_e32 v[18:19], v[20:21], v[16:17]
	v_div_scale_f64 v[14:15], s[10:11], v[18:19], v[18:19], 1.0
	v_rcp_f64_e32 v[20:21], v[14:15]
	v_fma_f64 v[30:31], -v[14:15], v[20:21], 1.0
	v_fmac_f64_e32 v[20:21], v[20:21], v[30:31]
	v_fma_f64 v[30:31], -v[14:15], v[20:21], 1.0
	v_fmac_f64_e32 v[20:21], v[20:21], v[30:31]
	v_div_scale_f64 v[30:31], vcc, 1.0, v[18:19], 1.0
	v_mul_f64 v[32:33], v[30:31], v[20:21]
	v_fma_f64 v[14:15], -v[14:15], v[32:33], v[30:31]
	s_nop 1
	v_div_fmas_f64 v[14:15], v[14:15], v[20:21], v[32:33]
	v_div_fixup_f64 v[18:19], v[14:15], v[18:19], 1.0
	v_fma_f64 v[14:15], v[16:17], v[24:25], v[22:23]
	v_fma_f64 v[16:17], -v[16:17], v[22:23], v[24:25]
	v_mul_f64 v[14:15], v[14:15], v[18:19]
	v_mul_f64 v[16:17], v[16:17], v[18:19]
.LBB208_32:                             ;   in Loop: Header=BB208_21 Depth=1
	v_mov_b32_e32 v18, s19
	ds_read_b128 v[22:25], v18 offset:32
	s_add_i32 s18, s18, s16
	ds_write_b128 v28, v[14:17]
	s_lshl_b32 s18, s18, 4
	ds_read_b128 v[18:21], v18 offset:288
	s_waitcnt lgkmcnt(2)
	v_mul_f64 v[28:29], v[12:13], v[24:25]
	v_fma_f64 v[32:33], v[10:11], v[22:23], -v[28:29]
	v_mov_b32_e32 v28, s18
	ds_read_b128 v[28:31], v28 offset:32
	v_mul_f64 v[24:25], v[10:11], v[24:25]
	v_fmac_f64_e32 v[24:25], v[12:13], v[22:23]
	v_add_f64 v[6:7], v[6:7], -v[32:33]
	v_add_f64 v[8:9], v[8:9], -v[24:25]
	s_waitcnt lgkmcnt(0)
	v_mul_f64 v[22:23], v[16:17], v[30:31]
	v_fma_f64 v[22:23], v[14:15], v[28:29], -v[22:23]
	v_mul_f64 v[24:25], v[14:15], v[30:31]
	v_fmac_f64_e32 v[24:25], v[16:17], v[28:29]
	v_add_f64 v[6:7], v[6:7], -v[22:23]
	v_xor_b32_e32 v22, 0x80000000, v19
	v_cmp_gt_f64_e32 vcc, 0, v[18:19]
	v_add_f64 v[8:9], v[8:9], -v[24:25]
	v_cndmask_b32_e32 v23, v19, v22, vcc
	v_xor_b32_e32 v24, 0x80000000, v21
	v_cmp_gt_f64_e32 vcc, 0, v[20:21]
	v_mov_b32_e32 v22, v18
	v_cndmask_b32_e32 v25, v21, v24, vcc
	v_mov_b32_e32 v24, v20
	v_cmp_ngt_f64_e32 vcc, v[22:23], v[24:25]
	s_cbranch_vccz .LBB208_34
; %bb.33:                               ;   in Loop: Header=BB208_21 Depth=1
	v_div_scale_f64 v[22:23], s[10:11], v[20:21], v[20:21], v[18:19]
	v_rcp_f64_e32 v[24:25], v[22:23]
	v_div_scale_f64 v[28:29], vcc, v[18:19], v[20:21], v[18:19]
	v_fma_f64 v[30:31], -v[22:23], v[24:25], 1.0
	v_fmac_f64_e32 v[24:25], v[24:25], v[30:31]
	v_fma_f64 v[30:31], -v[22:23], v[24:25], 1.0
	v_fmac_f64_e32 v[24:25], v[24:25], v[30:31]
	v_mul_f64 v[30:31], v[28:29], v[24:25]
	v_fma_f64 v[22:23], -v[22:23], v[30:31], v[28:29]
	v_div_fmas_f64 v[22:23], v[22:23], v[24:25], v[30:31]
	v_div_fixup_f64 v[24:25], v[22:23], v[20:21], v[18:19]
	v_fma_f64 v[22:23], v[18:19], v[24:25], v[20:21]
	v_div_scale_f64 v[28:29], s[10:11], v[22:23], v[22:23], 1.0
	v_rcp_f64_e32 v[30:31], v[28:29]
	v_fma_f64 v[32:33], -v[28:29], v[30:31], 1.0
	v_fmac_f64_e32 v[30:31], v[30:31], v[32:33]
	v_fma_f64 v[32:33], -v[28:29], v[30:31], 1.0
	v_fmac_f64_e32 v[30:31], v[30:31], v[32:33]
	v_div_scale_f64 v[32:33], vcc, 1.0, v[22:23], 1.0
	v_mul_f64 v[34:35], v[32:33], v[30:31]
	v_fma_f64 v[28:29], -v[28:29], v[34:35], v[32:33]
	s_nop 1
	v_div_fmas_f64 v[28:29], v[28:29], v[30:31], v[34:35]
	v_div_fixup_f64 v[28:29], v[28:29], v[22:23], 1.0
	v_fma_f64 v[22:23], v[24:25], v[6:7], v[8:9]
	v_fma_f64 v[24:25], v[24:25], v[8:9], -v[6:7]
	v_mul_f64 v[22:23], v[22:23], v[28:29]
	v_mul_f64 v[24:25], v[24:25], v[28:29]
	s_cbranch_execz .LBB208_35
	s_branch .LBB208_36
.LBB208_34:                             ;   in Loop: Header=BB208_21 Depth=1
                                        ; implicit-def: $vgpr24_vgpr25
.LBB208_35:                             ;   in Loop: Header=BB208_21 Depth=1
	v_div_scale_f64 v[22:23], s[10:11], v[18:19], v[18:19], v[20:21]
	v_rcp_f64_e32 v[24:25], v[22:23]
	v_div_scale_f64 v[28:29], vcc, v[20:21], v[18:19], v[20:21]
	v_fma_f64 v[30:31], -v[22:23], v[24:25], 1.0
	v_fmac_f64_e32 v[24:25], v[24:25], v[30:31]
	v_fma_f64 v[30:31], -v[22:23], v[24:25], 1.0
	v_fmac_f64_e32 v[24:25], v[24:25], v[30:31]
	v_mul_f64 v[30:31], v[28:29], v[24:25]
	v_fma_f64 v[22:23], -v[22:23], v[30:31], v[28:29]
	v_div_fmas_f64 v[22:23], v[22:23], v[24:25], v[30:31]
	v_div_fixup_f64 v[24:25], v[22:23], v[18:19], v[20:21]
	v_fmac_f64_e32 v[18:19], v[20:21], v[24:25]
	v_div_scale_f64 v[20:21], s[10:11], v[18:19], v[18:19], 1.0
	v_rcp_f64_e32 v[22:23], v[20:21]
	v_fma_f64 v[28:29], -v[20:21], v[22:23], 1.0
	v_fmac_f64_e32 v[22:23], v[22:23], v[28:29]
	v_fma_f64 v[28:29], -v[20:21], v[22:23], 1.0
	v_fmac_f64_e32 v[22:23], v[22:23], v[28:29]
	v_div_scale_f64 v[28:29], vcc, 1.0, v[18:19], 1.0
	v_mul_f64 v[30:31], v[28:29], v[22:23]
	v_fma_f64 v[20:21], -v[20:21], v[30:31], v[28:29]
	s_nop 1
	v_div_fmas_f64 v[20:21], v[20:21], v[22:23], v[30:31]
	v_div_fixup_f64 v[18:19], v[20:21], v[18:19], 1.0
	v_fma_f64 v[20:21], v[24:25], v[8:9], v[6:7]
	v_fma_f64 v[6:7], -v[24:25], v[6:7], v[8:9]
	v_mul_f64 v[22:23], v[20:21], v[18:19]
	v_mul_f64 v[24:25], v[6:7], v[18:19]
.LBB208_36:                             ;   in Loop: Header=BB208_21 Depth=1
	v_mov_b32_e32 v6, s19
	ds_read_b128 v[18:21], v6 offset:48
	s_add_i32 s17, s17, s16
	s_lshl_b32 s10, s17, 4
	ds_read_b128 v[6:9], v6 offset:432
	ds_write_b128 v27, v[22:25]
	s_waitcnt lgkmcnt(2)
	v_mul_f64 v[28:29], v[12:13], v[20:21]
	v_mul_f64 v[20:21], v[10:11], v[20:21]
	v_fma_f64 v[10:11], v[10:11], v[18:19], -v[28:29]
	v_fmac_f64_e32 v[20:21], v[12:13], v[18:19]
	v_add_f64 v[18:19], v[2:3], -v[10:11]
	v_mov_b32_e32 v2, s18
	v_add_f64 v[20:21], v[4:5], -v[20:21]
	ds_read_b128 v[2:5], v2 offset:48
	v_mov_b32_e32 v10, s10
	ds_read_b128 v[10:13], v10 offset:48
	s_waitcnt lgkmcnt(3)
	v_cmp_gt_f64_e32 vcc, 0, v[6:7]
	s_waitcnt lgkmcnt(1)
	v_mul_f64 v[28:29], v[16:17], v[4:5]
	v_fma_f64 v[28:29], v[14:15], v[2:3], -v[28:29]
	v_mul_f64 v[4:5], v[14:15], v[4:5]
	s_waitcnt lgkmcnt(0)
	v_mul_f64 v[14:15], v[24:25], v[12:13]
	v_fmac_f64_e32 v[4:5], v[16:17], v[2:3]
	v_add_f64 v[2:3], v[18:19], -v[28:29]
	v_fma_f64 v[14:15], v[22:23], v[10:11], -v[14:15]
	v_mul_f64 v[12:13], v[22:23], v[12:13]
	v_add_f64 v[4:5], v[20:21], -v[4:5]
	v_fmac_f64_e32 v[12:13], v[24:25], v[10:11]
	v_add_f64 v[10:11], v[2:3], -v[14:15]
	v_xor_b32_e32 v2, 0x80000000, v7
	v_add_f64 v[12:13], v[4:5], -v[12:13]
	v_cndmask_b32_e32 v3, v7, v2, vcc
	v_xor_b32_e32 v4, 0x80000000, v9
	v_cmp_gt_f64_e32 vcc, 0, v[8:9]
	v_mov_b32_e32 v2, v6
	v_cndmask_b32_e32 v5, v9, v4, vcc
	v_mov_b32_e32 v4, v8
	v_cmp_ngt_f64_e32 vcc, v[2:3], v[4:5]
	s_cbranch_vccz .LBB208_38
; %bb.37:                               ;   in Loop: Header=BB208_21 Depth=1
	v_div_scale_f64 v[2:3], s[10:11], v[8:9], v[8:9], v[6:7]
	v_rcp_f64_e32 v[4:5], v[2:3]
	v_div_scale_f64 v[14:15], vcc, v[6:7], v[8:9], v[6:7]
	v_fma_f64 v[16:17], -v[2:3], v[4:5], 1.0
	v_fmac_f64_e32 v[4:5], v[4:5], v[16:17]
	v_fma_f64 v[16:17], -v[2:3], v[4:5], 1.0
	v_fmac_f64_e32 v[4:5], v[4:5], v[16:17]
	v_mul_f64 v[16:17], v[14:15], v[4:5]
	v_fma_f64 v[2:3], -v[2:3], v[16:17], v[14:15]
	v_div_fmas_f64 v[2:3], v[2:3], v[4:5], v[16:17]
	v_div_fixup_f64 v[4:5], v[2:3], v[8:9], v[6:7]
	v_fma_f64 v[2:3], v[6:7], v[4:5], v[8:9]
	v_div_scale_f64 v[14:15], s[10:11], v[2:3], v[2:3], 1.0
	v_rcp_f64_e32 v[16:17], v[14:15]
	v_fma_f64 v[18:19], -v[14:15], v[16:17], 1.0
	v_fmac_f64_e32 v[16:17], v[16:17], v[18:19]
	v_fma_f64 v[18:19], -v[14:15], v[16:17], 1.0
	v_fmac_f64_e32 v[16:17], v[16:17], v[18:19]
	v_div_scale_f64 v[18:19], vcc, 1.0, v[2:3], 1.0
	v_mul_f64 v[20:21], v[18:19], v[16:17]
	v_fma_f64 v[14:15], -v[14:15], v[20:21], v[18:19]
	s_nop 1
	v_div_fmas_f64 v[14:15], v[14:15], v[16:17], v[20:21]
	v_div_fixup_f64 v[14:15], v[14:15], v[2:3], 1.0
	v_fma_f64 v[2:3], v[4:5], v[10:11], v[12:13]
	v_fma_f64 v[4:5], v[4:5], v[12:13], -v[10:11]
	v_mul_f64 v[2:3], v[2:3], v[14:15]
	v_mul_f64 v[4:5], v[4:5], v[14:15]
	s_cbranch_execz .LBB208_39
	s_branch .LBB208_40
.LBB208_38:                             ;   in Loop: Header=BB208_21 Depth=1
                                        ; implicit-def: $vgpr4_vgpr5
.LBB208_39:                             ;   in Loop: Header=BB208_21 Depth=1
	v_div_scale_f64 v[2:3], s[10:11], v[6:7], v[6:7], v[8:9]
	v_rcp_f64_e32 v[4:5], v[2:3]
	v_div_scale_f64 v[14:15], vcc, v[8:9], v[6:7], v[8:9]
	v_fma_f64 v[16:17], -v[2:3], v[4:5], 1.0
	v_fmac_f64_e32 v[4:5], v[4:5], v[16:17]
	v_fma_f64 v[16:17], -v[2:3], v[4:5], 1.0
	v_fmac_f64_e32 v[4:5], v[4:5], v[16:17]
	v_mul_f64 v[16:17], v[14:15], v[4:5]
	v_fma_f64 v[2:3], -v[2:3], v[16:17], v[14:15]
	v_div_fmas_f64 v[2:3], v[2:3], v[4:5], v[16:17]
	v_div_fixup_f64 v[4:5], v[2:3], v[6:7], v[8:9]
	v_fmac_f64_e32 v[6:7], v[8:9], v[4:5]
	v_div_scale_f64 v[2:3], s[10:11], v[6:7], v[6:7], 1.0
	v_rcp_f64_e32 v[8:9], v[2:3]
	v_fma_f64 v[14:15], -v[2:3], v[8:9], 1.0
	v_fmac_f64_e32 v[8:9], v[8:9], v[14:15]
	v_fma_f64 v[14:15], -v[2:3], v[8:9], 1.0
	v_fmac_f64_e32 v[8:9], v[8:9], v[14:15]
	v_div_scale_f64 v[14:15], vcc, 1.0, v[6:7], 1.0
	v_mul_f64 v[16:17], v[14:15], v[8:9]
	v_fma_f64 v[2:3], -v[2:3], v[16:17], v[14:15]
	s_nop 1
	v_div_fmas_f64 v[2:3], v[2:3], v[8:9], v[16:17]
	v_div_fixup_f64 v[6:7], v[2:3], v[6:7], 1.0
	v_fma_f64 v[2:3], v[4:5], v[12:13], v[10:11]
	v_fma_f64 v[4:5], -v[4:5], v[10:11], v[12:13]
	v_mul_f64 v[2:3], v[2:3], v[6:7]
	v_mul_f64 v[4:5], v[4:5], v[6:7]
.LBB208_40:                             ;   in Loop: Header=BB208_21 Depth=1
	s_add_i32 s17, s16, 4
	s_add_i32 s10, s16, 7
	;; [unrolled: 1-line block ×3, first 2 shown]
	s_cmp_ge_i32 s10, s34
	ds_write_b128 v26, v[2:5]
	s_cbranch_scc1 .LBB208_42
; %bb.41:                               ;   in Loop: Header=BB208_21 Depth=1
	s_mov_b32 s16, s17
	s_branch .LBB208_21
.LBB208_42:
	s_cmp_ge_i32 s17, s34
	s_cbranch_scc1 .LBB208_57
; %bb.43:
	v_mov_b32_e32 v1, 0x400
	s_add_i32 s1, s17, -1
	v_lshl_or_b32 v1, v0, 4, v1
	s_lshl_b32 s16, s17, 4
	s_mov_b32 s18, 0
	v_lshlrev_b32_e32 v14, 4, v0
	s_mov_b32 s19, s17
	s_branch .LBB208_45
.LBB208_44:                             ;   in Loop: Header=BB208_45 Depth=1
	s_add_i32 s17, s17, 1
	s_add_i32 s18, s18, 1
	s_add_i32 s16, s16, 16
	v_add_u16_e64 v2, s19, 1
	s_cmp_ge_i32 s17, s34
	v_readfirstlane_b32 s19, v2
	ds_write_b128 v15, v[10:13]
	s_cbranch_scc1 .LBB208_57
.LBB208_45:                             ; =>This Loop Header: Depth=1
                                        ;     Child Loop BB208_48 Depth 2
                                        ;     Child Loop BB208_52 Depth 2
	v_lshl_or_b32 v6, s17, 7, v14
	ds_read_b128 v[2:5], v6 offset:1024
	s_cmp_eq_u32 s17, 0
	s_cbranch_scc1 .LBB208_53
; %bb.46:                               ;   in Loop: Header=BB208_45 Depth=1
	s_add_i32 s10, s1, s18
	s_cmp_lt_u32 s10, 7
	s_cbranch_scc1 .LBB208_50
; %bb.47:                               ;   in Loop: Header=BB208_45 Depth=1
	s_and_b32 s10, s17, -8
	s_mov_b32 s11, 0
	s_mov_b32 s20, s16
	v_mov_b32_e32 v7, v1
.LBB208_48:                             ;   Parent Loop BB208_45 Depth=1
                                        ; =>  This Inner Loop Header: Depth=2
	v_mov_b32_e32 v15, s20
	ds_read_b128 v[8:11], v7
	ds_read_b128 v[16:19], v7 offset:128
	ds_read_b128 v[20:23], v7 offset:256
	;; [unrolled: 1-line block ×7, first 2 shown]
	ds_read_b128 v[44:47], v15
	ds_read_b128 v[48:51], v15 offset:128
	ds_read_b128 v[52:55], v15 offset:256
	;; [unrolled: 1-line block ×3, first 2 shown]
	s_add_i32 s11, s11, 8
	s_waitcnt lgkmcnt(3)
	v_mul_f64 v[12:13], v[46:47], v[10:11]
	v_mul_f64 v[60:61], v[44:45], v[10:11]
	v_fma_f64 v[12:13], v[44:45], v[8:9], -v[12:13]
	v_fmac_f64_e32 v[60:61], v[46:47], v[8:9]
	ds_read_b128 v[8:11], v15 offset:512
	s_waitcnt lgkmcnt(3)
	v_mul_f64 v[44:45], v[50:51], v[18:19]
	v_mul_f64 v[46:47], v[48:49], v[18:19]
	v_fma_f64 v[44:45], v[48:49], v[16:17], -v[44:45]
	v_fmac_f64_e32 v[46:47], v[50:51], v[16:17]
	ds_read_b128 v[16:19], v15 offset:640
	;; [unrolled: 6-line block ×4, first 2 shown]
	v_add_f64 v[2:3], v[2:3], -v[12:13]
	v_add_f64 v[4:5], v[4:5], -v[60:61]
	v_add_f64 v[2:3], v[2:3], -v[44:45]
	v_add_f64 v[4:5], v[4:5], -v[46:47]
	s_waitcnt lgkmcnt(3)
	v_mul_f64 v[56:57], v[10:11], v[30:31]
	v_mul_f64 v[30:31], v[8:9], v[30:31]
	v_add_f64 v[2:3], v[2:3], -v[48:49]
	v_add_f64 v[4:5], v[4:5], -v[50:51]
	s_waitcnt lgkmcnt(2)
	v_mul_f64 v[58:59], v[18:19], v[34:35]
	v_fma_f64 v[8:9], v[8:9], v[28:29], -v[56:57]
	v_fmac_f64_e32 v[30:31], v[10:11], v[28:29]
	v_mul_f64 v[10:11], v[16:17], v[34:35]
	v_add_f64 v[2:3], v[2:3], -v[52:53]
	v_add_f64 v[4:5], v[4:5], -v[54:55]
	s_waitcnt lgkmcnt(1)
	v_mul_f64 v[28:29], v[22:23], v[38:39]
	v_mul_f64 v[34:35], v[20:21], v[38:39]
	v_fma_f64 v[16:17], v[16:17], v[32:33], -v[58:59]
	v_fmac_f64_e32 v[10:11], v[18:19], v[32:33]
	v_add_f64 v[2:3], v[2:3], -v[8:9]
	v_add_f64 v[4:5], v[4:5], -v[30:31]
	s_waitcnt lgkmcnt(0)
	v_mul_f64 v[38:39], v[26:27], v[42:43]
	v_mul_f64 v[18:19], v[24:25], v[42:43]
	v_fma_f64 v[20:21], v[20:21], v[36:37], -v[28:29]
	v_fmac_f64_e32 v[34:35], v[22:23], v[36:37]
	v_add_f64 v[2:3], v[2:3], -v[16:17]
	v_add_f64 v[4:5], v[4:5], -v[10:11]
	s_addk_i32 s20, 0x400
	v_fma_f64 v[22:23], v[24:25], v[40:41], -v[38:39]
	v_fmac_f64_e32 v[18:19], v[26:27], v[40:41]
	v_add_f64 v[2:3], v[2:3], -v[20:21]
	v_add_f64 v[4:5], v[4:5], -v[34:35]
	v_add_u32_e32 v7, 0x400, v7
	s_cmp_eq_u32 s10, s11
	v_add_f64 v[2:3], v[2:3], -v[22:23]
	v_add_f64 v[4:5], v[4:5], -v[18:19]
	s_cbranch_scc0 .LBB208_48
; %bb.49:                               ;   in Loop: Header=BB208_45 Depth=1
	s_and_b32 s11, s17, 7
	s_cmp_eq_u32 s11, 0
	s_cbranch_scc0 .LBB208_51
	s_branch .LBB208_53
.LBB208_50:                             ;   in Loop: Header=BB208_45 Depth=1
	s_mov_b32 s10, 0
	s_and_b32 s11, s17, 7
	s_cmp_eq_u32 s11, 0
	s_cbranch_scc1 .LBB208_53
.LBB208_51:                             ;   in Loop: Header=BB208_45 Depth=1
	s_and_b32 s11, s19, 7
	s_lshl_b32 s10, s10, 7
.LBB208_52:                             ;   Parent Loop BB208_45 Depth=1
                                        ; =>  This Inner Loop Header: Depth=2
	v_add_u32_e32 v7, s10, v1
	s_add_i32 s20, s16, s10
	v_mov_b32_e32 v12, s20
	ds_read_b128 v[8:11], v7
	ds_read_b128 v[16:19], v12
	s_add_i32 s11, s11, -1
	s_addk_i32 s10, 0x80
	s_cmp_lg_u32 s11, 0
	s_waitcnt lgkmcnt(0)
	v_mul_f64 v[12:13], v[18:19], v[10:11]
	v_mul_f64 v[10:11], v[16:17], v[10:11]
	v_fma_f64 v[12:13], v[16:17], v[8:9], -v[12:13]
	v_fmac_f64_e32 v[10:11], v[18:19], v[8:9]
	v_add_f64 v[2:3], v[2:3], -v[12:13]
	v_add_f64 v[4:5], v[4:5], -v[10:11]
	s_cbranch_scc1 .LBB208_52
.LBB208_53:                             ;   in Loop: Header=BB208_45 Depth=1
	s_mul_i32 s10, s17, 0x90
	v_add_u32_e32 v15, 0x400, v6
	v_mov_b32_e32 v6, s10
	ds_read_b128 v[6:9], v6
	s_waitcnt lgkmcnt(0)
	v_xor_b32_e32 v11, 0x80000000, v7
	v_cmp_gt_f64_e32 vcc, 0, v[6:7]
	v_xor_b32_e32 v12, 0x80000000, v9
	v_cndmask_b32_e32 v11, v7, v11, vcc
	v_cmp_gt_f64_e32 vcc, 0, v[8:9]
	v_mov_b32_e32 v10, v6
	v_cndmask_b32_e32 v13, v9, v12, vcc
	v_mov_b32_e32 v12, v8
	v_cmp_ngt_f64_e32 vcc, v[10:11], v[12:13]
	s_cbranch_vccz .LBB208_55
; %bb.54:                               ;   in Loop: Header=BB208_45 Depth=1
	v_div_scale_f64 v[10:11], s[10:11], v[8:9], v[8:9], v[6:7]
	v_rcp_f64_e32 v[12:13], v[10:11]
	v_div_scale_f64 v[16:17], vcc, v[6:7], v[8:9], v[6:7]
	v_fma_f64 v[18:19], -v[10:11], v[12:13], 1.0
	v_fmac_f64_e32 v[12:13], v[12:13], v[18:19]
	v_fma_f64 v[18:19], -v[10:11], v[12:13], 1.0
	v_fmac_f64_e32 v[12:13], v[12:13], v[18:19]
	v_mul_f64 v[18:19], v[16:17], v[12:13]
	v_fma_f64 v[10:11], -v[10:11], v[18:19], v[16:17]
	v_div_fmas_f64 v[10:11], v[10:11], v[12:13], v[18:19]
	v_div_fixup_f64 v[12:13], v[10:11], v[8:9], v[6:7]
	v_fma_f64 v[10:11], v[6:7], v[12:13], v[8:9]
	v_div_scale_f64 v[16:17], s[10:11], v[10:11], v[10:11], 1.0
	v_rcp_f64_e32 v[18:19], v[16:17]
	v_fma_f64 v[20:21], -v[16:17], v[18:19], 1.0
	v_fmac_f64_e32 v[18:19], v[18:19], v[20:21]
	v_fma_f64 v[20:21], -v[16:17], v[18:19], 1.0
	v_fmac_f64_e32 v[18:19], v[18:19], v[20:21]
	v_div_scale_f64 v[20:21], vcc, 1.0, v[10:11], 1.0
	v_mul_f64 v[22:23], v[20:21], v[18:19]
	v_fma_f64 v[16:17], -v[16:17], v[22:23], v[20:21]
	s_nop 1
	v_div_fmas_f64 v[16:17], v[16:17], v[18:19], v[22:23]
	v_div_fixup_f64 v[16:17], v[16:17], v[10:11], 1.0
	v_fma_f64 v[10:11], v[2:3], v[12:13], v[4:5]
	v_fma_f64 v[12:13], v[4:5], v[12:13], -v[2:3]
	v_mul_f64 v[10:11], v[10:11], v[16:17]
	v_mul_f64 v[12:13], v[12:13], v[16:17]
	s_cbranch_execnz .LBB208_44
	s_branch .LBB208_56
.LBB208_55:                             ;   in Loop: Header=BB208_45 Depth=1
                                        ; implicit-def: $vgpr10_vgpr11
.LBB208_56:                             ;   in Loop: Header=BB208_45 Depth=1
	v_div_scale_f64 v[10:11], s[10:11], v[6:7], v[6:7], v[8:9]
	v_rcp_f64_e32 v[12:13], v[10:11]
	v_div_scale_f64 v[16:17], vcc, v[8:9], v[6:7], v[8:9]
	v_fma_f64 v[18:19], -v[10:11], v[12:13], 1.0
	v_fmac_f64_e32 v[12:13], v[12:13], v[18:19]
	v_fma_f64 v[18:19], -v[10:11], v[12:13], 1.0
	v_fmac_f64_e32 v[12:13], v[12:13], v[18:19]
	v_mul_f64 v[18:19], v[16:17], v[12:13]
	v_fma_f64 v[10:11], -v[10:11], v[18:19], v[16:17]
	v_div_fmas_f64 v[10:11], v[10:11], v[12:13], v[18:19]
	v_div_fixup_f64 v[12:13], v[10:11], v[6:7], v[8:9]
	v_fmac_f64_e32 v[6:7], v[8:9], v[12:13]
	v_div_scale_f64 v[8:9], s[10:11], v[6:7], v[6:7], 1.0
	v_rcp_f64_e32 v[10:11], v[8:9]
	v_fma_f64 v[16:17], -v[8:9], v[10:11], 1.0
	v_fmac_f64_e32 v[10:11], v[10:11], v[16:17]
	v_fma_f64 v[16:17], -v[8:9], v[10:11], 1.0
	v_fmac_f64_e32 v[10:11], v[10:11], v[16:17]
	v_div_scale_f64 v[16:17], vcc, 1.0, v[6:7], 1.0
	v_mul_f64 v[18:19], v[16:17], v[10:11]
	v_fma_f64 v[8:9], -v[8:9], v[18:19], v[16:17]
	s_nop 1
	v_div_fmas_f64 v[8:9], v[8:9], v[10:11], v[18:19]
	v_div_fixup_f64 v[6:7], v[8:9], v[6:7], 1.0
	v_fma_f64 v[8:9], v[4:5], v[12:13], v[2:3]
	v_fma_f64 v[2:3], -v[2:3], v[12:13], v[4:5]
	v_mul_f64 v[10:11], v[8:9], v[6:7]
	v_mul_f64 v[12:13], v[2:3], v[6:7]
	s_branch .LBB208_44
.LBB208_57:
	s_mov_b64 s[10:11], 0
.LBB208_58:
	s_and_b64 vcc, exec, s[10:11]
	s_cbranch_vccz .LBB208_90
; %bb.59:
	s_andn2_b64 vcc, exec, s[8:9]
	s_mov_b32 s17, s35
	s_cbranch_vccnz .LBB208_81
; %bb.60:
	v_lshlrev_b32_e32 v1, 4, v0
	v_lshl_or_b32 v2, s34, 7, v1
	s_mul_i32 s1, s34, 0x90
	v_add_u32_e32 v26, 0x300, v2
	s_addk_i32 s1, 0xfec0
	s_mov_b32 s16, s35
.LBB208_61:                             ; =>This Loop Header: Depth=1
                                        ;     Child Loop BB208_62 Depth 2
	s_lshl_b32 s20, s16, 3
	s_add_i32 s22, s16, -1
	v_or_b32_e32 v2, s20, v0
	s_lshl_b32 s18, s22, 3
	s_add_i32 s21, s16, -2
	v_lshlrev_b32_e32 v14, 4, v2
	v_or_b32_e32 v2, s18, v0
	s_lshl_b32 s17, s21, 3
	v_lshlrev_b32_e32 v15, 4, v2
	v_or_b32_e32 v2, s17, v0
	v_lshlrev_b32_e32 v16, 4, v2
	s_add_i32 s19, s16, -3
	ds_read_b128 v[18:21], v14 offset:1024
	ds_read_b128 v[10:13], v15 offset:1024
	v_lshl_or_b32 v17, s19, 7, v1
	ds_read_b128 v[6:9], v16 offset:1024
	ds_read_b128 v[2:5], v17 offset:1024
	s_cmp_le_i32 s35, s16
	s_mov_b32 s10, s1
	v_mov_b32_e32 v22, v26
	s_mov_b32 s11, s35
	s_cbranch_scc1 .LBB208_63
.LBB208_62:                             ;   Parent Loop BB208_61 Depth=1
                                        ; =>  This Inner Loop Header: Depth=2
	v_mov_b32_e32 v23, s10
	ds_read_b128 v[28:31], v22 offset:128
	ds_read_b128 v[32:35], v23 offset:176
	s_add_i32 s11, s11, -2
	s_addk_i32 s10, 0xff00
	s_cmp_le_i32 s11, s16
	s_waitcnt lgkmcnt(0)
	v_mul_f64 v[24:25], v[30:31], v[34:35]
	v_mul_f64 v[34:35], v[28:29], v[34:35]
	v_fma_f64 v[24:25], v[28:29], v[32:33], -v[24:25]
	v_fmac_f64_e32 v[34:35], v[30:31], v[32:33]
	v_add_f64 v[24:25], v[18:19], -v[24:25]
	v_add_f64 v[32:33], v[20:21], -v[34:35]
	ds_read_b128 v[18:21], v23 offset:160
	s_waitcnt lgkmcnt(0)
	v_mul_f64 v[34:35], v[30:31], v[20:21]
	v_mul_f64 v[20:21], v[28:29], v[20:21]
	v_fma_f64 v[34:35], v[28:29], v[18:19], -v[34:35]
	v_fmac_f64_e32 v[20:21], v[30:31], v[18:19]
	v_add_f64 v[34:35], v[10:11], -v[34:35]
	v_add_f64 v[36:37], v[12:13], -v[20:21]
	ds_read_b128 v[10:13], v23 offset:144
	;; [unrolled: 8-line block ×3, first 2 shown]
	s_waitcnt lgkmcnt(0)
	v_mul_f64 v[10:11], v[30:31], v[8:9]
	v_mul_f64 v[8:9], v[28:29], v[8:9]
	v_fma_f64 v[10:11], v[28:29], v[6:7], -v[10:11]
	v_fmac_f64_e32 v[8:9], v[30:31], v[6:7]
	v_add_f64 v[42:43], v[2:3], -v[10:11]
	v_add_f64 v[44:45], v[4:5], -v[8:9]
	ds_read_b128 v[2:5], v22
	ds_read_b128 v[28:31], v23
	ds_read_b128 v[6:9], v23 offset:16
	ds_read_b128 v[10:13], v23 offset:32
	;; [unrolled: 1-line block ×3, first 2 shown]
	v_add_u32_e32 v22, 0xffffff00, v22
	s_waitcnt lgkmcnt(0)
	v_mul_f64 v[46:47], v[4:5], v[20:21]
	v_fma_f64 v[46:47], v[2:3], v[18:19], -v[46:47]
	v_mul_f64 v[20:21], v[2:3], v[20:21]
	v_fmac_f64_e32 v[20:21], v[4:5], v[18:19]
	v_add_f64 v[18:19], v[24:25], -v[46:47]
	v_mul_f64 v[24:25], v[4:5], v[12:13]
	v_fma_f64 v[24:25], v[2:3], v[10:11], -v[24:25]
	v_mul_f64 v[12:13], v[2:3], v[12:13]
	v_fmac_f64_e32 v[12:13], v[4:5], v[10:11]
	v_add_f64 v[10:11], v[34:35], -v[24:25]
	;; [unrolled: 5-line block ×3, first 2 shown]
	v_mul_f64 v[24:25], v[4:5], v[30:31]
	v_mul_f64 v[30:31], v[2:3], v[30:31]
	v_fma_f64 v[24:25], v[2:3], v[28:29], -v[24:25]
	v_fmac_f64_e32 v[30:31], v[4:5], v[28:29]
	v_add_f64 v[20:21], v[32:33], -v[20:21]
	v_add_f64 v[12:13], v[36:37], -v[12:13]
	;; [unrolled: 1-line block ×5, first 2 shown]
	s_cbranch_scc0 .LBB208_62
.LBB208_63:                             ;   in Loop: Header=BB208_61 Depth=1
	s_mul_i32 s23, s16, 0x90
	v_add_u32_e32 v30, 0x400, v14
	v_mov_b32_e32 v14, s23
	ds_read_b128 v[22:25], v14
	v_add_u32_e32 v29, 0x400, v15
	v_add_u32_e32 v28, 0x400, v16
	;; [unrolled: 1-line block ×3, first 2 shown]
	s_waitcnt lgkmcnt(0)
	v_xor_b32_e32 v15, 0x80000000, v23
	v_cmp_gt_f64_e32 vcc, 0, v[22:23]
	v_xor_b32_e32 v16, 0x80000000, v25
	v_cndmask_b32_e32 v15, v23, v15, vcc
	v_cmp_gt_f64_e32 vcc, 0, v[24:25]
	v_mov_b32_e32 v14, v22
	v_cndmask_b32_e32 v17, v25, v16, vcc
	v_mov_b32_e32 v16, v24
	v_cmp_ngt_f64_e32 vcc, v[14:15], v[16:17]
	s_cbranch_vccz .LBB208_65
; %bb.64:                               ;   in Loop: Header=BB208_61 Depth=1
	v_div_scale_f64 v[14:15], s[10:11], v[24:25], v[24:25], v[22:23]
	v_rcp_f64_e32 v[16:17], v[14:15]
	v_div_scale_f64 v[32:33], vcc, v[22:23], v[24:25], v[22:23]
	v_fma_f64 v[34:35], -v[14:15], v[16:17], 1.0
	v_fmac_f64_e32 v[16:17], v[16:17], v[34:35]
	v_fma_f64 v[34:35], -v[14:15], v[16:17], 1.0
	v_fmac_f64_e32 v[16:17], v[16:17], v[34:35]
	v_mul_f64 v[34:35], v[32:33], v[16:17]
	v_fma_f64 v[14:15], -v[14:15], v[34:35], v[32:33]
	v_div_fmas_f64 v[14:15], v[14:15], v[16:17], v[34:35]
	v_div_fixup_f64 v[16:17], v[14:15], v[24:25], v[22:23]
	v_fma_f64 v[14:15], v[22:23], v[16:17], v[24:25]
	v_div_scale_f64 v[32:33], s[10:11], v[14:15], v[14:15], 1.0
	v_rcp_f64_e32 v[34:35], v[32:33]
	v_fma_f64 v[36:37], -v[32:33], v[34:35], 1.0
	v_fmac_f64_e32 v[34:35], v[34:35], v[36:37]
	v_fma_f64 v[36:37], -v[32:33], v[34:35], 1.0
	v_fmac_f64_e32 v[34:35], v[34:35], v[36:37]
	v_div_scale_f64 v[36:37], vcc, 1.0, v[14:15], 1.0
	v_mul_f64 v[38:39], v[36:37], v[34:35]
	v_fma_f64 v[32:33], -v[32:33], v[38:39], v[36:37]
	s_nop 1
	v_div_fmas_f64 v[32:33], v[32:33], v[34:35], v[38:39]
	v_div_fixup_f64 v[32:33], v[32:33], v[14:15], 1.0
	v_fma_f64 v[14:15], v[18:19], v[16:17], v[20:21]
	v_fma_f64 v[16:17], v[20:21], v[16:17], -v[18:19]
	v_mul_f64 v[14:15], v[14:15], v[32:33]
	v_mul_f64 v[16:17], v[16:17], v[32:33]
	s_cbranch_execz .LBB208_66
	s_branch .LBB208_67
.LBB208_65:                             ;   in Loop: Header=BB208_61 Depth=1
                                        ; implicit-def: $vgpr16_vgpr17
.LBB208_66:                             ;   in Loop: Header=BB208_61 Depth=1
	v_div_scale_f64 v[14:15], s[10:11], v[22:23], v[22:23], v[24:25]
	v_rcp_f64_e32 v[16:17], v[14:15]
	v_div_scale_f64 v[32:33], vcc, v[24:25], v[22:23], v[24:25]
	v_fma_f64 v[34:35], -v[14:15], v[16:17], 1.0
	v_fmac_f64_e32 v[16:17], v[16:17], v[34:35]
	v_fma_f64 v[34:35], -v[14:15], v[16:17], 1.0
	v_fmac_f64_e32 v[16:17], v[16:17], v[34:35]
	v_mul_f64 v[34:35], v[32:33], v[16:17]
	v_fma_f64 v[14:15], -v[14:15], v[34:35], v[32:33]
	v_div_fmas_f64 v[14:15], v[14:15], v[16:17], v[34:35]
	v_div_fixup_f64 v[16:17], v[14:15], v[22:23], v[24:25]
	v_fmac_f64_e32 v[22:23], v[24:25], v[16:17]
	v_div_scale_f64 v[14:15], s[10:11], v[22:23], v[22:23], 1.0
	v_rcp_f64_e32 v[24:25], v[14:15]
	v_fma_f64 v[32:33], -v[14:15], v[24:25], 1.0
	v_fmac_f64_e32 v[24:25], v[24:25], v[32:33]
	v_fma_f64 v[32:33], -v[14:15], v[24:25], 1.0
	v_fmac_f64_e32 v[24:25], v[24:25], v[32:33]
	v_div_scale_f64 v[32:33], vcc, 1.0, v[22:23], 1.0
	v_mul_f64 v[34:35], v[32:33], v[24:25]
	v_fma_f64 v[14:15], -v[14:15], v[34:35], v[32:33]
	s_nop 1
	v_div_fmas_f64 v[14:15], v[14:15], v[24:25], v[34:35]
	v_div_fixup_f64 v[22:23], v[14:15], v[22:23], 1.0
	v_fma_f64 v[14:15], v[20:21], v[16:17], v[18:19]
	v_fma_f64 v[16:17], -v[18:19], v[16:17], v[20:21]
	v_mul_f64 v[14:15], v[14:15], v[22:23]
	v_mul_f64 v[16:17], v[16:17], v[22:23]
.LBB208_67:                             ;   in Loop: Header=BB208_61 Depth=1
	s_add_i32 s10, s20, s22
	s_lshl_b32 s10, s10, 4
	v_mov_b32_e32 v18, s10
	ds_read_b128 v[22:25], v18
	s_add_i32 s22, s23, 0xffffff70
	v_mov_b32_e32 v18, s22
	ds_read_b128 v[18:21], v18
	ds_write_b128 v30, v[14:17]
	s_waitcnt lgkmcnt(2)
	v_mul_f64 v[30:31], v[16:17], v[24:25]
	v_fma_f64 v[30:31], v[14:15], v[22:23], -v[30:31]
	v_mul_f64 v[24:25], v[14:15], v[24:25]
	v_fmac_f64_e32 v[24:25], v[16:17], v[22:23]
	v_add_f64 v[22:23], v[10:11], -v[30:31]
	s_waitcnt lgkmcnt(1)
	v_xor_b32_e32 v10, 0x80000000, v19
	v_cmp_gt_f64_e32 vcc, 0, v[18:19]
	v_add_f64 v[24:25], v[12:13], -v[24:25]
	v_cndmask_b32_e32 v11, v19, v10, vcc
	v_xor_b32_e32 v12, 0x80000000, v21
	v_cmp_gt_f64_e32 vcc, 0, v[20:21]
	v_mov_b32_e32 v10, v18
	v_cndmask_b32_e32 v13, v21, v12, vcc
	v_mov_b32_e32 v12, v20
	v_cmp_ngt_f64_e32 vcc, v[10:11], v[12:13]
	s_cbranch_vccz .LBB208_69
; %bb.68:                               ;   in Loop: Header=BB208_61 Depth=1
	v_div_scale_f64 v[10:11], s[10:11], v[20:21], v[20:21], v[18:19]
	v_rcp_f64_e32 v[12:13], v[10:11]
	v_div_scale_f64 v[30:31], vcc, v[18:19], v[20:21], v[18:19]
	v_fma_f64 v[32:33], -v[10:11], v[12:13], 1.0
	v_fmac_f64_e32 v[12:13], v[12:13], v[32:33]
	v_fma_f64 v[32:33], -v[10:11], v[12:13], 1.0
	v_fmac_f64_e32 v[12:13], v[12:13], v[32:33]
	v_mul_f64 v[32:33], v[30:31], v[12:13]
	v_fma_f64 v[10:11], -v[10:11], v[32:33], v[30:31]
	v_div_fmas_f64 v[10:11], v[10:11], v[12:13], v[32:33]
	v_div_fixup_f64 v[12:13], v[10:11], v[20:21], v[18:19]
	v_fma_f64 v[10:11], v[18:19], v[12:13], v[20:21]
	v_div_scale_f64 v[30:31], s[10:11], v[10:11], v[10:11], 1.0
	v_rcp_f64_e32 v[32:33], v[30:31]
	v_fma_f64 v[34:35], -v[30:31], v[32:33], 1.0
	v_fmac_f64_e32 v[32:33], v[32:33], v[34:35]
	v_fma_f64 v[34:35], -v[30:31], v[32:33], 1.0
	v_fmac_f64_e32 v[32:33], v[32:33], v[34:35]
	v_div_scale_f64 v[34:35], vcc, 1.0, v[10:11], 1.0
	v_mul_f64 v[36:37], v[34:35], v[32:33]
	v_fma_f64 v[30:31], -v[30:31], v[36:37], v[34:35]
	s_nop 1
	v_div_fmas_f64 v[30:31], v[30:31], v[32:33], v[36:37]
	v_div_fixup_f64 v[30:31], v[30:31], v[10:11], 1.0
	v_fma_f64 v[10:11], v[12:13], v[22:23], v[24:25]
	v_fma_f64 v[12:13], v[12:13], v[24:25], -v[22:23]
	v_mul_f64 v[10:11], v[10:11], v[30:31]
	v_mul_f64 v[12:13], v[12:13], v[30:31]
	s_cbranch_execz .LBB208_70
	s_branch .LBB208_71
.LBB208_69:                             ;   in Loop: Header=BB208_61 Depth=1
                                        ; implicit-def: $vgpr12_vgpr13
.LBB208_70:                             ;   in Loop: Header=BB208_61 Depth=1
	v_div_scale_f64 v[10:11], s[10:11], v[18:19], v[18:19], v[20:21]
	v_rcp_f64_e32 v[12:13], v[10:11]
	v_div_scale_f64 v[30:31], vcc, v[20:21], v[18:19], v[20:21]
	v_fma_f64 v[32:33], -v[10:11], v[12:13], 1.0
	v_fmac_f64_e32 v[12:13], v[12:13], v[32:33]
	v_fma_f64 v[32:33], -v[10:11], v[12:13], 1.0
	v_fmac_f64_e32 v[12:13], v[12:13], v[32:33]
	v_mul_f64 v[32:33], v[30:31], v[12:13]
	v_fma_f64 v[10:11], -v[10:11], v[32:33], v[30:31]
	v_div_fmas_f64 v[10:11], v[10:11], v[12:13], v[32:33]
	v_div_fixup_f64 v[12:13], v[10:11], v[18:19], v[20:21]
	v_fmac_f64_e32 v[18:19], v[20:21], v[12:13]
	v_div_scale_f64 v[10:11], s[10:11], v[18:19], v[18:19], 1.0
	v_rcp_f64_e32 v[20:21], v[10:11]
	v_fma_f64 v[30:31], -v[10:11], v[20:21], 1.0
	v_fmac_f64_e32 v[20:21], v[20:21], v[30:31]
	v_fma_f64 v[30:31], -v[10:11], v[20:21], 1.0
	v_fmac_f64_e32 v[20:21], v[20:21], v[30:31]
	v_div_scale_f64 v[30:31], vcc, 1.0, v[18:19], 1.0
	v_mul_f64 v[32:33], v[30:31], v[20:21]
	v_fma_f64 v[10:11], -v[10:11], v[32:33], v[30:31]
	s_nop 1
	v_div_fmas_f64 v[10:11], v[10:11], v[20:21], v[32:33]
	v_div_fixup_f64 v[18:19], v[10:11], v[18:19], 1.0
	v_fma_f64 v[10:11], v[12:13], v[24:25], v[22:23]
	v_fma_f64 v[12:13], -v[12:13], v[22:23], v[24:25]
	v_mul_f64 v[10:11], v[10:11], v[18:19]
	v_mul_f64 v[12:13], v[12:13], v[18:19]
.LBB208_71:                             ;   in Loop: Header=BB208_61 Depth=1
	s_add_i32 s10, s20, s21
	s_lshl_b32 s10, s10, 4
	v_mov_b32_e32 v18, s10
	s_add_i32 s10, s18, s21
	ds_read_b128 v[18:21], v18
	s_lshl_b32 s10, s10, 4
	v_mov_b32_e32 v22, s10
	ds_read_b128 v[22:25], v22
	s_add_i32 s21, s22, 0xffffff70
	s_waitcnt lgkmcnt(1)
	v_mul_f64 v[30:31], v[16:17], v[20:21]
	v_fma_f64 v[30:31], v[14:15], v[18:19], -v[30:31]
	v_mul_f64 v[20:21], v[14:15], v[20:21]
	v_fmac_f64_e32 v[20:21], v[16:17], v[18:19]
	v_add_f64 v[18:19], v[6:7], -v[30:31]
	s_waitcnt lgkmcnt(0)
	v_mul_f64 v[6:7], v[12:13], v[24:25]
	v_fma_f64 v[30:31], v[10:11], v[22:23], -v[6:7]
	v_mov_b32_e32 v6, s21
	v_add_f64 v[20:21], v[8:9], -v[20:21]
	ds_read_b128 v[6:9], v6
	v_mul_f64 v[24:25], v[10:11], v[24:25]
	v_fmac_f64_e32 v[24:25], v[12:13], v[22:23]
	v_add_f64 v[22:23], v[18:19], -v[30:31]
	v_add_f64 v[24:25], v[20:21], -v[24:25]
	s_waitcnt lgkmcnt(0)
	v_xor_b32_e32 v18, 0x80000000, v7
	v_cmp_gt_f64_e32 vcc, 0, v[6:7]
	v_cndmask_b32_e32 v19, v7, v18, vcc
	v_xor_b32_e32 v20, 0x80000000, v9
	v_cmp_gt_f64_e32 vcc, 0, v[8:9]
	v_mov_b32_e32 v18, v6
	v_cndmask_b32_e32 v21, v9, v20, vcc
	v_mov_b32_e32 v20, v8
	v_cmp_ngt_f64_e32 vcc, v[18:19], v[20:21]
	ds_write_b128 v29, v[10:13]
	s_cbranch_vccz .LBB208_73
; %bb.72:                               ;   in Loop: Header=BB208_61 Depth=1
	v_div_scale_f64 v[18:19], s[10:11], v[8:9], v[8:9], v[6:7]
	v_rcp_f64_e32 v[20:21], v[18:19]
	v_div_scale_f64 v[30:31], vcc, v[6:7], v[8:9], v[6:7]
	v_fma_f64 v[32:33], -v[18:19], v[20:21], 1.0
	v_fmac_f64_e32 v[20:21], v[20:21], v[32:33]
	v_fma_f64 v[32:33], -v[18:19], v[20:21], 1.0
	v_fmac_f64_e32 v[20:21], v[20:21], v[32:33]
	v_mul_f64 v[32:33], v[30:31], v[20:21]
	v_fma_f64 v[18:19], -v[18:19], v[32:33], v[30:31]
	v_div_fmas_f64 v[18:19], v[18:19], v[20:21], v[32:33]
	v_div_fixup_f64 v[20:21], v[18:19], v[8:9], v[6:7]
	v_fma_f64 v[18:19], v[6:7], v[20:21], v[8:9]
	v_div_scale_f64 v[30:31], s[10:11], v[18:19], v[18:19], 1.0
	v_rcp_f64_e32 v[32:33], v[30:31]
	v_fma_f64 v[34:35], -v[30:31], v[32:33], 1.0
	v_fmac_f64_e32 v[32:33], v[32:33], v[34:35]
	v_fma_f64 v[34:35], -v[30:31], v[32:33], 1.0
	v_fmac_f64_e32 v[32:33], v[32:33], v[34:35]
	v_div_scale_f64 v[34:35], vcc, 1.0, v[18:19], 1.0
	v_mul_f64 v[36:37], v[34:35], v[32:33]
	v_fma_f64 v[30:31], -v[30:31], v[36:37], v[34:35]
	s_nop 1
	v_div_fmas_f64 v[30:31], v[30:31], v[32:33], v[36:37]
	v_div_fixup_f64 v[30:31], v[30:31], v[18:19], 1.0
	v_fma_f64 v[18:19], v[20:21], v[22:23], v[24:25]
	v_fma_f64 v[20:21], v[20:21], v[24:25], -v[22:23]
	v_mul_f64 v[18:19], v[18:19], v[30:31]
	v_mul_f64 v[20:21], v[20:21], v[30:31]
	s_cbranch_execz .LBB208_74
	s_branch .LBB208_75
.LBB208_73:                             ;   in Loop: Header=BB208_61 Depth=1
                                        ; implicit-def: $vgpr20_vgpr21
.LBB208_74:                             ;   in Loop: Header=BB208_61 Depth=1
	v_div_scale_f64 v[18:19], s[10:11], v[6:7], v[6:7], v[8:9]
	v_rcp_f64_e32 v[20:21], v[18:19]
	v_div_scale_f64 v[30:31], vcc, v[8:9], v[6:7], v[8:9]
	v_fma_f64 v[32:33], -v[18:19], v[20:21], 1.0
	v_fmac_f64_e32 v[20:21], v[20:21], v[32:33]
	v_fma_f64 v[32:33], -v[18:19], v[20:21], 1.0
	v_fmac_f64_e32 v[20:21], v[20:21], v[32:33]
	v_mul_f64 v[32:33], v[30:31], v[20:21]
	v_fma_f64 v[18:19], -v[18:19], v[32:33], v[30:31]
	v_div_fmas_f64 v[18:19], v[18:19], v[20:21], v[32:33]
	v_div_fixup_f64 v[20:21], v[18:19], v[6:7], v[8:9]
	v_fmac_f64_e32 v[6:7], v[8:9], v[20:21]
	v_div_scale_f64 v[8:9], s[10:11], v[6:7], v[6:7], 1.0
	v_rcp_f64_e32 v[18:19], v[8:9]
	v_fma_f64 v[30:31], -v[8:9], v[18:19], 1.0
	v_fmac_f64_e32 v[18:19], v[18:19], v[30:31]
	v_fma_f64 v[30:31], -v[8:9], v[18:19], 1.0
	v_fmac_f64_e32 v[18:19], v[18:19], v[30:31]
	v_div_scale_f64 v[30:31], vcc, 1.0, v[6:7], 1.0
	v_mul_f64 v[32:33], v[30:31], v[18:19]
	v_fma_f64 v[8:9], -v[8:9], v[32:33], v[30:31]
	s_nop 1
	v_div_fmas_f64 v[8:9], v[8:9], v[18:19], v[32:33]
	v_div_fixup_f64 v[6:7], v[8:9], v[6:7], 1.0
	v_fma_f64 v[8:9], v[20:21], v[24:25], v[22:23]
	v_mul_f64 v[18:19], v[8:9], v[6:7]
	v_fma_f64 v[8:9], -v[20:21], v[22:23], v[24:25]
	v_mul_f64 v[20:21], v[8:9], v[6:7]
.LBB208_75:                             ;   in Loop: Header=BB208_61 Depth=1
	s_add_i32 s20, s20, s19
	s_lshl_b32 s10, s20, 4
	s_add_i32 s18, s18, s19
	v_mov_b32_e32 v6, s10
	s_lshl_b32 s10, s18, 4
	ds_read_b128 v[6:9], v6
	v_mov_b32_e32 v22, s10
	ds_read_b128 v[22:25], v22
	ds_write_b128 v28, v[18:21]
	s_add_i32 s17, s17, s19
	s_waitcnt lgkmcnt(2)
	v_mul_f64 v[28:29], v[16:17], v[8:9]
	v_mul_f64 v[8:9], v[14:15], v[8:9]
	v_fma_f64 v[28:29], v[14:15], v[6:7], -v[28:29]
	v_fmac_f64_e32 v[8:9], v[16:17], v[6:7]
	s_waitcnt lgkmcnt(1)
	v_mul_f64 v[6:7], v[12:13], v[24:25]
	v_add_f64 v[2:3], v[2:3], -v[28:29]
	v_fma_f64 v[6:7], v[10:11], v[22:23], -v[6:7]
	v_mul_f64 v[10:11], v[10:11], v[24:25]
	s_lshl_b32 s10, s17, 4
	v_fmac_f64_e32 v[10:11], v[12:13], v[22:23]
	v_add_f64 v[12:13], v[2:3], -v[6:7]
	v_mov_b32_e32 v2, s10
	s_add_i32 s10, s21, 0xffffff70
	v_add_f64 v[4:5], v[4:5], -v[8:9]
	ds_read_b128 v[6:9], v2
	v_mov_b32_e32 v2, s10
	v_add_f64 v[14:15], v[4:5], -v[10:11]
	ds_read_b128 v[2:5], v2
	s_waitcnt lgkmcnt(1)
	v_mul_f64 v[10:11], v[20:21], v[8:9]
	v_mul_f64 v[8:9], v[18:19], v[8:9]
	v_fma_f64 v[10:11], v[18:19], v[6:7], -v[10:11]
	v_fmac_f64_e32 v[8:9], v[20:21], v[6:7]
	s_waitcnt lgkmcnt(0)
	v_xor_b32_e32 v6, 0x80000000, v3
	v_cmp_gt_f64_e32 vcc, 0, v[2:3]
	v_add_f64 v[10:11], v[12:13], -v[10:11]
	v_add_f64 v[12:13], v[14:15], -v[8:9]
	v_cndmask_b32_e32 v7, v3, v6, vcc
	v_xor_b32_e32 v8, 0x80000000, v5
	v_cmp_gt_f64_e32 vcc, 0, v[4:5]
	v_mov_b32_e32 v6, v2
	v_cndmask_b32_e32 v9, v5, v8, vcc
	v_mov_b32_e32 v8, v4
	v_cmp_ngt_f64_e32 vcc, v[6:7], v[8:9]
	s_cbranch_vccz .LBB208_77
; %bb.76:                               ;   in Loop: Header=BB208_61 Depth=1
	v_div_scale_f64 v[6:7], s[10:11], v[4:5], v[4:5], v[2:3]
	v_rcp_f64_e32 v[8:9], v[6:7]
	v_div_scale_f64 v[14:15], vcc, v[2:3], v[4:5], v[2:3]
	v_fma_f64 v[16:17], -v[6:7], v[8:9], 1.0
	v_fmac_f64_e32 v[8:9], v[8:9], v[16:17]
	v_fma_f64 v[16:17], -v[6:7], v[8:9], 1.0
	v_fmac_f64_e32 v[8:9], v[8:9], v[16:17]
	v_mul_f64 v[16:17], v[14:15], v[8:9]
	v_fma_f64 v[6:7], -v[6:7], v[16:17], v[14:15]
	v_div_fmas_f64 v[6:7], v[6:7], v[8:9], v[16:17]
	v_div_fixup_f64 v[8:9], v[6:7], v[4:5], v[2:3]
	v_fma_f64 v[6:7], v[2:3], v[8:9], v[4:5]
	v_div_scale_f64 v[14:15], s[10:11], v[6:7], v[6:7], 1.0
	v_rcp_f64_e32 v[16:17], v[14:15]
	v_fma_f64 v[18:19], -v[14:15], v[16:17], 1.0
	v_fmac_f64_e32 v[16:17], v[16:17], v[18:19]
	v_fma_f64 v[18:19], -v[14:15], v[16:17], 1.0
	v_fmac_f64_e32 v[16:17], v[16:17], v[18:19]
	v_div_scale_f64 v[18:19], vcc, 1.0, v[6:7], 1.0
	v_mul_f64 v[20:21], v[18:19], v[16:17]
	v_fma_f64 v[14:15], -v[14:15], v[20:21], v[18:19]
	s_nop 1
	v_div_fmas_f64 v[14:15], v[14:15], v[16:17], v[20:21]
	v_div_fixup_f64 v[14:15], v[14:15], v[6:7], 1.0
	v_fma_f64 v[6:7], v[8:9], v[10:11], v[12:13]
	v_fma_f64 v[8:9], v[8:9], v[12:13], -v[10:11]
	v_mul_f64 v[6:7], v[6:7], v[14:15]
	v_mul_f64 v[8:9], v[8:9], v[14:15]
	s_cbranch_execz .LBB208_78
	s_branch .LBB208_79
.LBB208_77:                             ;   in Loop: Header=BB208_61 Depth=1
                                        ; implicit-def: $vgpr8_vgpr9
.LBB208_78:                             ;   in Loop: Header=BB208_61 Depth=1
	v_div_scale_f64 v[6:7], s[10:11], v[2:3], v[2:3], v[4:5]
	v_rcp_f64_e32 v[8:9], v[6:7]
	v_div_scale_f64 v[14:15], vcc, v[4:5], v[2:3], v[4:5]
	v_fma_f64 v[16:17], -v[6:7], v[8:9], 1.0
	v_fmac_f64_e32 v[8:9], v[8:9], v[16:17]
	v_fma_f64 v[16:17], -v[6:7], v[8:9], 1.0
	v_fmac_f64_e32 v[8:9], v[8:9], v[16:17]
	v_mul_f64 v[16:17], v[14:15], v[8:9]
	v_fma_f64 v[6:7], -v[6:7], v[16:17], v[14:15]
	v_div_fmas_f64 v[6:7], v[6:7], v[8:9], v[16:17]
	v_div_fixup_f64 v[8:9], v[6:7], v[2:3], v[4:5]
	v_fmac_f64_e32 v[2:3], v[4:5], v[8:9]
	v_div_scale_f64 v[4:5], s[10:11], v[2:3], v[2:3], 1.0
	v_rcp_f64_e32 v[6:7], v[4:5]
	v_fma_f64 v[14:15], -v[4:5], v[6:7], 1.0
	v_fmac_f64_e32 v[6:7], v[6:7], v[14:15]
	v_fma_f64 v[14:15], -v[4:5], v[6:7], 1.0
	v_fmac_f64_e32 v[6:7], v[6:7], v[14:15]
	v_div_scale_f64 v[14:15], vcc, 1.0, v[2:3], 1.0
	v_mul_f64 v[16:17], v[14:15], v[6:7]
	v_fma_f64 v[4:5], -v[4:5], v[16:17], v[14:15]
	s_nop 1
	v_div_fmas_f64 v[4:5], v[4:5], v[6:7], v[16:17]
	v_div_fixup_f64 v[2:3], v[4:5], v[2:3], 1.0
	v_fma_f64 v[4:5], v[8:9], v[12:13], v[10:11]
	v_mul_f64 v[6:7], v[4:5], v[2:3]
	v_fma_f64 v[4:5], -v[8:9], v[10:11], v[12:13]
	v_mul_f64 v[8:9], v[4:5], v[2:3]
.LBB208_79:                             ;   in Loop: Header=BB208_61 Depth=1
	s_add_i32 s17, s16, -4
	s_sub_i32 s1, s1, 64
	s_cmp_lt_i32 s16, 7
	ds_write_b128 v27, v[6:9]
	s_cbranch_scc1 .LBB208_81
; %bb.80:                               ;   in Loop: Header=BB208_61 Depth=1
	s_mov_b32 s16, s17
	s_branch .LBB208_61
.LBB208_81:
	s_cmp_lt_i32 s17, 0
	s_cbranch_scc1 .LBB208_90
; %bb.82:
	s_lshl_b32 s1, s34, 7
	s_lshl_b32 s10, s17, 4
	v_lshl_or_b32 v1, v0, 4, s1
	s_add_i32 s1, s1, s10
	v_add_u32_e32 v1, 0x380, v1
	s_addk_i32 s1, 0xff80
	v_lshlrev_b32_e32 v14, 4, v0
	s_branch .LBB208_84
.LBB208_83:                             ;   in Loop: Header=BB208_84 Depth=1
	s_add_i32 s10, s17, -1
	s_add_i32 s1, s1, -16
	s_cmp_lt_i32 s17, 1
	s_mov_b32 s17, s10
	ds_write_b128 v15, v[10:13]
	s_cbranch_scc1 .LBB208_90
.LBB208_84:                             ; =>This Loop Header: Depth=1
                                        ;     Child Loop BB208_85 Depth 2
	v_lshl_or_b32 v6, s17, 7, v14
	ds_read_b128 v[2:5], v6 offset:1024
	s_cmp_le_i32 s35, s17
	s_mov_b32 s10, s1
	v_mov_b32_e32 v7, v1
	s_mov_b32 s11, s35
	s_cbranch_scc1 .LBB208_86
.LBB208_85:                             ;   Parent Loop BB208_84 Depth=1
                                        ; =>  This Inner Loop Header: Depth=2
	v_mov_b32_e32 v12, s10
	ds_read_b128 v[8:11], v7
	ds_read_b128 v[16:19], v12
	s_add_i32 s11, s11, -1
	s_addk_i32 s10, 0xff80
	v_add_u32_e32 v7, 0xffffff80, v7
	s_cmp_le_i32 s11, s17
	s_waitcnt lgkmcnt(0)
	v_mul_f64 v[12:13], v[18:19], v[10:11]
	v_mul_f64 v[10:11], v[16:17], v[10:11]
	v_fma_f64 v[12:13], v[16:17], v[8:9], -v[12:13]
	v_fmac_f64_e32 v[10:11], v[18:19], v[8:9]
	v_add_f64 v[2:3], v[2:3], -v[12:13]
	v_add_f64 v[4:5], v[4:5], -v[10:11]
	s_cbranch_scc0 .LBB208_85
.LBB208_86:                             ;   in Loop: Header=BB208_84 Depth=1
	s_mul_i32 s10, s17, 0x90
	v_add_u32_e32 v15, 0x400, v6
	v_mov_b32_e32 v6, s10
	ds_read_b128 v[6:9], v6
	s_waitcnt lgkmcnt(0)
	v_xor_b32_e32 v11, 0x80000000, v7
	v_cmp_gt_f64_e32 vcc, 0, v[6:7]
	v_xor_b32_e32 v12, 0x80000000, v9
	v_cndmask_b32_e32 v11, v7, v11, vcc
	v_cmp_gt_f64_e32 vcc, 0, v[8:9]
	v_mov_b32_e32 v10, v6
	v_cndmask_b32_e32 v13, v9, v12, vcc
	v_mov_b32_e32 v12, v8
	v_cmp_ngt_f64_e32 vcc, v[10:11], v[12:13]
	s_cbranch_vccz .LBB208_88
; %bb.87:                               ;   in Loop: Header=BB208_84 Depth=1
	v_div_scale_f64 v[10:11], s[10:11], v[8:9], v[8:9], v[6:7]
	v_rcp_f64_e32 v[12:13], v[10:11]
	v_div_scale_f64 v[16:17], vcc, v[6:7], v[8:9], v[6:7]
	v_fma_f64 v[18:19], -v[10:11], v[12:13], 1.0
	v_fmac_f64_e32 v[12:13], v[12:13], v[18:19]
	v_fma_f64 v[18:19], -v[10:11], v[12:13], 1.0
	v_fmac_f64_e32 v[12:13], v[12:13], v[18:19]
	v_mul_f64 v[18:19], v[16:17], v[12:13]
	v_fma_f64 v[10:11], -v[10:11], v[18:19], v[16:17]
	v_div_fmas_f64 v[10:11], v[10:11], v[12:13], v[18:19]
	v_div_fixup_f64 v[12:13], v[10:11], v[8:9], v[6:7]
	v_fma_f64 v[10:11], v[6:7], v[12:13], v[8:9]
	v_div_scale_f64 v[16:17], s[10:11], v[10:11], v[10:11], 1.0
	v_rcp_f64_e32 v[18:19], v[16:17]
	v_fma_f64 v[20:21], -v[16:17], v[18:19], 1.0
	v_fmac_f64_e32 v[18:19], v[18:19], v[20:21]
	v_fma_f64 v[20:21], -v[16:17], v[18:19], 1.0
	v_fmac_f64_e32 v[18:19], v[18:19], v[20:21]
	v_div_scale_f64 v[20:21], vcc, 1.0, v[10:11], 1.0
	v_mul_f64 v[22:23], v[20:21], v[18:19]
	v_fma_f64 v[16:17], -v[16:17], v[22:23], v[20:21]
	s_nop 1
	v_div_fmas_f64 v[16:17], v[16:17], v[18:19], v[22:23]
	v_div_fixup_f64 v[16:17], v[16:17], v[10:11], 1.0
	v_fma_f64 v[10:11], v[2:3], v[12:13], v[4:5]
	v_fma_f64 v[12:13], v[4:5], v[12:13], -v[2:3]
	v_mul_f64 v[10:11], v[10:11], v[16:17]
	v_mul_f64 v[12:13], v[12:13], v[16:17]
	s_cbranch_execnz .LBB208_83
	s_branch .LBB208_89
.LBB208_88:                             ;   in Loop: Header=BB208_84 Depth=1
                                        ; implicit-def: $vgpr10_vgpr11
.LBB208_89:                             ;   in Loop: Header=BB208_84 Depth=1
	v_div_scale_f64 v[10:11], s[10:11], v[6:7], v[6:7], v[8:9]
	v_rcp_f64_e32 v[12:13], v[10:11]
	v_div_scale_f64 v[16:17], vcc, v[8:9], v[6:7], v[8:9]
	v_fma_f64 v[18:19], -v[10:11], v[12:13], 1.0
	v_fmac_f64_e32 v[12:13], v[12:13], v[18:19]
	v_fma_f64 v[18:19], -v[10:11], v[12:13], 1.0
	v_fmac_f64_e32 v[12:13], v[12:13], v[18:19]
	v_mul_f64 v[18:19], v[16:17], v[12:13]
	v_fma_f64 v[10:11], -v[10:11], v[18:19], v[16:17]
	v_div_fmas_f64 v[10:11], v[10:11], v[12:13], v[18:19]
	v_div_fixup_f64 v[12:13], v[10:11], v[6:7], v[8:9]
	v_fmac_f64_e32 v[6:7], v[8:9], v[12:13]
	v_div_scale_f64 v[8:9], s[10:11], v[6:7], v[6:7], 1.0
	v_rcp_f64_e32 v[10:11], v[8:9]
	v_fma_f64 v[16:17], -v[8:9], v[10:11], 1.0
	v_fmac_f64_e32 v[10:11], v[10:11], v[16:17]
	v_fma_f64 v[16:17], -v[8:9], v[10:11], 1.0
	v_fmac_f64_e32 v[10:11], v[10:11], v[16:17]
	v_div_scale_f64 v[16:17], vcc, 1.0, v[6:7], 1.0
	v_mul_f64 v[18:19], v[16:17], v[10:11]
	v_fma_f64 v[8:9], -v[8:9], v[18:19], v[16:17]
	s_nop 1
	v_div_fmas_f64 v[8:9], v[8:9], v[10:11], v[18:19]
	v_div_fixup_f64 v[6:7], v[8:9], v[6:7], 1.0
	v_fma_f64 v[8:9], v[4:5], v[12:13], v[2:3]
	v_fma_f64 v[2:3], -v[2:3], v[12:13], v[4:5]
	v_mul_f64 v[10:11], v[8:9], v[6:7]
	v_mul_f64 v[12:13], v[2:3], v[6:7]
	s_branch .LBB208_83
.LBB208_90:
	s_mov_b64 s[16:17], 0
.LBB208_91:
	s_andn2_b64 vcc, exec, s[16:17]
	s_cbranch_vccnz .LBB208_123
; %bb.92:
	s_andn2_b64 vcc, exec, s[8:9]
	s_mov_b32 s11, s35
	s_cbranch_vccnz .LBB208_114
; %bb.93:
	v_lshlrev_b32_e32 v1, 4, v0
	v_lshl_or_b32 v1, s34, 7, v1
	s_mul_i32 s1, s34, 0x90
	v_add_u32_e32 v1, 0x300, v1
	s_addk_i32 s1, 0xfde0
	s_mov_b32 s10, s35
.LBB208_94:                             ; =>This Loop Header: Depth=1
                                        ;     Child Loop BB208_95 Depth 2
	s_lshl_b32 s8, s10, 3
	s_add_i32 s16, s10, -1
	v_or_b32_e32 v2, s8, v0
	s_lshl_b32 s19, s16, 3
	s_add_i32 s11, s10, -2
	v_lshlrev_b32_e32 v14, 4, v2
	v_or_b32_e32 v2, s19, v0
	s_lshl_b32 s18, s11, 3
	v_lshlrev_b32_e32 v15, 4, v2
	v_or_b32_e32 v2, s18, v0
	s_sub_i32 s17, s8, 24
	v_lshlrev_b32_e32 v16, 4, v2
	v_or_b32_e32 v2, s17, v0
	ds_read_b128 v[18:21], v14 offset:1024
	ds_read_b128 v[10:13], v15 offset:1024
	v_lshlrev_b32_e32 v17, 4, v2
	ds_read_b128 v[6:9], v16 offset:1024
	ds_read_b128 v[2:5], v17 offset:1024
	s_cmp_le_i32 s35, s10
	s_mov_b32 s8, s1
	v_mov_b32_e32 v22, v1
	s_mov_b32 s9, s35
	s_cbranch_scc1 .LBB208_96
.LBB208_95:                             ;   Parent Loop BB208_94 Depth=1
                                        ; =>  This Inner Loop Header: Depth=2
	v_mov_b32_e32 v23, s8
	ds_read_b128 v[24:27], v22 offset:128
	ds_read_b128 v[28:31], v23 offset:400
	s_add_i32 s9, s9, -2
	s_sub_i32 s8, s8, 32
	s_cmp_le_i32 s9, s10
	s_waitcnt lgkmcnt(0)
	v_mul_f64 v[32:33], v[26:27], v[30:31]
	v_mul_f64 v[30:31], v[24:25], v[30:31]
	v_fma_f64 v[32:33], v[24:25], v[28:29], -v[32:33]
	v_fmac_f64_e32 v[30:31], v[26:27], v[28:29]
	v_add_f64 v[32:33], v[18:19], -v[32:33]
	v_add_f64 v[34:35], v[20:21], -v[30:31]
	ds_read_b128 v[18:21], v23 offset:272
	s_waitcnt lgkmcnt(0)
	v_mul_f64 v[28:29], v[26:27], v[20:21]
	v_mul_f64 v[20:21], v[24:25], v[20:21]
	v_fma_f64 v[28:29], v[24:25], v[18:19], -v[28:29]
	v_fmac_f64_e32 v[20:21], v[26:27], v[18:19]
	v_add_f64 v[36:37], v[10:11], -v[28:29]
	v_add_f64 v[38:39], v[12:13], -v[20:21]
	ds_read_b128 v[10:13], v23 offset:144
	s_waitcnt lgkmcnt(0)
	v_mul_f64 v[18:19], v[26:27], v[12:13]
	v_mul_f64 v[12:13], v[24:25], v[12:13]
	v_fma_f64 v[18:19], v[24:25], v[10:11], -v[18:19]
	v_fmac_f64_e32 v[12:13], v[26:27], v[10:11]
	v_add_f64 v[40:41], v[6:7], -v[18:19]
	v_add_f64 v[42:43], v[8:9], -v[12:13]
	ds_read_b128 v[28:31], v23
	ds_read_b128 v[6:9], v23 offset:16
	s_waitcnt lgkmcnt(0)
	v_mul_f64 v[10:11], v[26:27], v[8:9]
	v_mul_f64 v[8:9], v[24:25], v[8:9]
	v_fma_f64 v[10:11], v[24:25], v[6:7], -v[10:11]
	v_fmac_f64_e32 v[8:9], v[26:27], v[6:7]
	v_add_f64 v[24:25], v[2:3], -v[10:11]
	v_add_f64 v[26:27], v[4:5], -v[8:9]
	ds_read_b128 v[2:5], v22
	ds_read_b128 v[6:9], v23 offset:384
	v_add_u32_e32 v22, 0xffffff00, v22
	s_waitcnt lgkmcnt(0)
	v_mul_f64 v[10:11], v[4:5], v[8:9]
	v_mul_f64 v[8:9], v[2:3], v[8:9]
	v_fmac_f64_e32 v[8:9], v[4:5], v[6:7]
	v_fma_f64 v[10:11], v[2:3], v[6:7], -v[10:11]
	v_add_f64 v[20:21], v[34:35], -v[8:9]
	ds_read_b128 v[6:9], v23 offset:256
	v_add_f64 v[18:19], v[32:33], -v[10:11]
	s_waitcnt lgkmcnt(0)
	v_mul_f64 v[10:11], v[4:5], v[8:9]
	v_mul_f64 v[8:9], v[2:3], v[8:9]
	v_fmac_f64_e32 v[8:9], v[4:5], v[6:7]
	v_fma_f64 v[10:11], v[2:3], v[6:7], -v[10:11]
	v_add_f64 v[12:13], v[38:39], -v[8:9]
	ds_read_b128 v[6:9], v23 offset:128
	v_add_f64 v[10:11], v[36:37], -v[10:11]
	s_waitcnt lgkmcnt(0)
	v_mul_f64 v[32:33], v[4:5], v[8:9]
	v_fma_f64 v[32:33], v[2:3], v[6:7], -v[32:33]
	v_mul_f64 v[8:9], v[2:3], v[8:9]
	v_fmac_f64_e32 v[8:9], v[4:5], v[6:7]
	v_add_f64 v[6:7], v[40:41], -v[32:33]
	v_mul_f64 v[32:33], v[4:5], v[30:31]
	v_mul_f64 v[30:31], v[2:3], v[30:31]
	v_fma_f64 v[32:33], v[2:3], v[28:29], -v[32:33]
	v_fmac_f64_e32 v[30:31], v[4:5], v[28:29]
	v_add_f64 v[8:9], v[42:43], -v[8:9]
	v_add_f64 v[2:3], v[24:25], -v[32:33]
	v_add_f64 v[4:5], v[26:27], -v[30:31]
	s_cbranch_scc0 .LBB208_95
.LBB208_96:                             ;   in Loop: Header=BB208_94 Depth=1
	s_mul_i32 s20, s10, 0x90
	v_add_u32_e32 v29, 0x400, v14
	v_mov_b32_e32 v14, s20
	ds_read_b128 v[22:25], v14
	v_add_u32_e32 v28, 0x400, v15
	v_add_u32_e32 v27, 0x400, v16
	v_add_u32_e32 v26, 0x400, v17
	s_waitcnt lgkmcnt(0)
	v_xor_b32_e32 v15, 0x80000000, v23
	v_cmp_gt_f64_e32 vcc, 0, v[22:23]
	v_xor_b32_e32 v16, 0x80000000, v25
	v_cndmask_b32_e32 v15, v23, v15, vcc
	v_cmp_gt_f64_e32 vcc, 0, v[24:25]
	v_mov_b32_e32 v14, v22
	v_cndmask_b32_e32 v17, v25, v16, vcc
	v_mov_b32_e32 v16, v24
	v_cmp_ngt_f64_e32 vcc, v[14:15], v[16:17]
	s_cbranch_vccz .LBB208_98
; %bb.97:                               ;   in Loop: Header=BB208_94 Depth=1
	v_div_scale_f64 v[14:15], s[8:9], v[24:25], v[24:25], v[22:23]
	v_rcp_f64_e32 v[16:17], v[14:15]
	v_div_scale_f64 v[30:31], vcc, v[22:23], v[24:25], v[22:23]
	v_fma_f64 v[32:33], -v[14:15], v[16:17], 1.0
	v_fmac_f64_e32 v[16:17], v[16:17], v[32:33]
	v_fma_f64 v[32:33], -v[14:15], v[16:17], 1.0
	v_fmac_f64_e32 v[16:17], v[16:17], v[32:33]
	v_mul_f64 v[32:33], v[30:31], v[16:17]
	v_fma_f64 v[14:15], -v[14:15], v[32:33], v[30:31]
	v_div_fmas_f64 v[14:15], v[14:15], v[16:17], v[32:33]
	v_div_fixup_f64 v[16:17], v[14:15], v[24:25], v[22:23]
	v_fma_f64 v[14:15], v[22:23], v[16:17], v[24:25]
	v_div_scale_f64 v[30:31], s[8:9], v[14:15], v[14:15], 1.0
	v_rcp_f64_e32 v[32:33], v[30:31]
	v_fma_f64 v[34:35], -v[30:31], v[32:33], 1.0
	v_fmac_f64_e32 v[32:33], v[32:33], v[34:35]
	v_fma_f64 v[34:35], -v[30:31], v[32:33], 1.0
	v_fmac_f64_e32 v[32:33], v[32:33], v[34:35]
	v_div_scale_f64 v[34:35], vcc, 1.0, v[14:15], 1.0
	v_mul_f64 v[36:37], v[34:35], v[32:33]
	v_fma_f64 v[30:31], -v[30:31], v[36:37], v[34:35]
	s_nop 1
	v_div_fmas_f64 v[30:31], v[30:31], v[32:33], v[36:37]
	v_div_fixup_f64 v[30:31], v[30:31], v[14:15], 1.0
	v_fma_f64 v[14:15], v[18:19], v[16:17], v[20:21]
	v_fma_f64 v[16:17], v[20:21], v[16:17], -v[18:19]
	v_mul_f64 v[14:15], v[14:15], v[30:31]
	v_mul_f64 v[16:17], v[16:17], v[30:31]
	s_cbranch_execz .LBB208_99
	s_branch .LBB208_100
.LBB208_98:                             ;   in Loop: Header=BB208_94 Depth=1
                                        ; implicit-def: $vgpr16_vgpr17
.LBB208_99:                             ;   in Loop: Header=BB208_94 Depth=1
	v_div_scale_f64 v[14:15], s[8:9], v[22:23], v[22:23], v[24:25]
	v_rcp_f64_e32 v[16:17], v[14:15]
	v_div_scale_f64 v[30:31], vcc, v[24:25], v[22:23], v[24:25]
	v_fma_f64 v[32:33], -v[14:15], v[16:17], 1.0
	v_fmac_f64_e32 v[16:17], v[16:17], v[32:33]
	v_fma_f64 v[32:33], -v[14:15], v[16:17], 1.0
	v_fmac_f64_e32 v[16:17], v[16:17], v[32:33]
	v_mul_f64 v[32:33], v[30:31], v[16:17]
	v_fma_f64 v[14:15], -v[14:15], v[32:33], v[30:31]
	v_div_fmas_f64 v[14:15], v[14:15], v[16:17], v[32:33]
	v_div_fixup_f64 v[16:17], v[14:15], v[22:23], v[24:25]
	v_fmac_f64_e32 v[22:23], v[24:25], v[16:17]
	v_div_scale_f64 v[14:15], s[8:9], v[22:23], v[22:23], 1.0
	v_rcp_f64_e32 v[24:25], v[14:15]
	v_fma_f64 v[30:31], -v[14:15], v[24:25], 1.0
	v_fmac_f64_e32 v[24:25], v[24:25], v[30:31]
	v_fma_f64 v[30:31], -v[14:15], v[24:25], 1.0
	v_fmac_f64_e32 v[24:25], v[24:25], v[30:31]
	v_div_scale_f64 v[30:31], vcc, 1.0, v[22:23], 1.0
	v_mul_f64 v[32:33], v[30:31], v[24:25]
	v_fma_f64 v[14:15], -v[14:15], v[32:33], v[30:31]
	s_nop 1
	v_div_fmas_f64 v[14:15], v[14:15], v[24:25], v[32:33]
	v_div_fixup_f64 v[22:23], v[14:15], v[22:23], 1.0
	v_fma_f64 v[14:15], v[20:21], v[16:17], v[18:19]
	v_fma_f64 v[16:17], -v[18:19], v[16:17], v[20:21]
	v_mul_f64 v[14:15], v[14:15], v[22:23]
	v_mul_f64 v[16:17], v[16:17], v[22:23]
.LBB208_100:                            ;   in Loop: Header=BB208_94 Depth=1
	s_add_i32 s19, s19, s10
	s_lshl_b32 s8, s19, 4
	v_mov_b32_e32 v18, s8
	ds_read_b128 v[22:25], v18
	s_add_i32 s19, s20, 0xffffff70
	v_mov_b32_e32 v18, s19
	ds_read_b128 v[18:21], v18
	ds_write_b128 v29, v[14:17]
	s_waitcnt lgkmcnt(2)
	v_mul_f64 v[30:31], v[16:17], v[24:25]
	v_fma_f64 v[30:31], v[14:15], v[22:23], -v[30:31]
	v_mul_f64 v[24:25], v[14:15], v[24:25]
	v_fmac_f64_e32 v[24:25], v[16:17], v[22:23]
	v_add_f64 v[22:23], v[10:11], -v[30:31]
	s_waitcnt lgkmcnt(1)
	v_xor_b32_e32 v10, 0x80000000, v19
	v_cmp_gt_f64_e32 vcc, 0, v[18:19]
	v_add_f64 v[24:25], v[12:13], -v[24:25]
	v_cndmask_b32_e32 v11, v19, v10, vcc
	v_xor_b32_e32 v12, 0x80000000, v21
	v_cmp_gt_f64_e32 vcc, 0, v[20:21]
	v_mov_b32_e32 v10, v18
	v_cndmask_b32_e32 v13, v21, v12, vcc
	v_mov_b32_e32 v12, v20
	v_cmp_ngt_f64_e32 vcc, v[10:11], v[12:13]
	s_cbranch_vccz .LBB208_102
; %bb.101:                              ;   in Loop: Header=BB208_94 Depth=1
	v_div_scale_f64 v[10:11], s[8:9], v[20:21], v[20:21], v[18:19]
	v_rcp_f64_e32 v[12:13], v[10:11]
	v_div_scale_f64 v[30:31], vcc, v[18:19], v[20:21], v[18:19]
	v_fma_f64 v[32:33], -v[10:11], v[12:13], 1.0
	v_fmac_f64_e32 v[12:13], v[12:13], v[32:33]
	v_fma_f64 v[32:33], -v[10:11], v[12:13], 1.0
	v_fmac_f64_e32 v[12:13], v[12:13], v[32:33]
	v_mul_f64 v[32:33], v[30:31], v[12:13]
	v_fma_f64 v[10:11], -v[10:11], v[32:33], v[30:31]
	v_div_fmas_f64 v[10:11], v[10:11], v[12:13], v[32:33]
	v_div_fixup_f64 v[12:13], v[10:11], v[20:21], v[18:19]
	v_fma_f64 v[10:11], v[18:19], v[12:13], v[20:21]
	v_div_scale_f64 v[30:31], s[8:9], v[10:11], v[10:11], 1.0
	v_rcp_f64_e32 v[32:33], v[30:31]
	v_fma_f64 v[34:35], -v[30:31], v[32:33], 1.0
	v_fmac_f64_e32 v[32:33], v[32:33], v[34:35]
	v_fma_f64 v[34:35], -v[30:31], v[32:33], 1.0
	v_fmac_f64_e32 v[32:33], v[32:33], v[34:35]
	v_div_scale_f64 v[34:35], vcc, 1.0, v[10:11], 1.0
	v_mul_f64 v[36:37], v[34:35], v[32:33]
	v_fma_f64 v[30:31], -v[30:31], v[36:37], v[34:35]
	s_nop 1
	v_div_fmas_f64 v[30:31], v[30:31], v[32:33], v[36:37]
	v_div_fixup_f64 v[30:31], v[30:31], v[10:11], 1.0
	v_fma_f64 v[10:11], v[12:13], v[22:23], v[24:25]
	v_fma_f64 v[12:13], v[12:13], v[24:25], -v[22:23]
	v_mul_f64 v[10:11], v[10:11], v[30:31]
	v_mul_f64 v[12:13], v[12:13], v[30:31]
	s_cbranch_execz .LBB208_103
	s_branch .LBB208_104
.LBB208_102:                            ;   in Loop: Header=BB208_94 Depth=1
                                        ; implicit-def: $vgpr12_vgpr13
.LBB208_103:                            ;   in Loop: Header=BB208_94 Depth=1
	v_div_scale_f64 v[10:11], s[8:9], v[18:19], v[18:19], v[20:21]
	v_rcp_f64_e32 v[12:13], v[10:11]
	v_div_scale_f64 v[30:31], vcc, v[20:21], v[18:19], v[20:21]
	v_fma_f64 v[32:33], -v[10:11], v[12:13], 1.0
	v_fmac_f64_e32 v[12:13], v[12:13], v[32:33]
	v_fma_f64 v[32:33], -v[10:11], v[12:13], 1.0
	v_fmac_f64_e32 v[12:13], v[12:13], v[32:33]
	v_mul_f64 v[32:33], v[30:31], v[12:13]
	v_fma_f64 v[10:11], -v[10:11], v[32:33], v[30:31]
	v_div_fmas_f64 v[10:11], v[10:11], v[12:13], v[32:33]
	v_div_fixup_f64 v[12:13], v[10:11], v[18:19], v[20:21]
	v_fmac_f64_e32 v[18:19], v[20:21], v[12:13]
	v_div_scale_f64 v[10:11], s[8:9], v[18:19], v[18:19], 1.0
	v_rcp_f64_e32 v[20:21], v[10:11]
	v_fma_f64 v[30:31], -v[10:11], v[20:21], 1.0
	v_fmac_f64_e32 v[20:21], v[20:21], v[30:31]
	v_fma_f64 v[30:31], -v[10:11], v[20:21], 1.0
	v_fmac_f64_e32 v[20:21], v[20:21], v[30:31]
	v_div_scale_f64 v[30:31], vcc, 1.0, v[18:19], 1.0
	v_mul_f64 v[32:33], v[30:31], v[20:21]
	v_fma_f64 v[10:11], -v[10:11], v[32:33], v[30:31]
	s_nop 1
	v_div_fmas_f64 v[10:11], v[10:11], v[20:21], v[32:33]
	v_div_fixup_f64 v[18:19], v[10:11], v[18:19], 1.0
	v_fma_f64 v[10:11], v[12:13], v[24:25], v[22:23]
	v_fma_f64 v[12:13], -v[12:13], v[22:23], v[24:25]
	v_mul_f64 v[10:11], v[10:11], v[18:19]
	v_mul_f64 v[12:13], v[12:13], v[18:19]
.LBB208_104:                            ;   in Loop: Header=BB208_94 Depth=1
	s_add_i32 s8, s18, s10
	s_lshl_b32 s8, s8, 4
	v_mov_b32_e32 v18, s8
	s_add_i32 s18, s18, s16
	ds_read_b128 v[18:21], v18
	s_lshl_b32 s8, s18, 4
	v_mov_b32_e32 v22, s8
	ds_read_b128 v[22:25], v22
	ds_write_b128 v28, v[10:13]
	s_waitcnt lgkmcnt(2)
	v_mul_f64 v[28:29], v[16:17], v[20:21]
	v_fma_f64 v[28:29], v[14:15], v[18:19], -v[28:29]
	v_mul_f64 v[20:21], v[14:15], v[20:21]
	v_fmac_f64_e32 v[20:21], v[16:17], v[18:19]
	v_add_f64 v[18:19], v[6:7], -v[28:29]
	s_waitcnt lgkmcnt(1)
	v_mul_f64 v[6:7], v[12:13], v[24:25]
	s_add_i32 s18, s19, 0xffffff70
	v_fma_f64 v[28:29], v[10:11], v[22:23], -v[6:7]
	v_mov_b32_e32 v6, s18
	v_add_f64 v[20:21], v[8:9], -v[20:21]
	ds_read_b128 v[6:9], v6
	v_mul_f64 v[24:25], v[10:11], v[24:25]
	v_fmac_f64_e32 v[24:25], v[12:13], v[22:23]
	v_add_f64 v[22:23], v[18:19], -v[28:29]
	v_add_f64 v[24:25], v[20:21], -v[24:25]
	s_waitcnt lgkmcnt(0)
	v_xor_b32_e32 v18, 0x80000000, v7
	v_cmp_gt_f64_e32 vcc, 0, v[6:7]
	v_cndmask_b32_e32 v19, v7, v18, vcc
	v_xor_b32_e32 v20, 0x80000000, v9
	v_cmp_gt_f64_e32 vcc, 0, v[8:9]
	v_mov_b32_e32 v18, v6
	v_cndmask_b32_e32 v21, v9, v20, vcc
	v_mov_b32_e32 v20, v8
	v_cmp_ngt_f64_e32 vcc, v[18:19], v[20:21]
	s_cbranch_vccz .LBB208_106
; %bb.105:                              ;   in Loop: Header=BB208_94 Depth=1
	v_div_scale_f64 v[18:19], s[8:9], v[8:9], v[8:9], v[6:7]
	v_rcp_f64_e32 v[20:21], v[18:19]
	v_div_scale_f64 v[28:29], vcc, v[6:7], v[8:9], v[6:7]
	v_fma_f64 v[30:31], -v[18:19], v[20:21], 1.0
	v_fmac_f64_e32 v[20:21], v[20:21], v[30:31]
	v_fma_f64 v[30:31], -v[18:19], v[20:21], 1.0
	v_fmac_f64_e32 v[20:21], v[20:21], v[30:31]
	v_mul_f64 v[30:31], v[28:29], v[20:21]
	v_fma_f64 v[18:19], -v[18:19], v[30:31], v[28:29]
	v_div_fmas_f64 v[18:19], v[18:19], v[20:21], v[30:31]
	v_div_fixup_f64 v[20:21], v[18:19], v[8:9], v[6:7]
	v_fma_f64 v[18:19], v[6:7], v[20:21], v[8:9]
	v_div_scale_f64 v[28:29], s[8:9], v[18:19], v[18:19], 1.0
	v_rcp_f64_e32 v[30:31], v[28:29]
	v_fma_f64 v[32:33], -v[28:29], v[30:31], 1.0
	v_fmac_f64_e32 v[30:31], v[30:31], v[32:33]
	v_fma_f64 v[32:33], -v[28:29], v[30:31], 1.0
	v_fmac_f64_e32 v[30:31], v[30:31], v[32:33]
	v_div_scale_f64 v[32:33], vcc, 1.0, v[18:19], 1.0
	v_mul_f64 v[34:35], v[32:33], v[30:31]
	v_fma_f64 v[28:29], -v[28:29], v[34:35], v[32:33]
	s_nop 1
	v_div_fmas_f64 v[28:29], v[28:29], v[30:31], v[34:35]
	v_div_fixup_f64 v[28:29], v[28:29], v[18:19], 1.0
	v_fma_f64 v[18:19], v[20:21], v[22:23], v[24:25]
	v_fma_f64 v[20:21], v[20:21], v[24:25], -v[22:23]
	v_mul_f64 v[18:19], v[18:19], v[28:29]
	v_mul_f64 v[20:21], v[20:21], v[28:29]
	s_cbranch_execz .LBB208_107
	s_branch .LBB208_108
.LBB208_106:                            ;   in Loop: Header=BB208_94 Depth=1
                                        ; implicit-def: $vgpr20_vgpr21
.LBB208_107:                            ;   in Loop: Header=BB208_94 Depth=1
	v_div_scale_f64 v[18:19], s[8:9], v[6:7], v[6:7], v[8:9]
	v_rcp_f64_e32 v[20:21], v[18:19]
	v_div_scale_f64 v[28:29], vcc, v[8:9], v[6:7], v[8:9]
	v_fma_f64 v[30:31], -v[18:19], v[20:21], 1.0
	v_fmac_f64_e32 v[20:21], v[20:21], v[30:31]
	v_fma_f64 v[30:31], -v[18:19], v[20:21], 1.0
	v_fmac_f64_e32 v[20:21], v[20:21], v[30:31]
	v_mul_f64 v[30:31], v[28:29], v[20:21]
	v_fma_f64 v[18:19], -v[18:19], v[30:31], v[28:29]
	v_div_fmas_f64 v[18:19], v[18:19], v[20:21], v[30:31]
	v_div_fixup_f64 v[20:21], v[18:19], v[6:7], v[8:9]
	v_fmac_f64_e32 v[6:7], v[8:9], v[20:21]
	v_div_scale_f64 v[8:9], s[8:9], v[6:7], v[6:7], 1.0
	v_rcp_f64_e32 v[18:19], v[8:9]
	v_fma_f64 v[28:29], -v[8:9], v[18:19], 1.0
	v_fmac_f64_e32 v[18:19], v[18:19], v[28:29]
	v_fma_f64 v[28:29], -v[8:9], v[18:19], 1.0
	v_fmac_f64_e32 v[18:19], v[18:19], v[28:29]
	v_div_scale_f64 v[28:29], vcc, 1.0, v[6:7], 1.0
	v_mul_f64 v[30:31], v[28:29], v[18:19]
	v_fma_f64 v[8:9], -v[8:9], v[30:31], v[28:29]
	s_nop 1
	v_div_fmas_f64 v[8:9], v[8:9], v[18:19], v[30:31]
	v_div_fixup_f64 v[6:7], v[8:9], v[6:7], 1.0
	v_fma_f64 v[8:9], v[20:21], v[24:25], v[22:23]
	v_mul_f64 v[18:19], v[8:9], v[6:7]
	v_fma_f64 v[8:9], -v[20:21], v[22:23], v[24:25]
	v_mul_f64 v[20:21], v[8:9], v[6:7]
.LBB208_108:                            ;   in Loop: Header=BB208_94 Depth=1
	s_add_i32 s8, s17, s10
	s_lshl_b32 s8, s8, 4
	v_mov_b32_e32 v6, s8
	s_add_i32 s8, s17, s16
	s_lshl_b32 s8, s8, 4
	ds_read_b128 v[6:9], v6
	v_mov_b32_e32 v22, s8
	ds_read_b128 v[22:25], v22
	s_add_i32 s17, s17, s11
	s_lshl_b32 s8, s17, 4
	s_waitcnt lgkmcnt(1)
	v_mul_f64 v[28:29], v[16:17], v[8:9]
	v_mul_f64 v[8:9], v[14:15], v[8:9]
	v_fma_f64 v[28:29], v[14:15], v[6:7], -v[28:29]
	v_fmac_f64_e32 v[8:9], v[16:17], v[6:7]
	s_waitcnt lgkmcnt(0)
	v_mul_f64 v[6:7], v[12:13], v[24:25]
	v_add_f64 v[2:3], v[2:3], -v[28:29]
	v_fma_f64 v[6:7], v[10:11], v[22:23], -v[6:7]
	v_mul_f64 v[10:11], v[10:11], v[24:25]
	v_fmac_f64_e32 v[10:11], v[12:13], v[22:23]
	v_add_f64 v[12:13], v[2:3], -v[6:7]
	v_mov_b32_e32 v2, s8
	s_add_i32 s8, s18, 0xffffff70
	v_add_f64 v[4:5], v[4:5], -v[8:9]
	ds_read_b128 v[6:9], v2
	v_mov_b32_e32 v2, s8
	v_add_f64 v[14:15], v[4:5], -v[10:11]
	ds_read_b128 v[2:5], v2
	ds_write_b128 v27, v[18:21]
	s_waitcnt lgkmcnt(2)
	v_mul_f64 v[10:11], v[20:21], v[8:9]
	v_mul_f64 v[8:9], v[18:19], v[8:9]
	v_fma_f64 v[10:11], v[18:19], v[6:7], -v[10:11]
	v_fmac_f64_e32 v[8:9], v[20:21], v[6:7]
	s_waitcnt lgkmcnt(1)
	v_xor_b32_e32 v6, 0x80000000, v3
	v_cmp_gt_f64_e32 vcc, 0, v[2:3]
	v_add_f64 v[10:11], v[12:13], -v[10:11]
	v_add_f64 v[12:13], v[14:15], -v[8:9]
	v_cndmask_b32_e32 v7, v3, v6, vcc
	v_xor_b32_e32 v8, 0x80000000, v5
	v_cmp_gt_f64_e32 vcc, 0, v[4:5]
	v_mov_b32_e32 v6, v2
	v_cndmask_b32_e32 v9, v5, v8, vcc
	v_mov_b32_e32 v8, v4
	v_cmp_ngt_f64_e32 vcc, v[6:7], v[8:9]
	s_cbranch_vccz .LBB208_110
; %bb.109:                              ;   in Loop: Header=BB208_94 Depth=1
	v_div_scale_f64 v[6:7], s[8:9], v[4:5], v[4:5], v[2:3]
	v_rcp_f64_e32 v[8:9], v[6:7]
	v_div_scale_f64 v[14:15], vcc, v[2:3], v[4:5], v[2:3]
	v_fma_f64 v[16:17], -v[6:7], v[8:9], 1.0
	v_fmac_f64_e32 v[8:9], v[8:9], v[16:17]
	v_fma_f64 v[16:17], -v[6:7], v[8:9], 1.0
	v_fmac_f64_e32 v[8:9], v[8:9], v[16:17]
	v_mul_f64 v[16:17], v[14:15], v[8:9]
	v_fma_f64 v[6:7], -v[6:7], v[16:17], v[14:15]
	v_div_fmas_f64 v[6:7], v[6:7], v[8:9], v[16:17]
	v_div_fixup_f64 v[8:9], v[6:7], v[4:5], v[2:3]
	v_fma_f64 v[6:7], v[2:3], v[8:9], v[4:5]
	v_div_scale_f64 v[14:15], s[8:9], v[6:7], v[6:7], 1.0
	v_rcp_f64_e32 v[16:17], v[14:15]
	v_fma_f64 v[18:19], -v[14:15], v[16:17], 1.0
	v_fmac_f64_e32 v[16:17], v[16:17], v[18:19]
	v_fma_f64 v[18:19], -v[14:15], v[16:17], 1.0
	v_fmac_f64_e32 v[16:17], v[16:17], v[18:19]
	v_div_scale_f64 v[18:19], vcc, 1.0, v[6:7], 1.0
	v_mul_f64 v[20:21], v[18:19], v[16:17]
	v_fma_f64 v[14:15], -v[14:15], v[20:21], v[18:19]
	s_nop 1
	v_div_fmas_f64 v[14:15], v[14:15], v[16:17], v[20:21]
	v_div_fixup_f64 v[14:15], v[14:15], v[6:7], 1.0
	v_fma_f64 v[6:7], v[8:9], v[10:11], v[12:13]
	v_fma_f64 v[8:9], v[8:9], v[12:13], -v[10:11]
	v_mul_f64 v[6:7], v[6:7], v[14:15]
	v_mul_f64 v[8:9], v[8:9], v[14:15]
	s_cbranch_execz .LBB208_111
	s_branch .LBB208_112
.LBB208_110:                            ;   in Loop: Header=BB208_94 Depth=1
                                        ; implicit-def: $vgpr8_vgpr9
.LBB208_111:                            ;   in Loop: Header=BB208_94 Depth=1
	v_div_scale_f64 v[6:7], s[8:9], v[2:3], v[2:3], v[4:5]
	v_rcp_f64_e32 v[8:9], v[6:7]
	v_div_scale_f64 v[14:15], vcc, v[4:5], v[2:3], v[4:5]
	v_fma_f64 v[16:17], -v[6:7], v[8:9], 1.0
	v_fmac_f64_e32 v[8:9], v[8:9], v[16:17]
	v_fma_f64 v[16:17], -v[6:7], v[8:9], 1.0
	v_fmac_f64_e32 v[8:9], v[8:9], v[16:17]
	v_mul_f64 v[16:17], v[14:15], v[8:9]
	v_fma_f64 v[6:7], -v[6:7], v[16:17], v[14:15]
	v_div_fmas_f64 v[6:7], v[6:7], v[8:9], v[16:17]
	v_div_fixup_f64 v[8:9], v[6:7], v[2:3], v[4:5]
	v_fmac_f64_e32 v[2:3], v[4:5], v[8:9]
	v_div_scale_f64 v[4:5], s[8:9], v[2:3], v[2:3], 1.0
	v_rcp_f64_e32 v[6:7], v[4:5]
	v_fma_f64 v[14:15], -v[4:5], v[6:7], 1.0
	v_fmac_f64_e32 v[6:7], v[6:7], v[14:15]
	v_fma_f64 v[14:15], -v[4:5], v[6:7], 1.0
	v_fmac_f64_e32 v[6:7], v[6:7], v[14:15]
	v_div_scale_f64 v[14:15], vcc, 1.0, v[2:3], 1.0
	v_mul_f64 v[16:17], v[14:15], v[6:7]
	v_fma_f64 v[4:5], -v[4:5], v[16:17], v[14:15]
	s_nop 1
	v_div_fmas_f64 v[4:5], v[4:5], v[6:7], v[16:17]
	v_div_fixup_f64 v[2:3], v[4:5], v[2:3], 1.0
	v_fma_f64 v[4:5], v[8:9], v[12:13], v[10:11]
	v_mul_f64 v[6:7], v[4:5], v[2:3]
	v_fma_f64 v[4:5], -v[8:9], v[10:11], v[12:13]
	v_mul_f64 v[8:9], v[4:5], v[2:3]
.LBB208_112:                            ;   in Loop: Header=BB208_94 Depth=1
	s_add_i32 s11, s10, -4
	s_addk_i32 s1, 0xfe00
	s_cmp_lt_i32 s10, 7
	ds_write_b128 v26, v[6:9]
	s_cbranch_scc1 .LBB208_114
; %bb.113:                              ;   in Loop: Header=BB208_94 Depth=1
	s_mov_b32 s10, s11
	s_branch .LBB208_94
.LBB208_114:
	s_cmp_lt_i32 s11, 0
	s_cbranch_scc1 .LBB208_123
; %bb.115:
	v_lshlrev_b32_e32 v1, 4, v0
	s_lshl_b32 s1, s11, 7
	s_lshl_b32 s8, s34, 4
	v_lshl_or_b32 v2, s34, 7, v1
	s_add_i32 s1, s1, s8
	v_add_u32_e32 v14, 0x380, v2
	s_add_i32 s1, s1, -16
	s_branch .LBB208_117
.LBB208_116:                            ;   in Loop: Header=BB208_117 Depth=1
	s_add_i32 s8, s11, -1
	s_addk_i32 s1, 0xff80
	s_cmp_lt_i32 s11, 1
	s_mov_b32 s11, s8
	ds_write_b128 v15, v[10:13]
	s_cbranch_scc1 .LBB208_123
.LBB208_117:                            ; =>This Loop Header: Depth=1
                                        ;     Child Loop BB208_118 Depth 2
	v_lshl_or_b32 v6, s11, 7, v1
	ds_read_b128 v[2:5], v6 offset:1024
	s_cmp_le_i32 s35, s11
	s_mov_b32 s8, s1
	v_mov_b32_e32 v7, v14
	s_mov_b32 s9, s35
	s_cbranch_scc1 .LBB208_119
.LBB208_118:                            ;   Parent Loop BB208_117 Depth=1
                                        ; =>  This Inner Loop Header: Depth=2
	v_mov_b32_e32 v12, s8
	ds_read_b128 v[8:11], v7
	ds_read_b128 v[16:19], v12
	s_add_i32 s9, s9, -1
	s_add_i32 s8, s8, -16
	v_add_u32_e32 v7, 0xffffff80, v7
	s_cmp_le_i32 s9, s11
	s_waitcnt lgkmcnt(0)
	v_mul_f64 v[12:13], v[18:19], v[10:11]
	v_mul_f64 v[10:11], v[16:17], v[10:11]
	v_fma_f64 v[12:13], v[16:17], v[8:9], -v[12:13]
	v_fmac_f64_e32 v[10:11], v[18:19], v[8:9]
	v_add_f64 v[2:3], v[2:3], -v[12:13]
	v_add_f64 v[4:5], v[4:5], -v[10:11]
	s_cbranch_scc0 .LBB208_118
.LBB208_119:                            ;   in Loop: Header=BB208_117 Depth=1
	s_mul_i32 s8, s11, 0x90
	v_add_u32_e32 v15, 0x400, v6
	v_mov_b32_e32 v6, s8
	ds_read_b128 v[6:9], v6
	s_waitcnt lgkmcnt(0)
	v_xor_b32_e32 v11, 0x80000000, v7
	v_cmp_gt_f64_e32 vcc, 0, v[6:7]
	v_xor_b32_e32 v12, 0x80000000, v9
	v_cndmask_b32_e32 v11, v7, v11, vcc
	v_cmp_gt_f64_e32 vcc, 0, v[8:9]
	v_mov_b32_e32 v10, v6
	v_cndmask_b32_e32 v13, v9, v12, vcc
	v_mov_b32_e32 v12, v8
	v_cmp_ngt_f64_e32 vcc, v[10:11], v[12:13]
	s_cbranch_vccz .LBB208_121
; %bb.120:                              ;   in Loop: Header=BB208_117 Depth=1
	v_div_scale_f64 v[10:11], s[8:9], v[8:9], v[8:9], v[6:7]
	v_rcp_f64_e32 v[12:13], v[10:11]
	v_div_scale_f64 v[16:17], vcc, v[6:7], v[8:9], v[6:7]
	v_fma_f64 v[18:19], -v[10:11], v[12:13], 1.0
	v_fmac_f64_e32 v[12:13], v[12:13], v[18:19]
	v_fma_f64 v[18:19], -v[10:11], v[12:13], 1.0
	v_fmac_f64_e32 v[12:13], v[12:13], v[18:19]
	v_mul_f64 v[18:19], v[16:17], v[12:13]
	v_fma_f64 v[10:11], -v[10:11], v[18:19], v[16:17]
	v_div_fmas_f64 v[10:11], v[10:11], v[12:13], v[18:19]
	v_div_fixup_f64 v[12:13], v[10:11], v[8:9], v[6:7]
	v_fma_f64 v[10:11], v[6:7], v[12:13], v[8:9]
	v_div_scale_f64 v[16:17], s[8:9], v[10:11], v[10:11], 1.0
	v_rcp_f64_e32 v[18:19], v[16:17]
	v_fma_f64 v[20:21], -v[16:17], v[18:19], 1.0
	v_fmac_f64_e32 v[18:19], v[18:19], v[20:21]
	v_fma_f64 v[20:21], -v[16:17], v[18:19], 1.0
	v_fmac_f64_e32 v[18:19], v[18:19], v[20:21]
	v_div_scale_f64 v[20:21], vcc, 1.0, v[10:11], 1.0
	v_mul_f64 v[22:23], v[20:21], v[18:19]
	v_fma_f64 v[16:17], -v[16:17], v[22:23], v[20:21]
	s_nop 1
	v_div_fmas_f64 v[16:17], v[16:17], v[18:19], v[22:23]
	v_div_fixup_f64 v[16:17], v[16:17], v[10:11], 1.0
	v_fma_f64 v[10:11], v[2:3], v[12:13], v[4:5]
	v_fma_f64 v[12:13], v[4:5], v[12:13], -v[2:3]
	v_mul_f64 v[10:11], v[10:11], v[16:17]
	v_mul_f64 v[12:13], v[12:13], v[16:17]
	s_cbranch_execnz .LBB208_116
	s_branch .LBB208_122
.LBB208_121:                            ;   in Loop: Header=BB208_117 Depth=1
                                        ; implicit-def: $vgpr10_vgpr11
.LBB208_122:                            ;   in Loop: Header=BB208_117 Depth=1
	v_div_scale_f64 v[10:11], s[8:9], v[6:7], v[6:7], v[8:9]
	v_rcp_f64_e32 v[12:13], v[10:11]
	v_div_scale_f64 v[16:17], vcc, v[8:9], v[6:7], v[8:9]
	v_fma_f64 v[18:19], -v[10:11], v[12:13], 1.0
	v_fmac_f64_e32 v[12:13], v[12:13], v[18:19]
	v_fma_f64 v[18:19], -v[10:11], v[12:13], 1.0
	v_fmac_f64_e32 v[12:13], v[12:13], v[18:19]
	v_mul_f64 v[18:19], v[16:17], v[12:13]
	v_fma_f64 v[10:11], -v[10:11], v[18:19], v[16:17]
	v_div_fmas_f64 v[10:11], v[10:11], v[12:13], v[18:19]
	v_div_fixup_f64 v[12:13], v[10:11], v[6:7], v[8:9]
	v_fmac_f64_e32 v[6:7], v[8:9], v[12:13]
	v_div_scale_f64 v[8:9], s[8:9], v[6:7], v[6:7], 1.0
	v_rcp_f64_e32 v[10:11], v[8:9]
	v_fma_f64 v[16:17], -v[8:9], v[10:11], 1.0
	v_fmac_f64_e32 v[10:11], v[10:11], v[16:17]
	v_fma_f64 v[16:17], -v[8:9], v[10:11], 1.0
	v_fmac_f64_e32 v[10:11], v[10:11], v[16:17]
	v_div_scale_f64 v[16:17], vcc, 1.0, v[6:7], 1.0
	v_mul_f64 v[18:19], v[16:17], v[10:11]
	v_fma_f64 v[8:9], -v[8:9], v[18:19], v[16:17]
	s_nop 1
	v_div_fmas_f64 v[8:9], v[8:9], v[10:11], v[18:19]
	v_div_fixup_f64 v[6:7], v[8:9], v[6:7], 1.0
	v_fma_f64 v[8:9], v[4:5], v[12:13], v[2:3]
	v_fma_f64 v[2:3], -v[2:3], v[12:13], v[4:5]
	v_mul_f64 v[10:11], v[8:9], v[6:7]
	v_mul_f64 v[12:13], v[2:3], v[6:7]
	s_branch .LBB208_116
.LBB208_123:
	s_mov_b64 s[18:19], 0
.LBB208_124:
	s_andn2_b64 vcc, exec, s[18:19]
	s_cbranch_vccnz .LBB208_163
; %bb.125:
	s_cmp_lt_i32 s33, 4
	s_mov_b32 s11, 0
	s_cbranch_scc1 .LBB208_148
; %bb.126:
	v_mov_b32_e32 v1, 0x400
	v_lshl_or_b32 v1, v0, 4, v1
	s_mov_b32 s1, 0
	s_mov_b32 s10, 0
.LBB208_127:                            ; =>This Loop Header: Depth=1
                                        ;     Child Loop BB208_129 Depth 2
	s_lshl_b32 s8, s10, 3
	v_or_b32_e32 v2, s8, v0
	s_or_b32 s18, s8, 8
	v_lshlrev_b32_e32 v10, 4, v2
	v_or_b32_e32 v2, s18, v0
	s_or_b32 s17, s8, 16
	v_lshlrev_b32_e32 v11, 4, v2
	;; [unrolled: 3-line block ×3, first 2 shown]
	v_or_b32_e32 v2, s11, v0
	ds_read_b128 v[18:21], v10 offset:1024
	ds_read_b128 v[14:17], v11 offset:1024
	v_lshlrev_b32_e32 v13, 4, v2
	ds_read_b128 v[6:9], v12 offset:1024
	ds_read_b128 v[2:5], v13 offset:1024
	s_cmp_eq_u32 s10, 0
	s_cbranch_scc1 .LBB208_130
; %bb.128:                              ;   in Loop: Header=BB208_127 Depth=1
	s_mov_b32 s8, 0
	s_mov_b32 s9, s1
	v_mov_b32_e32 v22, v1
.LBB208_129:                            ;   Parent Loop BB208_127 Depth=1
                                        ; =>  This Inner Loop Header: Depth=2
	v_mov_b32_e32 v23, s9
	ds_read_b128 v[24:27], v22
	ds_read_b128 v[28:31], v23
	ds_read_b128 v[32:35], v23 offset:128
	ds_read_b128 v[36:39], v23 offset:256
	ds_read_b128 v[40:43], v23 offset:384
	s_add_i32 s8, s8, 1
	s_add_i32 s9, s9, 16
	v_add_u32_e32 v22, 0x80, v22
	s_waitcnt lgkmcnt(3)
	v_mul_f64 v[44:45], v[26:27], v[30:31]
	v_mul_f64 v[30:31], v[24:25], v[30:31]
	s_waitcnt lgkmcnt(2)
	v_mul_f64 v[46:47], v[26:27], v[34:35]
	v_mul_f64 v[34:35], v[24:25], v[34:35]
	;; [unrolled: 3-line block ×4, first 2 shown]
	v_fma_f64 v[44:45], v[24:25], v[28:29], -v[44:45]
	v_fmac_f64_e32 v[30:31], v[26:27], v[28:29]
	v_fma_f64 v[28:29], v[24:25], v[32:33], -v[46:47]
	v_fmac_f64_e32 v[34:35], v[26:27], v[32:33]
	v_fma_f64 v[32:33], v[24:25], v[36:37], -v[48:49]
	v_fmac_f64_e32 v[38:39], v[26:27], v[36:37]
	v_fma_f64 v[24:25], v[24:25], v[40:41], -v[50:51]
	v_fmac_f64_e32 v[42:43], v[26:27], v[40:41]
	s_cmp_ge_u32 s8, s10
	v_add_f64 v[18:19], v[18:19], -v[44:45]
	v_add_f64 v[20:21], v[20:21], -v[30:31]
	v_add_f64 v[14:15], v[14:15], -v[28:29]
	v_add_f64 v[16:17], v[16:17], -v[34:35]
	v_add_f64 v[6:7], v[6:7], -v[32:33]
	v_add_f64 v[8:9], v[8:9], -v[38:39]
	v_add_f64 v[2:3], v[2:3], -v[24:25]
	v_add_f64 v[4:5], v[4:5], -v[42:43]
	s_cbranch_scc0 .LBB208_129
.LBB208_130:                            ;   in Loop: Header=BB208_127 Depth=1
	s_mul_i32 s16, s10, 0x90
	v_add_u32_e32 v29, 0x400, v10
	v_mov_b32_e32 v10, s16
	ds_read_b128 v[22:25], v10
	v_add_u32_e32 v28, 0x400, v11
	v_add_u32_e32 v27, 0x400, v12
	;; [unrolled: 1-line block ×3, first 2 shown]
	s_waitcnt lgkmcnt(0)
	v_xor_b32_e32 v11, 0x80000000, v23
	v_cmp_gt_f64_e32 vcc, 0, v[22:23]
	v_xor_b32_e32 v12, 0x80000000, v25
	v_cndmask_b32_e32 v11, v23, v11, vcc
	v_cmp_gt_f64_e32 vcc, 0, v[24:25]
	v_mov_b32_e32 v10, v22
	v_cndmask_b32_e32 v13, v25, v12, vcc
	v_mov_b32_e32 v12, v24
	v_cmp_ngt_f64_e32 vcc, v[10:11], v[12:13]
	s_cbranch_vccz .LBB208_132
; %bb.131:                              ;   in Loop: Header=BB208_127 Depth=1
	v_div_scale_f64 v[10:11], s[8:9], v[24:25], v[24:25], v[22:23]
	v_rcp_f64_e32 v[12:13], v[10:11]
	v_div_scale_f64 v[30:31], vcc, v[22:23], v[24:25], v[22:23]
	v_fma_f64 v[32:33], -v[10:11], v[12:13], 1.0
	v_fmac_f64_e32 v[12:13], v[12:13], v[32:33]
	v_fma_f64 v[32:33], -v[10:11], v[12:13], 1.0
	v_fmac_f64_e32 v[12:13], v[12:13], v[32:33]
	v_mul_f64 v[32:33], v[30:31], v[12:13]
	v_fma_f64 v[10:11], -v[10:11], v[32:33], v[30:31]
	v_div_fmas_f64 v[10:11], v[10:11], v[12:13], v[32:33]
	v_div_fixup_f64 v[12:13], v[10:11], v[24:25], v[22:23]
	v_fma_f64 v[10:11], v[22:23], v[12:13], v[24:25]
	v_div_scale_f64 v[30:31], s[8:9], v[10:11], v[10:11], 1.0
	v_rcp_f64_e32 v[32:33], v[30:31]
	v_fma_f64 v[34:35], -v[30:31], v[32:33], 1.0
	v_fmac_f64_e32 v[32:33], v[32:33], v[34:35]
	v_fma_f64 v[34:35], -v[30:31], v[32:33], 1.0
	v_fmac_f64_e32 v[32:33], v[32:33], v[34:35]
	v_div_scale_f64 v[34:35], vcc, 1.0, v[10:11], 1.0
	v_mul_f64 v[36:37], v[34:35], v[32:33]
	v_fma_f64 v[30:31], -v[30:31], v[36:37], v[34:35]
	s_nop 1
	v_div_fmas_f64 v[30:31], v[30:31], v[32:33], v[36:37]
	v_div_fixup_f64 v[30:31], v[30:31], v[10:11], 1.0
	v_fma_f64 v[10:11], v[18:19], v[12:13], v[20:21]
	v_fma_f64 v[12:13], v[20:21], v[12:13], -v[18:19]
	v_mul_f64 v[10:11], v[10:11], v[30:31]
	v_mul_f64 v[12:13], v[12:13], v[30:31]
	s_cbranch_execz .LBB208_133
	s_branch .LBB208_134
.LBB208_132:                            ;   in Loop: Header=BB208_127 Depth=1
                                        ; implicit-def: $vgpr12_vgpr13
.LBB208_133:                            ;   in Loop: Header=BB208_127 Depth=1
	v_div_scale_f64 v[10:11], s[8:9], v[22:23], v[22:23], v[24:25]
	v_rcp_f64_e32 v[12:13], v[10:11]
	v_div_scale_f64 v[30:31], vcc, v[24:25], v[22:23], v[24:25]
	v_fma_f64 v[32:33], -v[10:11], v[12:13], 1.0
	v_fmac_f64_e32 v[12:13], v[12:13], v[32:33]
	v_fma_f64 v[32:33], -v[10:11], v[12:13], 1.0
	v_fmac_f64_e32 v[12:13], v[12:13], v[32:33]
	v_mul_f64 v[32:33], v[30:31], v[12:13]
	v_fma_f64 v[10:11], -v[10:11], v[32:33], v[30:31]
	v_div_fmas_f64 v[10:11], v[10:11], v[12:13], v[32:33]
	v_div_fixup_f64 v[12:13], v[10:11], v[22:23], v[24:25]
	v_fmac_f64_e32 v[22:23], v[24:25], v[12:13]
	v_div_scale_f64 v[10:11], s[8:9], v[22:23], v[22:23], 1.0
	v_rcp_f64_e32 v[24:25], v[10:11]
	v_fma_f64 v[30:31], -v[10:11], v[24:25], 1.0
	v_fmac_f64_e32 v[24:25], v[24:25], v[30:31]
	v_fma_f64 v[30:31], -v[10:11], v[24:25], 1.0
	v_fmac_f64_e32 v[24:25], v[24:25], v[30:31]
	v_div_scale_f64 v[30:31], vcc, 1.0, v[22:23], 1.0
	v_mul_f64 v[32:33], v[30:31], v[24:25]
	v_fma_f64 v[10:11], -v[10:11], v[32:33], v[30:31]
	s_nop 1
	v_div_fmas_f64 v[10:11], v[10:11], v[24:25], v[32:33]
	v_div_fixup_f64 v[22:23], v[10:11], v[22:23], 1.0
	v_fma_f64 v[10:11], v[20:21], v[12:13], v[18:19]
	v_fma_f64 v[12:13], -v[18:19], v[12:13], v[20:21]
	v_mul_f64 v[10:11], v[10:11], v[22:23]
	v_mul_f64 v[12:13], v[12:13], v[22:23]
.LBB208_134:                            ;   in Loop: Header=BB208_127 Depth=1
	s_add_i32 s18, s18, s10
	s_lshl_b32 s8, s18, 4
	v_mov_b32_e32 v18, s8
	ds_read_b128 v[22:25], v18
	v_mov_b32_e32 v18, s16
	ds_read_b128 v[18:21], v18 offset:144
	ds_write_b128 v29, v[10:13]
	s_waitcnt lgkmcnt(2)
	v_mul_f64 v[30:31], v[12:13], v[24:25]
	v_mul_f64 v[24:25], v[10:11], v[24:25]
	v_fma_f64 v[30:31], v[10:11], v[22:23], -v[30:31]
	v_fmac_f64_e32 v[24:25], v[12:13], v[22:23]
	v_add_f64 v[22:23], v[14:15], -v[30:31]
	s_waitcnt lgkmcnt(1)
	v_xor_b32_e32 v14, 0x80000000, v19
	v_cmp_gt_f64_e32 vcc, 0, v[18:19]
	v_add_f64 v[24:25], v[16:17], -v[24:25]
	v_cndmask_b32_e32 v15, v19, v14, vcc
	v_xor_b32_e32 v16, 0x80000000, v21
	v_cmp_gt_f64_e32 vcc, 0, v[20:21]
	v_mov_b32_e32 v14, v18
	v_cndmask_b32_e32 v17, v21, v16, vcc
	v_mov_b32_e32 v16, v20
	v_cmp_ngt_f64_e32 vcc, v[14:15], v[16:17]
	s_cbranch_vccz .LBB208_136
; %bb.135:                              ;   in Loop: Header=BB208_127 Depth=1
	v_div_scale_f64 v[14:15], s[8:9], v[20:21], v[20:21], v[18:19]
	v_rcp_f64_e32 v[16:17], v[14:15]
	v_div_scale_f64 v[30:31], vcc, v[18:19], v[20:21], v[18:19]
	v_fma_f64 v[32:33], -v[14:15], v[16:17], 1.0
	v_fmac_f64_e32 v[16:17], v[16:17], v[32:33]
	v_fma_f64 v[32:33], -v[14:15], v[16:17], 1.0
	v_fmac_f64_e32 v[16:17], v[16:17], v[32:33]
	v_mul_f64 v[32:33], v[30:31], v[16:17]
	v_fma_f64 v[14:15], -v[14:15], v[32:33], v[30:31]
	v_div_fmas_f64 v[14:15], v[14:15], v[16:17], v[32:33]
	v_div_fixup_f64 v[16:17], v[14:15], v[20:21], v[18:19]
	v_fma_f64 v[14:15], v[18:19], v[16:17], v[20:21]
	v_div_scale_f64 v[30:31], s[8:9], v[14:15], v[14:15], 1.0
	v_rcp_f64_e32 v[32:33], v[30:31]
	v_fma_f64 v[34:35], -v[30:31], v[32:33], 1.0
	v_fmac_f64_e32 v[32:33], v[32:33], v[34:35]
	v_fma_f64 v[34:35], -v[30:31], v[32:33], 1.0
	v_fmac_f64_e32 v[32:33], v[32:33], v[34:35]
	v_div_scale_f64 v[34:35], vcc, 1.0, v[14:15], 1.0
	v_mul_f64 v[36:37], v[34:35], v[32:33]
	v_fma_f64 v[30:31], -v[30:31], v[36:37], v[34:35]
	s_nop 1
	v_div_fmas_f64 v[30:31], v[30:31], v[32:33], v[36:37]
	v_div_fixup_f64 v[30:31], v[30:31], v[14:15], 1.0
	v_fma_f64 v[14:15], v[16:17], v[22:23], v[24:25]
	v_fma_f64 v[16:17], v[16:17], v[24:25], -v[22:23]
	v_mul_f64 v[14:15], v[14:15], v[30:31]
	v_mul_f64 v[16:17], v[16:17], v[30:31]
	s_cbranch_execz .LBB208_137
	s_branch .LBB208_138
.LBB208_136:                            ;   in Loop: Header=BB208_127 Depth=1
                                        ; implicit-def: $vgpr16_vgpr17
.LBB208_137:                            ;   in Loop: Header=BB208_127 Depth=1
	v_div_scale_f64 v[14:15], s[8:9], v[18:19], v[18:19], v[20:21]
	v_rcp_f64_e32 v[16:17], v[14:15]
	v_div_scale_f64 v[30:31], vcc, v[20:21], v[18:19], v[20:21]
	v_fma_f64 v[32:33], -v[14:15], v[16:17], 1.0
	v_fmac_f64_e32 v[16:17], v[16:17], v[32:33]
	v_fma_f64 v[32:33], -v[14:15], v[16:17], 1.0
	v_fmac_f64_e32 v[16:17], v[16:17], v[32:33]
	v_mul_f64 v[32:33], v[30:31], v[16:17]
	v_fma_f64 v[14:15], -v[14:15], v[32:33], v[30:31]
	v_div_fmas_f64 v[14:15], v[14:15], v[16:17], v[32:33]
	v_div_fixup_f64 v[16:17], v[14:15], v[18:19], v[20:21]
	v_fmac_f64_e32 v[18:19], v[20:21], v[16:17]
	v_div_scale_f64 v[14:15], s[8:9], v[18:19], v[18:19], 1.0
	v_rcp_f64_e32 v[20:21], v[14:15]
	v_fma_f64 v[30:31], -v[14:15], v[20:21], 1.0
	v_fmac_f64_e32 v[20:21], v[20:21], v[30:31]
	v_fma_f64 v[30:31], -v[14:15], v[20:21], 1.0
	v_fmac_f64_e32 v[20:21], v[20:21], v[30:31]
	v_div_scale_f64 v[30:31], vcc, 1.0, v[18:19], 1.0
	v_mul_f64 v[32:33], v[30:31], v[20:21]
	v_fma_f64 v[14:15], -v[14:15], v[32:33], v[30:31]
	s_nop 1
	v_div_fmas_f64 v[14:15], v[14:15], v[20:21], v[32:33]
	v_div_fixup_f64 v[18:19], v[14:15], v[18:19], 1.0
	v_fma_f64 v[14:15], v[16:17], v[24:25], v[22:23]
	v_fma_f64 v[16:17], -v[16:17], v[22:23], v[24:25]
	v_mul_f64 v[14:15], v[14:15], v[18:19]
	v_mul_f64 v[16:17], v[16:17], v[18:19]
.LBB208_138:                            ;   in Loop: Header=BB208_127 Depth=1
	s_add_i32 s17, s17, s10
	s_lshl_b32 s8, s17, 4
	v_mov_b32_e32 v22, s8
	ds_read_b128 v[18:21], v22
	ds_read_b128 v[22:25], v22 offset:16
	ds_write_b128 v28, v[14:17]
	s_waitcnt lgkmcnt(2)
	v_mul_f64 v[28:29], v[12:13], v[20:21]
	v_mul_f64 v[20:21], v[10:11], v[20:21]
	v_fma_f64 v[28:29], v[10:11], v[18:19], -v[28:29]
	v_fmac_f64_e32 v[20:21], v[12:13], v[18:19]
	v_add_f64 v[18:19], v[6:7], -v[28:29]
	s_waitcnt lgkmcnt(1)
	v_mul_f64 v[6:7], v[16:17], v[24:25]
	v_fma_f64 v[28:29], v[14:15], v[22:23], -v[6:7]
	v_mov_b32_e32 v6, s16
	v_add_f64 v[20:21], v[8:9], -v[20:21]
	ds_read_b128 v[6:9], v6 offset:288
	v_mul_f64 v[24:25], v[14:15], v[24:25]
	v_fmac_f64_e32 v[24:25], v[16:17], v[22:23]
	v_add_f64 v[22:23], v[18:19], -v[28:29]
	v_add_f64 v[24:25], v[20:21], -v[24:25]
	s_waitcnt lgkmcnt(0)
	v_xor_b32_e32 v18, 0x80000000, v7
	v_cmp_gt_f64_e32 vcc, 0, v[6:7]
	v_cndmask_b32_e32 v19, v7, v18, vcc
	v_xor_b32_e32 v20, 0x80000000, v9
	v_cmp_gt_f64_e32 vcc, 0, v[8:9]
	v_mov_b32_e32 v18, v6
	v_cndmask_b32_e32 v21, v9, v20, vcc
	v_mov_b32_e32 v20, v8
	v_cmp_ngt_f64_e32 vcc, v[18:19], v[20:21]
	s_cbranch_vccz .LBB208_140
; %bb.139:                              ;   in Loop: Header=BB208_127 Depth=1
	v_div_scale_f64 v[18:19], s[8:9], v[8:9], v[8:9], v[6:7]
	v_rcp_f64_e32 v[20:21], v[18:19]
	v_div_scale_f64 v[28:29], vcc, v[6:7], v[8:9], v[6:7]
	v_fma_f64 v[30:31], -v[18:19], v[20:21], 1.0
	v_fmac_f64_e32 v[20:21], v[20:21], v[30:31]
	v_fma_f64 v[30:31], -v[18:19], v[20:21], 1.0
	v_fmac_f64_e32 v[20:21], v[20:21], v[30:31]
	v_mul_f64 v[30:31], v[28:29], v[20:21]
	v_fma_f64 v[18:19], -v[18:19], v[30:31], v[28:29]
	v_div_fmas_f64 v[18:19], v[18:19], v[20:21], v[30:31]
	v_div_fixup_f64 v[20:21], v[18:19], v[8:9], v[6:7]
	v_fma_f64 v[18:19], v[6:7], v[20:21], v[8:9]
	v_div_scale_f64 v[28:29], s[8:9], v[18:19], v[18:19], 1.0
	v_rcp_f64_e32 v[30:31], v[28:29]
	v_fma_f64 v[32:33], -v[28:29], v[30:31], 1.0
	v_fmac_f64_e32 v[30:31], v[30:31], v[32:33]
	v_fma_f64 v[32:33], -v[28:29], v[30:31], 1.0
	v_fmac_f64_e32 v[30:31], v[30:31], v[32:33]
	v_div_scale_f64 v[32:33], vcc, 1.0, v[18:19], 1.0
	v_mul_f64 v[34:35], v[32:33], v[30:31]
	v_fma_f64 v[28:29], -v[28:29], v[34:35], v[32:33]
	s_nop 1
	v_div_fmas_f64 v[28:29], v[28:29], v[30:31], v[34:35]
	v_div_fixup_f64 v[28:29], v[28:29], v[18:19], 1.0
	v_fma_f64 v[18:19], v[20:21], v[22:23], v[24:25]
	v_fma_f64 v[20:21], v[20:21], v[24:25], -v[22:23]
	v_mul_f64 v[18:19], v[18:19], v[28:29]
	v_mul_f64 v[20:21], v[20:21], v[28:29]
	s_cbranch_execz .LBB208_141
	s_branch .LBB208_142
.LBB208_140:                            ;   in Loop: Header=BB208_127 Depth=1
                                        ; implicit-def: $vgpr20_vgpr21
.LBB208_141:                            ;   in Loop: Header=BB208_127 Depth=1
	v_div_scale_f64 v[18:19], s[8:9], v[6:7], v[6:7], v[8:9]
	v_rcp_f64_e32 v[20:21], v[18:19]
	v_div_scale_f64 v[28:29], vcc, v[8:9], v[6:7], v[8:9]
	v_fma_f64 v[30:31], -v[18:19], v[20:21], 1.0
	v_fmac_f64_e32 v[20:21], v[20:21], v[30:31]
	v_fma_f64 v[30:31], -v[18:19], v[20:21], 1.0
	v_fmac_f64_e32 v[20:21], v[20:21], v[30:31]
	v_mul_f64 v[30:31], v[28:29], v[20:21]
	v_fma_f64 v[18:19], -v[18:19], v[30:31], v[28:29]
	v_div_fmas_f64 v[18:19], v[18:19], v[20:21], v[30:31]
	v_div_fixup_f64 v[20:21], v[18:19], v[6:7], v[8:9]
	v_fmac_f64_e32 v[6:7], v[8:9], v[20:21]
	v_div_scale_f64 v[8:9], s[8:9], v[6:7], v[6:7], 1.0
	v_rcp_f64_e32 v[18:19], v[8:9]
	v_fma_f64 v[28:29], -v[8:9], v[18:19], 1.0
	v_fmac_f64_e32 v[18:19], v[18:19], v[28:29]
	v_fma_f64 v[28:29], -v[8:9], v[18:19], 1.0
	v_fmac_f64_e32 v[18:19], v[18:19], v[28:29]
	v_div_scale_f64 v[28:29], vcc, 1.0, v[6:7], 1.0
	v_mul_f64 v[30:31], v[28:29], v[18:19]
	v_fma_f64 v[8:9], -v[8:9], v[30:31], v[28:29]
	s_nop 1
	v_div_fmas_f64 v[8:9], v[8:9], v[18:19], v[30:31]
	v_div_fixup_f64 v[6:7], v[8:9], v[6:7], 1.0
	v_fma_f64 v[8:9], v[20:21], v[24:25], v[22:23]
	v_mul_f64 v[18:19], v[8:9], v[6:7]
	v_fma_f64 v[8:9], -v[20:21], v[22:23], v[24:25]
	v_mul_f64 v[20:21], v[8:9], v[6:7]
.LBB208_142:                            ;   in Loop: Header=BB208_127 Depth=1
	s_add_i32 s11, s11, s10
	s_lshl_b32 s8, s11, 4
	v_mov_b32_e32 v30, s8
	ds_read_b128 v[6:9], v30
	ds_read_b128 v[22:25], v30 offset:16
	ds_write_b128 v27, v[18:21]
	s_waitcnt lgkmcnt(2)
	v_mul_f64 v[28:29], v[12:13], v[8:9]
	v_mul_f64 v[8:9], v[10:11], v[8:9]
	v_fma_f64 v[10:11], v[10:11], v[6:7], -v[28:29]
	v_fmac_f64_e32 v[8:9], v[12:13], v[6:7]
	s_waitcnt lgkmcnt(1)
	v_mul_f64 v[6:7], v[16:17], v[24:25]
	v_add_f64 v[2:3], v[2:3], -v[10:11]
	v_fma_f64 v[10:11], v[14:15], v[22:23], -v[6:7]
	v_mul_f64 v[12:13], v[14:15], v[24:25]
	v_add_f64 v[4:5], v[4:5], -v[8:9]
	v_fmac_f64_e32 v[12:13], v[16:17], v[22:23]
	ds_read_b128 v[6:9], v30 offset:32
	v_add_f64 v[10:11], v[2:3], -v[10:11]
	v_mov_b32_e32 v2, s16
	v_add_f64 v[12:13], v[4:5], -v[12:13]
	ds_read_b128 v[2:5], v2 offset:432
	s_waitcnt lgkmcnt(1)
	v_mul_f64 v[14:15], v[20:21], v[8:9]
	v_mul_f64 v[8:9], v[18:19], v[8:9]
	v_fma_f64 v[14:15], v[18:19], v[6:7], -v[14:15]
	v_fmac_f64_e32 v[8:9], v[20:21], v[6:7]
	s_waitcnt lgkmcnt(0)
	v_xor_b32_e32 v6, 0x80000000, v3
	v_cmp_gt_f64_e32 vcc, 0, v[2:3]
	v_add_f64 v[12:13], v[12:13], -v[8:9]
	v_cndmask_b32_e32 v7, v3, v6, vcc
	v_xor_b32_e32 v8, 0x80000000, v5
	v_cmp_gt_f64_e32 vcc, 0, v[4:5]
	v_mov_b32_e32 v6, v2
	v_cndmask_b32_e32 v9, v5, v8, vcc
	v_mov_b32_e32 v8, v4
	v_cmp_ngt_f64_e32 vcc, v[6:7], v[8:9]
	v_add_f64 v[10:11], v[10:11], -v[14:15]
	s_cbranch_vccz .LBB208_144
; %bb.143:                              ;   in Loop: Header=BB208_127 Depth=1
	v_div_scale_f64 v[6:7], s[8:9], v[4:5], v[4:5], v[2:3]
	v_rcp_f64_e32 v[8:9], v[6:7]
	v_div_scale_f64 v[14:15], vcc, v[2:3], v[4:5], v[2:3]
	v_fma_f64 v[16:17], -v[6:7], v[8:9], 1.0
	v_fmac_f64_e32 v[8:9], v[8:9], v[16:17]
	v_fma_f64 v[16:17], -v[6:7], v[8:9], 1.0
	v_fmac_f64_e32 v[8:9], v[8:9], v[16:17]
	v_mul_f64 v[16:17], v[14:15], v[8:9]
	v_fma_f64 v[6:7], -v[6:7], v[16:17], v[14:15]
	v_div_fmas_f64 v[6:7], v[6:7], v[8:9], v[16:17]
	v_div_fixup_f64 v[8:9], v[6:7], v[4:5], v[2:3]
	v_fma_f64 v[6:7], v[2:3], v[8:9], v[4:5]
	v_div_scale_f64 v[14:15], s[8:9], v[6:7], v[6:7], 1.0
	v_rcp_f64_e32 v[16:17], v[14:15]
	v_fma_f64 v[18:19], -v[14:15], v[16:17], 1.0
	v_fmac_f64_e32 v[16:17], v[16:17], v[18:19]
	v_fma_f64 v[18:19], -v[14:15], v[16:17], 1.0
	v_fmac_f64_e32 v[16:17], v[16:17], v[18:19]
	v_div_scale_f64 v[18:19], vcc, 1.0, v[6:7], 1.0
	v_mul_f64 v[20:21], v[18:19], v[16:17]
	v_fma_f64 v[14:15], -v[14:15], v[20:21], v[18:19]
	s_nop 1
	v_div_fmas_f64 v[14:15], v[14:15], v[16:17], v[20:21]
	v_div_fixup_f64 v[14:15], v[14:15], v[6:7], 1.0
	v_fma_f64 v[6:7], v[8:9], v[10:11], v[12:13]
	v_fma_f64 v[8:9], v[8:9], v[12:13], -v[10:11]
	v_mul_f64 v[6:7], v[6:7], v[14:15]
	v_mul_f64 v[8:9], v[8:9], v[14:15]
	s_cbranch_execz .LBB208_145
	s_branch .LBB208_146
.LBB208_144:                            ;   in Loop: Header=BB208_127 Depth=1
                                        ; implicit-def: $vgpr8_vgpr9
.LBB208_145:                            ;   in Loop: Header=BB208_127 Depth=1
	v_div_scale_f64 v[6:7], s[8:9], v[2:3], v[2:3], v[4:5]
	v_rcp_f64_e32 v[8:9], v[6:7]
	v_div_scale_f64 v[14:15], vcc, v[4:5], v[2:3], v[4:5]
	v_fma_f64 v[16:17], -v[6:7], v[8:9], 1.0
	v_fmac_f64_e32 v[8:9], v[8:9], v[16:17]
	v_fma_f64 v[16:17], -v[6:7], v[8:9], 1.0
	v_fmac_f64_e32 v[8:9], v[8:9], v[16:17]
	v_mul_f64 v[16:17], v[14:15], v[8:9]
	v_fma_f64 v[6:7], -v[6:7], v[16:17], v[14:15]
	v_div_fmas_f64 v[6:7], v[6:7], v[8:9], v[16:17]
	v_div_fixup_f64 v[8:9], v[6:7], v[2:3], v[4:5]
	v_fmac_f64_e32 v[2:3], v[4:5], v[8:9]
	v_div_scale_f64 v[4:5], s[8:9], v[2:3], v[2:3], 1.0
	v_rcp_f64_e32 v[6:7], v[4:5]
	v_fma_f64 v[14:15], -v[4:5], v[6:7], 1.0
	v_fmac_f64_e32 v[6:7], v[6:7], v[14:15]
	v_fma_f64 v[14:15], -v[4:5], v[6:7], 1.0
	v_fmac_f64_e32 v[6:7], v[6:7], v[14:15]
	v_div_scale_f64 v[14:15], vcc, 1.0, v[2:3], 1.0
	v_mul_f64 v[16:17], v[14:15], v[6:7]
	v_fma_f64 v[4:5], -v[4:5], v[16:17], v[14:15]
	s_nop 1
	v_div_fmas_f64 v[4:5], v[4:5], v[6:7], v[16:17]
	v_div_fixup_f64 v[2:3], v[4:5], v[2:3], 1.0
	v_fma_f64 v[4:5], v[8:9], v[12:13], v[10:11]
	v_mul_f64 v[6:7], v[4:5], v[2:3]
	v_fma_f64 v[4:5], -v[8:9], v[10:11], v[12:13]
	v_mul_f64 v[8:9], v[4:5], v[2:3]
.LBB208_146:                            ;   in Loop: Header=BB208_127 Depth=1
	s_add_i32 s11, s10, 4
	s_add_i32 s8, s10, 7
	s_addk_i32 s1, 0x200
	s_cmp_ge_i32 s8, s34
	ds_write_b128 v26, v[6:9]
	s_cbranch_scc1 .LBB208_148
; %bb.147:                              ;   in Loop: Header=BB208_127 Depth=1
	s_mov_b32 s10, s11
	s_branch .LBB208_127
.LBB208_148:
	s_cmp_ge_i32 s11, s34
	s_cbranch_scc1 .LBB208_163
; %bb.149:
	v_mov_b32_e32 v1, 0x400
	s_add_i32 s1, s11, -1
	v_lshl_or_b32 v1, v0, 4, v1
	s_lshl_b32 s10, s11, 7
	s_mov_b32 s16, 0
	v_lshlrev_b32_e32 v14, 4, v0
	s_mov_b32 s17, s11
	s_branch .LBB208_151
.LBB208_150:                            ;   in Loop: Header=BB208_151 Depth=1
	s_add_i32 s11, s11, 1
	s_add_i32 s16, s16, 1
	s_addk_i32 s10, 0x80
	v_add_u16_e64 v2, s17, 1
	s_cmp_ge_i32 s11, s34
	v_readfirstlane_b32 s17, v2
	ds_write_b128 v15, v[10:13]
	s_cbranch_scc1 .LBB208_163
.LBB208_151:                            ; =>This Loop Header: Depth=1
                                        ;     Child Loop BB208_154 Depth 2
                                        ;     Child Loop BB208_158 Depth 2
	v_lshl_or_b32 v6, s11, 7, v14
	ds_read_b128 v[2:5], v6 offset:1024
	s_cmp_eq_u32 s11, 0
	s_cbranch_scc1 .LBB208_159
; %bb.152:                              ;   in Loop: Header=BB208_151 Depth=1
	s_add_i32 s8, s1, s16
	s_cmp_lt_u32 s8, 7
	s_cbranch_scc1 .LBB208_156
; %bb.153:                              ;   in Loop: Header=BB208_151 Depth=1
	s_and_b32 s8, s11, -8
	s_mov_b32 s9, 0
	s_mov_b32 s18, s10
	v_mov_b32_e32 v7, v1
.LBB208_154:                            ;   Parent Loop BB208_151 Depth=1
                                        ; =>  This Inner Loop Header: Depth=2
	v_mov_b32_e32 v15, s18
	ds_read_b128 v[8:11], v7
	ds_read_b128 v[16:19], v7 offset:128
	ds_read_b128 v[20:23], v7 offset:256
	;; [unrolled: 1-line block ×7, first 2 shown]
	ds_read_b128 v[44:47], v15
	ds_read_b128 v[48:51], v15 offset:16
	ds_read_b128 v[52:55], v15 offset:32
	;; [unrolled: 1-line block ×3, first 2 shown]
	s_add_i32 s9, s9, 8
	s_waitcnt lgkmcnt(3)
	v_mul_f64 v[12:13], v[46:47], v[10:11]
	v_mul_f64 v[60:61], v[44:45], v[10:11]
	v_fma_f64 v[12:13], v[44:45], v[8:9], -v[12:13]
	v_fmac_f64_e32 v[60:61], v[46:47], v[8:9]
	ds_read_b128 v[8:11], v15 offset:64
	s_waitcnt lgkmcnt(3)
	v_mul_f64 v[44:45], v[50:51], v[18:19]
	v_mul_f64 v[46:47], v[48:49], v[18:19]
	v_fma_f64 v[44:45], v[48:49], v[16:17], -v[44:45]
	v_fmac_f64_e32 v[46:47], v[50:51], v[16:17]
	ds_read_b128 v[16:19], v15 offset:80
	;; [unrolled: 6-line block ×4, first 2 shown]
	v_add_f64 v[2:3], v[2:3], -v[12:13]
	v_add_f64 v[4:5], v[4:5], -v[60:61]
	;; [unrolled: 1-line block ×4, first 2 shown]
	s_waitcnt lgkmcnt(3)
	v_mul_f64 v[56:57], v[10:11], v[30:31]
	v_mul_f64 v[30:31], v[8:9], v[30:31]
	v_add_f64 v[2:3], v[2:3], -v[48:49]
	v_add_f64 v[4:5], v[4:5], -v[50:51]
	s_waitcnt lgkmcnt(2)
	v_mul_f64 v[58:59], v[18:19], v[34:35]
	v_fma_f64 v[8:9], v[8:9], v[28:29], -v[56:57]
	v_fmac_f64_e32 v[30:31], v[10:11], v[28:29]
	v_mul_f64 v[10:11], v[16:17], v[34:35]
	v_add_f64 v[2:3], v[2:3], -v[52:53]
	v_add_f64 v[4:5], v[4:5], -v[54:55]
	s_waitcnt lgkmcnt(1)
	v_mul_f64 v[28:29], v[22:23], v[38:39]
	v_mul_f64 v[34:35], v[20:21], v[38:39]
	v_fma_f64 v[16:17], v[16:17], v[32:33], -v[58:59]
	v_fmac_f64_e32 v[10:11], v[18:19], v[32:33]
	v_add_f64 v[2:3], v[2:3], -v[8:9]
	v_add_f64 v[4:5], v[4:5], -v[30:31]
	s_waitcnt lgkmcnt(0)
	v_mul_f64 v[38:39], v[26:27], v[42:43]
	v_mul_f64 v[18:19], v[24:25], v[42:43]
	v_fma_f64 v[20:21], v[20:21], v[36:37], -v[28:29]
	v_fmac_f64_e32 v[34:35], v[22:23], v[36:37]
	v_add_f64 v[2:3], v[2:3], -v[16:17]
	v_add_f64 v[4:5], v[4:5], -v[10:11]
	s_addk_i32 s18, 0x80
	v_fma_f64 v[22:23], v[24:25], v[40:41], -v[38:39]
	v_fmac_f64_e32 v[18:19], v[26:27], v[40:41]
	v_add_f64 v[2:3], v[2:3], -v[20:21]
	v_add_f64 v[4:5], v[4:5], -v[34:35]
	v_add_u32_e32 v7, 0x400, v7
	s_cmp_eq_u32 s8, s9
	v_add_f64 v[2:3], v[2:3], -v[22:23]
	v_add_f64 v[4:5], v[4:5], -v[18:19]
	s_cbranch_scc0 .LBB208_154
; %bb.155:                              ;   in Loop: Header=BB208_151 Depth=1
	s_and_b32 s9, s11, 7
	s_cmp_eq_u32 s9, 0
	s_cbranch_scc0 .LBB208_157
	s_branch .LBB208_159
.LBB208_156:                            ;   in Loop: Header=BB208_151 Depth=1
	s_mov_b32 s8, 0
	s_and_b32 s9, s11, 7
	s_cmp_eq_u32 s9, 0
	s_cbranch_scc1 .LBB208_159
.LBB208_157:                            ;   in Loop: Header=BB208_151 Depth=1
	s_and_b32 s9, s17, 7
	s_lshl_b32 s18, s8, 4
	v_lshl_add_u32 v7, s8, 7, v1
.LBB208_158:                            ;   Parent Loop BB208_151 Depth=1
                                        ; =>  This Inner Loop Header: Depth=2
	s_add_i32 s8, s10, s18
	v_mov_b32_e32 v12, s8
	ds_read_b128 v[8:11], v7
	ds_read_b128 v[16:19], v12
	s_add_i32 s18, s18, 16
	s_add_i32 s9, s9, -1
	v_add_u32_e32 v7, 0x80, v7
	s_cmp_lg_u32 s9, 0
	s_waitcnt lgkmcnt(0)
	v_mul_f64 v[12:13], v[18:19], v[10:11]
	v_mul_f64 v[10:11], v[16:17], v[10:11]
	v_fma_f64 v[12:13], v[16:17], v[8:9], -v[12:13]
	v_fmac_f64_e32 v[10:11], v[18:19], v[8:9]
	v_add_f64 v[2:3], v[2:3], -v[12:13]
	v_add_f64 v[4:5], v[4:5], -v[10:11]
	s_cbranch_scc1 .LBB208_158
.LBB208_159:                            ;   in Loop: Header=BB208_151 Depth=1
	s_mul_i32 s8, s11, 0x90
	v_add_u32_e32 v15, 0x400, v6
	v_mov_b32_e32 v6, s8
	ds_read_b128 v[6:9], v6
	s_waitcnt lgkmcnt(0)
	v_xor_b32_e32 v11, 0x80000000, v7
	v_cmp_gt_f64_e32 vcc, 0, v[6:7]
	v_xor_b32_e32 v12, 0x80000000, v9
	v_cndmask_b32_e32 v11, v7, v11, vcc
	v_cmp_gt_f64_e32 vcc, 0, v[8:9]
	v_mov_b32_e32 v10, v6
	v_cndmask_b32_e32 v13, v9, v12, vcc
	v_mov_b32_e32 v12, v8
	v_cmp_ngt_f64_e32 vcc, v[10:11], v[12:13]
	s_cbranch_vccz .LBB208_161
; %bb.160:                              ;   in Loop: Header=BB208_151 Depth=1
	v_div_scale_f64 v[10:11], s[8:9], v[8:9], v[8:9], v[6:7]
	v_rcp_f64_e32 v[12:13], v[10:11]
	v_div_scale_f64 v[16:17], vcc, v[6:7], v[8:9], v[6:7]
	v_fma_f64 v[18:19], -v[10:11], v[12:13], 1.0
	v_fmac_f64_e32 v[12:13], v[12:13], v[18:19]
	v_fma_f64 v[18:19], -v[10:11], v[12:13], 1.0
	v_fmac_f64_e32 v[12:13], v[12:13], v[18:19]
	v_mul_f64 v[18:19], v[16:17], v[12:13]
	v_fma_f64 v[10:11], -v[10:11], v[18:19], v[16:17]
	v_div_fmas_f64 v[10:11], v[10:11], v[12:13], v[18:19]
	v_div_fixup_f64 v[12:13], v[10:11], v[8:9], v[6:7]
	v_fma_f64 v[10:11], v[6:7], v[12:13], v[8:9]
	v_div_scale_f64 v[16:17], s[8:9], v[10:11], v[10:11], 1.0
	v_rcp_f64_e32 v[18:19], v[16:17]
	v_fma_f64 v[20:21], -v[16:17], v[18:19], 1.0
	v_fmac_f64_e32 v[18:19], v[18:19], v[20:21]
	v_fma_f64 v[20:21], -v[16:17], v[18:19], 1.0
	v_fmac_f64_e32 v[18:19], v[18:19], v[20:21]
	v_div_scale_f64 v[20:21], vcc, 1.0, v[10:11], 1.0
	v_mul_f64 v[22:23], v[20:21], v[18:19]
	v_fma_f64 v[16:17], -v[16:17], v[22:23], v[20:21]
	s_nop 1
	v_div_fmas_f64 v[16:17], v[16:17], v[18:19], v[22:23]
	v_div_fixup_f64 v[16:17], v[16:17], v[10:11], 1.0
	v_fma_f64 v[10:11], v[2:3], v[12:13], v[4:5]
	v_fma_f64 v[12:13], v[4:5], v[12:13], -v[2:3]
	v_mul_f64 v[10:11], v[10:11], v[16:17]
	v_mul_f64 v[12:13], v[12:13], v[16:17]
	s_cbranch_execnz .LBB208_150
	s_branch .LBB208_162
.LBB208_161:                            ;   in Loop: Header=BB208_151 Depth=1
                                        ; implicit-def: $vgpr10_vgpr11
.LBB208_162:                            ;   in Loop: Header=BB208_151 Depth=1
	v_div_scale_f64 v[10:11], s[8:9], v[6:7], v[6:7], v[8:9]
	v_rcp_f64_e32 v[12:13], v[10:11]
	v_div_scale_f64 v[16:17], vcc, v[8:9], v[6:7], v[8:9]
	v_fma_f64 v[18:19], -v[10:11], v[12:13], 1.0
	v_fmac_f64_e32 v[12:13], v[12:13], v[18:19]
	v_fma_f64 v[18:19], -v[10:11], v[12:13], 1.0
	v_fmac_f64_e32 v[12:13], v[12:13], v[18:19]
	v_mul_f64 v[18:19], v[16:17], v[12:13]
	v_fma_f64 v[10:11], -v[10:11], v[18:19], v[16:17]
	v_div_fmas_f64 v[10:11], v[10:11], v[12:13], v[18:19]
	v_div_fixup_f64 v[12:13], v[10:11], v[6:7], v[8:9]
	v_fmac_f64_e32 v[6:7], v[8:9], v[12:13]
	v_div_scale_f64 v[8:9], s[8:9], v[6:7], v[6:7], 1.0
	v_rcp_f64_e32 v[10:11], v[8:9]
	v_fma_f64 v[16:17], -v[8:9], v[10:11], 1.0
	v_fmac_f64_e32 v[10:11], v[10:11], v[16:17]
	v_fma_f64 v[16:17], -v[8:9], v[10:11], 1.0
	v_fmac_f64_e32 v[10:11], v[10:11], v[16:17]
	v_div_scale_f64 v[16:17], vcc, 1.0, v[6:7], 1.0
	v_mul_f64 v[18:19], v[16:17], v[10:11]
	v_fma_f64 v[8:9], -v[8:9], v[18:19], v[16:17]
	s_nop 1
	v_div_fmas_f64 v[8:9], v[8:9], v[10:11], v[18:19]
	v_div_fixup_f64 v[6:7], v[8:9], v[6:7], 1.0
	v_fma_f64 v[8:9], v[4:5], v[12:13], v[2:3]
	v_fma_f64 v[2:3], -v[2:3], v[12:13], v[4:5]
	v_mul_f64 v[10:11], v[8:9], v[6:7]
	v_mul_f64 v[12:13], v[2:3], v[6:7]
	s_branch .LBB208_150
.LBB208_163:
	s_and_saveexec_b64 s[8:9], s[14:15]
	s_cbranch_execz .LBB208_170
; %bb.164:
	s_ashr_i32 s1, s0, 31
	s_mov_b32 s16, 0
	s_cmp_lt_u32 s33, 4
	v_lshlrev_b32_e32 v4, 4, v0
	s_cbranch_scc1 .LBB208_167
; %bb.165:
	v_mov_b32_e32 v1, s25
	v_add_co_u32_e32 v2, vcc, s24, v4
	v_addc_co_u32_e32 v3, vcc, 0, v1, vcc
	v_mov_b32_e32 v1, 0x400
	s_mul_hi_i32 s19, s0, 48
	s_lshl_b64 s[8:9], s[0:1], 6
	s_lshl_b64 s[10:11], s[0:1], 5
	;; [unrolled: 1-line block ×3, first 2 shown]
	s_and_b32 s16, s33, 0x7ffffffc
	v_lshl_or_b32 v0, v0, 4, v1
	s_mul_i32 s17, s0, 48
	s_mov_b32 s18, 0
	v_mov_b32_e32 v1, s15
	v_mov_b32_e32 v5, s11
	;; [unrolled: 1-line block ×4, first 2 shown]
.LBB208_166:                            ; =>This Inner Loop Header: Depth=1
	v_add_co_u32_e32 v24, vcc, s14, v2
	v_addc_co_u32_e32 v25, vcc, v3, v1, vcc
	ds_read2_b64 v[8:11], v0 offset1:1
	ds_read2_b64 v[12:15], v0 offset0:16 offset1:17
	ds_read2_b64 v[16:19], v0 offset0:32 offset1:33
	;; [unrolled: 1-line block ×3, first 2 shown]
	v_add_co_u32_e32 v26, vcc, s10, v2
	v_addc_co_u32_e32 v27, vcc, v3, v5, vcc
	v_add_co_u32_e32 v28, vcc, s17, v2
	v_addc_co_u32_e32 v29, vcc, v3, v6, vcc
	s_add_i32 s18, s18, 4
	s_waitcnt lgkmcnt(3)
	global_store_dwordx4 v[2:3], v[8:11], off
	s_waitcnt lgkmcnt(2)
	global_store_dwordx4 v[24:25], v[12:15], off
	;; [unrolled: 2-line block ×4, first 2 shown]
	v_add_co_u32_e32 v2, vcc, s8, v2
	v_add_u32_e32 v0, 0x200, v0
	s_cmp_lg_u32 s16, s18
	v_addc_co_u32_e32 v3, vcc, v3, v7, vcc
	s_cbranch_scc1 .LBB208_166
.LBB208_167:
	s_and_b32 s8, s33, 3
	s_cmp_eq_u32 s8, 0
	s_cbranch_scc1 .LBB208_170
; %bb.168:
	s_mul_hi_i32 s11, s0, s16
	s_mul_i32 s10, s0, s16
	s_lshl_b64 s[10:11], s[10:11], 4
	s_add_u32 s9, s12, s10
	s_addc_u32 s10, s13, s11
	s_add_u32 s6, s9, s6
	s_addc_u32 s7, s10, s7
	;; [unrolled: 2-line block ×4, first 2 shown]
	v_mov_b32_e32 v1, s3
	v_add_co_u32_e32 v0, vcc, s2, v4
	s_lshl_b64 s[0:1], s[0:1], 4
	v_lshl_or_b32 v2, s16, 7, v4
	v_addc_co_u32_e32 v1, vcc, 0, v1, vcc
	v_add_u32_e32 v2, 0x400, v2
	v_mov_b32_e32 v3, s1
.LBB208_169:                            ; =>This Inner Loop Header: Depth=1
	ds_read2_b64 v[4:7], v2 offset1:1
	s_add_i32 s8, s8, -1
	v_add_u32_e32 v2, 0x80, v2
	s_cmp_lg_u32 s8, 0
	s_waitcnt lgkmcnt(0)
	global_store_dwordx4 v[0:1], v[4:7], off
	v_add_co_u32_e32 v0, vcc, s0, v0
	v_addc_co_u32_e32 v1, vcc, v1, v3, vcc
	s_cbranch_scc1 .LBB208_169
.LBB208_170:
	s_endpgm
	.section	.rodata,"a",@progbits
	.p2align	6, 0x0
	.amdhsa_kernel _ZL31rocblas_trsm_small_right_deviceI19rocblas_complex_numIdES1_PKS1_PS1_Li8EEv13rocblas_fill_18rocblas_operation_17rocblas_diagonal_iiT0_T1_lilT2_lili
		.amdhsa_group_segment_fixed_size 2048
		.amdhsa_private_segment_fixed_size 0
		.amdhsa_kernarg_size 368
		.amdhsa_user_sgpr_count 6
		.amdhsa_user_sgpr_private_segment_buffer 1
		.amdhsa_user_sgpr_dispatch_ptr 0
		.amdhsa_user_sgpr_queue_ptr 0
		.amdhsa_user_sgpr_kernarg_segment_ptr 1
		.amdhsa_user_sgpr_dispatch_id 0
		.amdhsa_user_sgpr_flat_scratch_init 0
		.amdhsa_user_sgpr_kernarg_preload_length 0
		.amdhsa_user_sgpr_kernarg_preload_offset 0
		.amdhsa_user_sgpr_private_segment_size 0
		.amdhsa_uses_dynamic_stack 0
		.amdhsa_system_sgpr_private_segment_wavefront_offset 0
		.amdhsa_system_sgpr_workgroup_id_x 1
		.amdhsa_system_sgpr_workgroup_id_y 0
		.amdhsa_system_sgpr_workgroup_id_z 1
		.amdhsa_system_sgpr_workgroup_info 0
		.amdhsa_system_vgpr_workitem_id 0
		.amdhsa_next_free_vgpr 62
		.amdhsa_next_free_sgpr 39
		.amdhsa_accum_offset 64
		.amdhsa_reserve_vcc 1
		.amdhsa_reserve_flat_scratch 0
		.amdhsa_float_round_mode_32 0
		.amdhsa_float_round_mode_16_64 0
		.amdhsa_float_denorm_mode_32 3
		.amdhsa_float_denorm_mode_16_64 3
		.amdhsa_dx10_clamp 1
		.amdhsa_ieee_mode 1
		.amdhsa_fp16_overflow 0
		.amdhsa_tg_split 0
		.amdhsa_exception_fp_ieee_invalid_op 0
		.amdhsa_exception_fp_denorm_src 0
		.amdhsa_exception_fp_ieee_div_zero 0
		.amdhsa_exception_fp_ieee_overflow 0
		.amdhsa_exception_fp_ieee_underflow 0
		.amdhsa_exception_fp_ieee_inexact 0
		.amdhsa_exception_int_div_zero 0
	.end_amdhsa_kernel
	.section	.text._ZL31rocblas_trsm_small_right_deviceI19rocblas_complex_numIdES1_PKS1_PS1_Li8EEv13rocblas_fill_18rocblas_operation_17rocblas_diagonal_iiT0_T1_lilT2_lili,"axG",@progbits,_ZL31rocblas_trsm_small_right_deviceI19rocblas_complex_numIdES1_PKS1_PS1_Li8EEv13rocblas_fill_18rocblas_operation_17rocblas_diagonal_iiT0_T1_lilT2_lili,comdat
.Lfunc_end208:
	.size	_ZL31rocblas_trsm_small_right_deviceI19rocblas_complex_numIdES1_PKS1_PS1_Li8EEv13rocblas_fill_18rocblas_operation_17rocblas_diagonal_iiT0_T1_lilT2_lili, .Lfunc_end208-_ZL31rocblas_trsm_small_right_deviceI19rocblas_complex_numIdES1_PKS1_PS1_Li8EEv13rocblas_fill_18rocblas_operation_17rocblas_diagonal_iiT0_T1_lilT2_lili
                                        ; -- End function
	.section	.AMDGPU.csdata,"",@progbits
; Kernel info:
; codeLenInByte = 17184
; NumSgprs: 43
; NumVgprs: 62
; NumAgprs: 0
; TotalNumVgprs: 62
; ScratchSize: 0
; MemoryBound: 0
; FloatMode: 240
; IeeeMode: 1
; LDSByteSize: 2048 bytes/workgroup (compile time only)
; SGPRBlocks: 5
; VGPRBlocks: 7
; NumSGPRsForWavesPerEU: 43
; NumVGPRsForWavesPerEU: 62
; AccumOffset: 64
; Occupancy: 8
; WaveLimiterHint : 0
; COMPUTE_PGM_RSRC2:SCRATCH_EN: 0
; COMPUTE_PGM_RSRC2:USER_SGPR: 6
; COMPUTE_PGM_RSRC2:TRAP_HANDLER: 0
; COMPUTE_PGM_RSRC2:TGID_X_EN: 1
; COMPUTE_PGM_RSRC2:TGID_Y_EN: 0
; COMPUTE_PGM_RSRC2:TGID_Z_EN: 1
; COMPUTE_PGM_RSRC2:TIDIG_COMP_CNT: 0
; COMPUTE_PGM_RSRC3_GFX90A:ACCUM_OFFSET: 15
; COMPUTE_PGM_RSRC3_GFX90A:TG_SPLIT: 0
	.section	.text._ZL38rocblas_trsm_small_left_device_sharedBILi12ELi12ELb0E19rocblas_complex_numIdES1_PKS1_PS1_Ev13rocblas_fill_18rocblas_operation_17rocblas_diagonal_iiT3_T4_lilT5_lili,"axG",@progbits,_ZL38rocblas_trsm_small_left_device_sharedBILi12ELi12ELb0E19rocblas_complex_numIdES1_PKS1_PS1_Ev13rocblas_fill_18rocblas_operation_17rocblas_diagonal_iiT3_T4_lilT5_lili,comdat
	.globl	_ZL38rocblas_trsm_small_left_device_sharedBILi12ELi12ELb0E19rocblas_complex_numIdES1_PKS1_PS1_Ev13rocblas_fill_18rocblas_operation_17rocblas_diagonal_iiT3_T4_lilT5_lili ; -- Begin function _ZL38rocblas_trsm_small_left_device_sharedBILi12ELi12ELb0E19rocblas_complex_numIdES1_PKS1_PS1_Ev13rocblas_fill_18rocblas_operation_17rocblas_diagonal_iiT3_T4_lilT5_lili
	.p2align	8
	.type	_ZL38rocblas_trsm_small_left_device_sharedBILi12ELi12ELb0E19rocblas_complex_numIdES1_PKS1_PS1_Ev13rocblas_fill_18rocblas_operation_17rocblas_diagonal_iiT3_T4_lilT5_lili,@function
_ZL38rocblas_trsm_small_left_device_sharedBILi12ELi12ELb0E19rocblas_complex_numIdES1_PKS1_PS1_Ev13rocblas_fill_18rocblas_operation_17rocblas_diagonal_iiT3_T4_lilT5_lili: ; @_ZL38rocblas_trsm_small_left_device_sharedBILi12ELi12ELb0E19rocblas_complex_numIdES1_PKS1_PS1_Ev13rocblas_fill_18rocblas_operation_17rocblas_diagonal_iiT3_T4_lilT5_lili
; %bb.0:
	s_add_u32 s0, s0, s10
	s_load_dwordx4 s[24:27], s[4:5], 0x4
	s_load_dwordx8 s[12:19], s[4:5], 0x18
	s_load_dwordx4 s[20:23], s[4:5], 0x40
	s_load_dwordx2 s[10:11], s[4:5], 0x50
	s_load_dword s39, s[4:5], 0x70
	s_addc_u32 s1, s1, 0
	s_waitcnt lgkmcnt(0)
	s_min_i32 s33, s26, 12
	s_mov_b32 s40, 0
	s_add_i32 s38, s33, -1
	v_cmp_gt_i32_e32 vcc, s33, v0
	s_and_saveexec_b64 s[28:29], vcc
	s_cbranch_execz .LBB209_15
; %bb.1:
	s_load_dword s30, s[4:5], 0x38
	s_mul_i32 s41, s21, s9
	s_mul_hi_u32 s42, s20, s9
	s_mul_i32 s20, s20, s9
	s_waitcnt lgkmcnt(0)
	s_ashr_i32 s31, s30, 31
	s_cmpk_eq_i32 s24, 0x71
	s_cselect_b64 vcc, -1, 0
	s_cmp_lt_u32 s38, 3
	s_cbranch_scc1 .LBB209_4
; %bb.2:
	s_add_i32 s21, s42, s41
	s_and_b32 s40, s33, -4
	s_lshl_b64 s[6:7], s[20:21], 4
	s_lshl_b64 s[34:35], s[18:19], 4
	s_add_u32 s6, s6, s34
	s_addc_u32 s7, s7, s35
	s_add_u32 s6, s16, s6
	v_lshlrev_b32_e32 v2, 4, v0
	s_addc_u32 s7, s17, s7
	v_mov_b32_e32 v3, s7
	v_add_co_u32_e64 v2, s[6:7], s6, v2
	v_addc_co_u32_e64 v3, s[6:7], 0, v3, s[6:7]
	v_add_co_u32_e64 v2, s[6:7], 8, v2
	s_lshl_b64 s[34:35], s[30:31], 6
	s_lshl_b64 s[36:37], s[30:31], 4
	v_lshlrev_b32_e32 v1, 4, v0
	v_addc_co_u32_e64 v3, s[6:7], 0, v3, s[6:7]
	s_mov_b32 s21, 0
	v_mov_b32_e32 v4, s37
	v_mov_b32_e32 v5, s35
.LBB209_3:                              ; =>This Inner Loop Header: Depth=1
	v_add_co_u32_e64 v18, s[6:7], s36, v2
	v_addc_co_u32_e64 v19, s[6:7], v3, v4, s[6:7]
	v_add_co_u32_e64 v20, s[6:7], s36, v18
	global_load_dwordx4 v[6:9], v[2:3], off offset:-8
	v_addc_co_u32_e64 v21, s[6:7], v19, v4, s[6:7]
	global_load_dwordx4 v[10:13], v[18:19], off offset:-8
	global_load_dwordx4 v[14:17], v[20:21], off offset:-8
	v_add_co_u32_e64 v18, s[6:7], s36, v20
	v_addc_co_u32_e64 v19, s[6:7], v21, v4, s[6:7]
	global_load_dwordx4 v[18:21], v[18:19], off offset:-8
	s_add_i32 s21, s21, 4
	v_add_co_u32_e64 v2, s[6:7], s34, v2
	s_cmp_eq_u32 s40, s21
	v_addc_co_u32_e64 v3, s[6:7], v3, v5, s[6:7]
	s_waitcnt vmcnt(3)
	v_xor_b32_e32 v22, 0x80000000, v9
	v_cndmask_b32_e32 v9, v9, v22, vcc
	ds_write_b128 v1, v[6:9]
	s_waitcnt vmcnt(1)
	v_xor_b32_e32 v6, 0x80000000, v17
	v_xor_b32_e32 v22, 0x80000000, v13
	v_cndmask_b32_e32 v17, v17, v6, vcc
	v_cndmask_b32_e32 v13, v13, v22, vcc
	ds_write_b128 v1, v[10:13] offset:192
	s_waitcnt vmcnt(0)
	v_xor_b32_e32 v6, 0x80000000, v21
	v_cndmask_b32_e32 v21, v21, v6, vcc
	ds_write_b128 v1, v[14:17] offset:384
	ds_write_b128 v1, v[18:21] offset:576
	v_add_u32_e32 v1, 0x300, v1
	s_cbranch_scc0 .LBB209_3
.LBB209_4:
	s_and_b32 s34, s33, 3
	s_cmp_eq_u32 s34, 0
	s_cbranch_scc1 .LBB209_7
; %bb.5:
	s_mul_i32 s6, s40, 0xc0
	s_add_i32 s21, s42, s41
	v_lshl_add_u32 v1, v0, 4, s6
	s_lshl_b64 s[6:7], s[20:21], 4
	s_mul_i32 s20, s31, s40
	s_mul_hi_u32 s21, s30, s40
	s_add_i32 s21, s21, s20
	s_mul_i32 s20, s30, s40
	s_lshl_b64 s[20:21], s[20:21], 4
	s_add_u32 s20, s6, s20
	s_addc_u32 s21, s7, s21
	s_lshl_b64 s[6:7], s[18:19], 4
	s_add_u32 s6, s20, s6
	s_addc_u32 s7, s21, s7
	s_add_u32 s6, s16, s6
	v_lshlrev_b32_e32 v2, 4, v0
	s_addc_u32 s7, s17, s7
	v_mov_b32_e32 v3, s7
	v_add_co_u32_e64 v2, s[6:7], s6, v2
	v_addc_co_u32_e64 v3, s[6:7], 0, v3, s[6:7]
	v_add_co_u32_e64 v2, s[6:7], 8, v2
	s_lshl_b64 s[16:17], s[30:31], 4
	v_addc_co_u32_e64 v3, s[6:7], 0, v3, s[6:7]
	v_mov_b32_e32 v4, s17
.LBB209_6:                              ; =>This Inner Loop Header: Depth=1
	global_load_dwordx4 v[6:9], v[2:3], off offset:-8
	v_add_co_u32_e64 v2, s[6:7], s16, v2
	s_add_i32 s34, s34, -1
	v_addc_co_u32_e64 v3, s[6:7], v3, v4, s[6:7]
	s_cmp_lg_u32 s34, 0
	s_waitcnt vmcnt(0)
	v_xor_b32_e32 v5, 0x80000000, v9
	v_cndmask_b32_e32 v9, v9, v5, vcc
	ds_write_b128 v1, v[6:9]
	v_add_u32_e32 v1, 0xc0, v1
	s_cbranch_scc1 .LBB209_6
.LBB209_7:
	v_mul_u32_u24_e32 v1, 13, v0
	s_cmpk_lg_i32 s25, 0x84
	v_lshlrev_b32_e32 v1, 4, v1
	s_cbranch_scc0 .LBB209_13
; %bb.8:
	ds_read_b128 v[2:5], v1
	s_waitcnt lgkmcnt(0)
	v_xor_b32_e32 v7, 0x80000000, v3
	v_cmp_gt_f64_e32 vcc, 0, v[2:3]
	v_xor_b32_e32 v8, 0x80000000, v5
	v_cndmask_b32_e32 v7, v3, v7, vcc
	v_cmp_gt_f64_e32 vcc, 0, v[4:5]
	v_mov_b32_e32 v6, v2
	v_cndmask_b32_e32 v9, v5, v8, vcc
	v_mov_b32_e32 v8, v4
	v_cmp_ngt_f64_e32 vcc, v[6:7], v[8:9]
                                        ; implicit-def: $vgpr8_vgpr9
	s_and_saveexec_b64 s[6:7], vcc
	s_xor_b64 s[6:7], exec, s[6:7]
	s_cbranch_execz .LBB209_10
; %bb.9:
	v_div_scale_f64 v[6:7], s[16:17], v[4:5], v[4:5], v[2:3]
	v_rcp_f64_e32 v[8:9], v[6:7]
	v_div_scale_f64 v[10:11], vcc, v[2:3], v[4:5], v[2:3]
	v_fma_f64 v[12:13], -v[6:7], v[8:9], 1.0
	v_fmac_f64_e32 v[8:9], v[8:9], v[12:13]
	v_fma_f64 v[12:13], -v[6:7], v[8:9], 1.0
	v_fmac_f64_e32 v[8:9], v[8:9], v[12:13]
	v_mul_f64 v[12:13], v[10:11], v[8:9]
	v_fma_f64 v[6:7], -v[6:7], v[12:13], v[10:11]
	v_div_fmas_f64 v[6:7], v[6:7], v[8:9], v[12:13]
	v_div_fixup_f64 v[8:9], v[6:7], v[4:5], v[2:3]
	v_fmac_f64_e32 v[4:5], v[2:3], v[8:9]
	v_div_scale_f64 v[2:3], s[16:17], v[4:5], v[4:5], 1.0
	v_rcp_f64_e32 v[6:7], v[2:3]
	v_fma_f64 v[10:11], -v[2:3], v[6:7], 1.0
	v_fmac_f64_e32 v[6:7], v[6:7], v[10:11]
	v_fma_f64 v[10:11], -v[2:3], v[6:7], 1.0
	v_fmac_f64_e32 v[6:7], v[6:7], v[10:11]
	v_div_scale_f64 v[10:11], vcc, 1.0, v[4:5], 1.0
	v_mul_f64 v[12:13], v[10:11], v[6:7]
	v_fma_f64 v[2:3], -v[2:3], v[12:13], v[10:11]
	s_nop 1
	v_div_fmas_f64 v[2:3], v[2:3], v[6:7], v[12:13]
	v_div_fixup_f64 v[2:3], v[2:3], v[4:5], 1.0
	v_add_f64 v[4:5], v[8:9], 0
	v_mul_f64 v[6:7], v[4:5], v[2:3]
	v_fma_f64 v[4:5], v[8:9], 0, -1.0
	v_mul_f64 v[8:9], v[4:5], v[2:3]
                                        ; implicit-def: $vgpr2_vgpr3
.LBB209_10:
	s_andn2_saveexec_b64 s[6:7], s[6:7]
	s_cbranch_execz .LBB209_12
; %bb.11:
	v_div_scale_f64 v[6:7], s[16:17], v[2:3], v[2:3], v[4:5]
	v_rcp_f64_e32 v[8:9], v[6:7]
	v_div_scale_f64 v[10:11], vcc, v[4:5], v[2:3], v[4:5]
	v_fma_f64 v[12:13], -v[6:7], v[8:9], 1.0
	v_fmac_f64_e32 v[8:9], v[8:9], v[12:13]
	v_fma_f64 v[12:13], -v[6:7], v[8:9], 1.0
	v_fmac_f64_e32 v[8:9], v[8:9], v[12:13]
	v_mul_f64 v[12:13], v[10:11], v[8:9]
	v_fma_f64 v[6:7], -v[6:7], v[12:13], v[10:11]
	v_div_fmas_f64 v[6:7], v[6:7], v[8:9], v[12:13]
	v_div_fixup_f64 v[8:9], v[6:7], v[2:3], v[4:5]
	v_fmac_f64_e32 v[2:3], v[4:5], v[8:9]
	v_div_scale_f64 v[4:5], s[16:17], v[2:3], v[2:3], 1.0
	v_rcp_f64_e32 v[6:7], v[4:5]
	v_fma_f64 v[10:11], -v[4:5], v[6:7], 1.0
	v_fmac_f64_e32 v[6:7], v[6:7], v[10:11]
	v_fma_f64 v[10:11], -v[4:5], v[6:7], 1.0
	v_fmac_f64_e32 v[6:7], v[6:7], v[10:11]
	v_div_scale_f64 v[10:11], vcc, 1.0, v[2:3], 1.0
	v_mul_f64 v[12:13], v[10:11], v[6:7]
	v_fma_f64 v[4:5], -v[4:5], v[12:13], v[10:11]
	s_nop 1
	v_div_fmas_f64 v[4:5], v[4:5], v[6:7], v[12:13]
	v_div_fixup_f64 v[2:3], v[4:5], v[2:3], 1.0
	v_fma_f64 v[4:5], v[8:9], 0, 1.0
	v_mul_f64 v[6:7], v[4:5], v[2:3]
	v_add_f64 v[4:5], -v[8:9], 0
	v_mul_f64 v[8:9], v[4:5], v[2:3]
.LBB209_12:
	s_or_b64 exec, exec, s[6:7]
	s_branch .LBB209_14
.LBB209_13:
	v_mov_b32_e32 v6, 0
	v_mov_b32_e32 v7, 0x3ff00000
	v_pk_mov_b32 v[8:9], 0, 0
.LBB209_14:
	ds_write_b128 v1, v[6:9]
.LBB209_15:
	s_or_b64 exec, exec, s[28:29]
	s_load_dword s20, s[4:5], 0x58
	s_load_dwordx2 s[6:7], s[4:5], 0x60
	s_mov_b32 s19, 0
	s_waitcnt lgkmcnt(0)
	s_ashr_i32 s21, s20, 31
	s_mul_i32 s5, s9, s7
	s_mul_hi_u32 s7, s9, s6
	s_mul_i32 s4, s9, s6
	s_add_i32 s5, s7, s5
	s_lshl_b64 s[4:5], s[4:5], 4
	s_add_u32 s9, s22, s4
	s_addc_u32 s16, s23, s5
	s_lshl_b64 s[6:7], s[10:11], 4
	s_add_u32 s17, s9, s6
	s_mul_i32 s9, s8, -12
	s_addc_u32 s16, s16, s7
	s_add_i32 s39, s39, -1
	s_add_i32 s9, s9, s27
	s_cmp_ge_u32 s8, s39
	s_mul_i32 s8, s8, 12
	s_mul_hi_i32 s11, s20, s8
	s_mul_i32 s10, s20, s8
	s_cselect_b32 s18, s9, 12
	s_ashr_i32 s9, s8, 31
	s_lshl_b64 s[10:11], s[10:11], 4
	s_add_u32 s25, s17, s10
	s_addc_u32 s27, s16, s11
	s_cmp_gt_i32 s26, 0
	v_cmp_gt_i32_e32 vcc, s18, v0
	s_cselect_b64 s[10:11], -1, 0
	s_and_b64 s[10:11], vcc, s[10:11]
	s_and_saveexec_b64 s[16:17], s[10:11]
	s_cbranch_execz .LBB209_23
; %bb.16:
	s_cmp_lt_i32 s26, 8
	s_cbranch_scc1 .LBB209_20
; %bb.17:
	v_mad_i64_i32 v[2:3], s[18:19], s20, v0, 0
	v_lshlrev_b64 v[2:3], 4, v[2:3]
	v_mov_b32_e32 v4, s27
	v_add_co_u32_e32 v1, vcc, s25, v2
	v_addc_co_u32_e32 v2, vcc, v4, v3, vcc
	v_mov_b32_e32 v3, 0x900
	s_lshl_b32 s18, s33, 4
	v_lshl_or_b32 v3, v0, 4, v3
	s_and_b32 s28, s18, 0x80
	s_mov_b64 s[18:19], 0
.LBB209_18:                             ; =>This Inner Loop Header: Depth=1
	v_mov_b32_e32 v4, s19
	v_add_co_u32_e32 v36, vcc, s18, v1
	v_addc_co_u32_e32 v37, vcc, v2, v4, vcc
	global_load_dwordx4 v[4:7], v[36:37], off
	global_load_dwordx4 v[8:11], v[36:37], off offset:16
	global_load_dwordx4 v[12:15], v[36:37], off offset:32
	global_load_dwordx4 v[16:19], v[36:37], off offset:48
	global_load_dwordx4 v[20:23], v[36:37], off offset:64
	global_load_dwordx4 v[24:27], v[36:37], off offset:80
	global_load_dwordx4 v[28:31], v[36:37], off offset:96
	global_load_dwordx4 v[32:35], v[36:37], off offset:112
	s_add_u32 s18, s18, 0x80
	s_addc_u32 s19, s19, 0
	s_cmp_lg_u32 s28, s18
	s_waitcnt vmcnt(7)
	v_mul_f64 v[38:39], s[14:15], v[6:7]
	v_mul_f64 v[36:37], s[12:13], v[6:7]
	s_waitcnt vmcnt(6)
	v_mul_f64 v[40:41], s[14:15], v[10:11]
	v_mul_f64 v[6:7], s[12:13], v[10:11]
	;; [unrolled: 3-line block ×8, first 2 shown]
	v_fma_f64 v[34:35], s[12:13], v[4:5], -v[38:39]
	v_fmac_f64_e32 v[36:37], s[14:15], v[4:5]
	v_fma_f64 v[4:5], s[12:13], v[8:9], -v[40:41]
	v_fmac_f64_e32 v[6:7], s[14:15], v[8:9]
	;; [unrolled: 2-line block ×8, first 2 shown]
	ds_write_b128 v3, v[34:37]
	ds_write_b128 v3, v[4:7] offset:192
	ds_write_b128 v3, v[8:11] offset:384
	;; [unrolled: 1-line block ×7, first 2 shown]
	v_add_u32_e32 v3, 0x600, v3
	s_cbranch_scc1 .LBB209_18
; %bb.19:
	s_mov_b32 s19, 8
.LBB209_20:
	s_and_b32 s18, s33, 7
	s_cmp_eq_u32 s18, 0
	s_cbranch_scc1 .LBB209_23
; %bb.21:
	s_mul_i32 s28, s19, 0xc0
	v_lshl_add_u32 v1, v0, 4, s28
	s_lshl_b64 s[28:29], s[8:9], 4
	s_lshl_b32 s19, s19, 4
	v_lshlrev_b32_e32 v2, 4, v0
	s_add_u32 s19, s22, s19
	v_add_co_u32_e32 v4, vcc, s28, v2
	s_addc_u32 s28, s23, 0
	s_add_u32 s19, s19, s6
	v_mov_b32_e32 v3, s29
	s_addc_u32 s29, s28, s7
	s_add_u32 s28, s19, s4
	s_addc_u32 s29, s29, s5
	v_addc_co_u32_e32 v5, vcc, 0, v3, vcc
	v_pk_mov_b32 v[2:3], s[28:29], s[28:29] op_sel:[0,1]
	v_mad_u64_u32 v[2:3], s[28:29], v4, s20, v[2:3]
	v_mul_lo_u32 v4, v4, s21
	v_mul_lo_u32 v5, v5, s20
	v_add3_u32 v3, v5, v3, v4
	v_add_co_u32_e32 v2, vcc, 8, v2
	v_add_u32_e32 v1, 0x900, v1
	v_addc_co_u32_e32 v3, vcc, 0, v3, vcc
.LBB209_22:                             ; =>This Inner Loop Header: Depth=1
	global_load_dwordx4 v[4:7], v[2:3], off offset:-8
	v_add_co_u32_e32 v2, vcc, 16, v2
	s_add_i32 s18, s18, -1
	v_addc_co_u32_e32 v3, vcc, 0, v3, vcc
	s_cmp_lg_u32 s18, 0
	s_waitcnt vmcnt(0)
	v_mul_f64 v[10:11], s[14:15], v[6:7]
	v_mul_f64 v[8:9], s[12:13], v[6:7]
	v_fma_f64 v[6:7], s[12:13], v[4:5], -v[10:11]
	v_fmac_f64_e32 v[8:9], s[14:15], v[4:5]
	ds_write_b128 v1, v[6:9]
	v_add_u32_e32 v1, 0xc0, v1
	s_cbranch_scc1 .LBB209_22
.LBB209_23:
	s_or_b64 exec, exec, s[16:17]
	s_cmpk_eq_i32 s24, 0x6f
	s_mov_b64 s[12:13], -1
	s_waitcnt lgkmcnt(0)
	; wave barrier
	s_waitcnt lgkmcnt(0)
	s_cbranch_scc1 .LBB209_45
; %bb.24:
	v_mov_b32_e32 v1, 0x900
	s_mov_b32 s13, 0
	v_lshl_or_b32 v1, v0, 4, v1
	v_mov_b32_e32 v6, 0
	s_mov_b32 s12, s13
	s_mov_b32 s16, s13
	s_branch .LBB209_26
.LBB209_25:                             ;   in Loop: Header=BB209_26 Depth=1
	s_cmp_ge_i32 s16, s33
	s_cselect_b64 s[14:15], -1, 0
	s_add_i32 s12, s12, 1
	s_cmp_eq_u32 s12, 3
	s_cselect_b64 s[18:19], -1, 0
	s_or_b64 s[14:15], s[14:15], s[18:19]
	s_andn2_b64 vcc, exec, s[14:15]
	s_cbranch_vccz .LBB209_44
.LBB209_26:                             ; =>This Loop Header: Depth=1
                                        ;     Child Loop BB209_29 Depth 2
                                        ;       Child Loop BB209_30 Depth 3
                                        ;       Child Loop BB209_33 Depth 3
                                        ;         Child Loop BB209_34 Depth 4
                                        ;       Child Loop BB209_38 Depth 3
                                        ;         Child Loop BB209_40 Depth 4
	s_lshl_b64 s[14:15], s[12:13], 2
	s_getpc_b64 s[18:19]
	s_add_u32 s18, s18, __const._ZL38rocblas_trsm_small_left_device_sharedBILi12ELi12ELb0E19rocblas_complex_numIdES1_PKS1_PS1_Ev13rocblas_fill_18rocblas_operation_17rocblas_diagonal_iiT3_T4_lilT5_lili.step_sizes@rel32@lo+4
	s_addc_u32 s19, s19, __const._ZL38rocblas_trsm_small_left_device_sharedBILi12ELi12ELb0E19rocblas_complex_numIdES1_PKS1_PS1_Ev13rocblas_fill_18rocblas_operation_17rocblas_diagonal_iiT3_T4_lilT5_lili.step_sizes@rel32@hi+12
	s_add_u32 s14, s14, s18
	s_addc_u32 s15, s15, s19
	s_load_dword s17, s[14:15], 0x0
	s_waitcnt lgkmcnt(0)
	s_add_i32 s18, s17, -1
	s_add_i32 s14, s18, s16
	s_cmp_ge_i32 s14, s33
	s_cbranch_scc1 .LBB209_25
; %bb.27:                               ;   in Loop: Header=BB209_26 Depth=1
	s_mul_i32 s24, s16, 0xc0
	s_max_i32 s19, s17, 1
	v_add_u32_e32 v7, s24, v1
	s_mul_i32 s28, s17, 0xc0
	s_mul_i32 s29, s16, 0xd0
	s_mul_i32 s30, s17, 0xd0
	s_branch .LBB209_29
.LBB209_28:                             ;   in Loop: Header=BB209_29 Depth=2
	s_add_i32 s16, s16, s17
	s_add_i32 s14, s18, s16
	;; [unrolled: 1-line block ×4, first 2 shown]
	s_cmp_ge_i32 s14, s33
	v_add_u32_e32 v7, s28, v7
	s_cbranch_scc1 .LBB209_25
.LBB209_29:                             ;   Parent Loop BB209_26 Depth=1
                                        ; =>  This Loop Header: Depth=2
                                        ;       Child Loop BB209_30 Depth 3
                                        ;       Child Loop BB209_33 Depth 3
                                        ;         Child Loop BB209_34 Depth 4
                                        ;       Child Loop BB209_38 Depth 3
                                        ;         Child Loop BB209_40 Depth 4
	v_mov_b32_e32 v2, 0
	v_mov_b32_e32 v3, v7
	s_mov_b32 s14, s19
.LBB209_30:                             ;   Parent Loop BB209_26 Depth=1
                                        ;     Parent Loop BB209_29 Depth=2
                                        ; =>    This Inner Loop Header: Depth=3
	ds_read_b128 v[8:11], v3
	s_add_i32 s14, s14, -1
	v_add_u32_e32 v3, 0xc0, v3
	s_cmp_eq_u32 s14, 0
	s_waitcnt lgkmcnt(0)
	buffer_store_dword v11, v2, s[0:3], 0 offen offset:12
	buffer_store_dword v10, v2, s[0:3], 0 offen offset:8
	;; [unrolled: 1-line block ×3, first 2 shown]
	buffer_store_dword v8, v2, s[0:3], 0 offen
	v_add_u32_e32 v2, 16, v2
	s_cbranch_scc0 .LBB209_30
; %bb.31:                               ;   in Loop: Header=BB209_29 Depth=2
	s_cmp_lt_i32 s16, 1
	s_cbranch_scc1 .LBB209_36
; %bb.32:                               ;   in Loop: Header=BB209_29 Depth=2
	s_mov_b32 s14, 0
	s_mov_b32 s15, s24
.LBB209_33:                             ;   Parent Loop BB209_26 Depth=1
                                        ;     Parent Loop BB209_29 Depth=2
                                        ; =>    This Loop Header: Depth=3
                                        ;         Child Loop BB209_34 Depth 4
	s_mul_i32 s31, s14, 12
	v_add_lshl_u32 v2, s31, v0, 4
	ds_read_b128 v[2:5], v2 offset:2304
	v_mov_b32_e32 v8, 0
	s_mov_b32 s31, s15
	s_mov_b32 s34, s19
.LBB209_34:                             ;   Parent Loop BB209_26 Depth=1
                                        ;     Parent Loop BB209_29 Depth=2
                                        ;       Parent Loop BB209_33 Depth=3
                                        ; =>      This Inner Loop Header: Depth=4
	buffer_load_dword v14, v8, s[0:3], 0 offen
	buffer_load_dword v15, v8, s[0:3], 0 offen offset:4
	buffer_load_dword v16, v8, s[0:3], 0 offen offset:8
	;; [unrolled: 1-line block ×3, first 2 shown]
	v_mov_b32_e32 v9, s31
	ds_read_b128 v[10:13], v9
	s_add_i32 s34, s34, -1
	s_addk_i32 s31, 0xc0
	s_cmp_eq_u32 s34, 0
	s_waitcnt lgkmcnt(0)
	v_mul_f64 v[18:19], v[4:5], v[12:13]
	v_mul_f64 v[12:13], v[2:3], v[12:13]
	v_fma_f64 v[18:19], v[2:3], v[10:11], -v[18:19]
	v_fmac_f64_e32 v[12:13], v[4:5], v[10:11]
	s_waitcnt vmcnt(2)
	v_add_f64 v[10:11], v[14:15], -v[18:19]
	s_waitcnt vmcnt(0)
	v_add_f64 v[12:13], v[16:17], -v[12:13]
	buffer_store_dword v10, v8, s[0:3], 0 offen
	buffer_store_dword v11, v8, s[0:3], 0 offen offset:4
	buffer_store_dword v12, v8, s[0:3], 0 offen offset:8
	;; [unrolled: 1-line block ×3, first 2 shown]
	v_add_u32_e32 v8, 16, v8
	s_cbranch_scc0 .LBB209_34
; %bb.35:                               ;   in Loop: Header=BB209_33 Depth=3
	s_add_i32 s14, s14, 1
	s_add_i32 s15, s15, 16
	s_cmp_ge_i32 s14, s16
	s_cbranch_scc0 .LBB209_33
.LBB209_36:                             ;   in Loop: Header=BB209_29 Depth=2
	s_mul_i32 s31, s16, 12
	s_mov_b32 s34, 0
	s_mov_b32 s35, s29
	s_branch .LBB209_38
.LBB209_37:                             ;   in Loop: Header=BB209_38 Depth=3
	s_mul_i32 s14, s37, 0xd0
	v_mov_b32_e32 v8, s14
	ds_read_b128 v[8:11], v8
	s_lshl_b32 s14, s34, 4
	s_add_i32 s34, s34, 1
	s_addk_i32 s35, 0xc0
	v_add_u32_e32 v16, s14, v6
	s_waitcnt vmcnt(0) lgkmcnt(0)
	v_mul_f64 v[12:13], v[10:11], v[4:5]
	v_mul_f64 v[14:15], v[8:9], v[4:5]
	v_fma_f64 v[12:13], v[8:9], v[2:3], -v[12:13]
	v_fmac_f64_e32 v[14:15], v[10:11], v[2:3]
	v_add_lshl_u32 v2, s36, v0, 4
	s_cmp_eq_u32 s34, s19
	buffer_store_dword v13, v16, s[0:3], 0 offen offset:4
	buffer_store_dword v12, v16, s[0:3], 0 offen
	buffer_store_dword v15, v16, s[0:3], 0 offen offset:12
	buffer_store_dword v14, v16, s[0:3], 0 offen offset:8
	ds_write_b128 v2, v[12:15] offset:2304
	s_cbranch_scc1 .LBB209_28
.LBB209_38:                             ;   Parent Loop BB209_26 Depth=1
                                        ;     Parent Loop BB209_29 Depth=2
                                        ; =>    This Loop Header: Depth=3
                                        ;         Child Loop BB209_40 Depth 4
	s_cmp_lg_u32 s34, 0
	s_cbranch_scc0 .LBB209_42
; %bb.39:                               ;   in Loop: Header=BB209_38 Depth=3
	s_lshl_b32 s14, s34, 4
	v_add_u32_e32 v8, s14, v6
	buffer_load_dword v2, v8, s[0:3], 0 offen
	buffer_load_dword v3, v8, s[0:3], 0 offen offset:4
	buffer_load_dword v4, v8, s[0:3], 0 offen offset:8
	;; [unrolled: 1-line block ×3, first 2 shown]
	s_add_i32 s37, s34, s16
	s_mul_i32 s36, s37, 12
	v_mov_b32_e32 v9, 0
	s_mov_b32 s14, 0
	s_mov_b32 s15, s35
.LBB209_40:                             ;   Parent Loop BB209_26 Depth=1
                                        ;     Parent Loop BB209_29 Depth=2
                                        ;       Parent Loop BB209_38 Depth=3
                                        ; =>      This Inner Loop Header: Depth=4
	buffer_load_dword v14, v9, s[0:3], 0 offen offset:8
	buffer_load_dword v15, v9, s[0:3], 0 offen offset:12
	buffer_load_dword v16, v9, s[0:3], 0 offen
	buffer_load_dword v17, v9, s[0:3], 0 offen offset:4
	v_mov_b32_e32 v10, s15
	ds_read_b128 v[10:13], v10
	s_add_i32 s14, s14, 1
	s_add_i32 s15, s15, 16
	v_add_u32_e32 v9, 16, v9
	s_cmp_ge_u32 s14, s34
	s_waitcnt vmcnt(2) lgkmcnt(0)
	v_mul_f64 v[18:19], v[12:13], v[14:15]
	v_mul_f64 v[14:15], v[10:11], v[14:15]
	s_waitcnt vmcnt(0)
	v_fma_f64 v[10:11], v[10:11], v[16:17], -v[18:19]
	v_fmac_f64_e32 v[14:15], v[12:13], v[16:17]
	v_add_f64 v[2:3], v[2:3], -v[10:11]
	v_add_f64 v[4:5], v[4:5], -v[14:15]
	buffer_store_dword v2, v8, s[0:3], 0 offen
	buffer_store_dword v3, v8, s[0:3], 0 offen offset:4
	buffer_store_dword v4, v8, s[0:3], 0 offen offset:8
	;; [unrolled: 1-line block ×3, first 2 shown]
	s_cbranch_scc0 .LBB209_40
; %bb.41:                               ;   in Loop: Header=BB209_38 Depth=3
	s_branch .LBB209_37
.LBB209_42:                             ;   in Loop: Header=BB209_38 Depth=3
                                        ; implicit-def: $vgpr2_vgpr3
                                        ; implicit-def: $vgpr4_vgpr5
                                        ; implicit-def: $sgpr37
                                        ; implicit-def: $sgpr36
	s_cbranch_execz .LBB209_37
; %bb.43:                               ;   in Loop: Header=BB209_38 Depth=3
	buffer_load_dword v2, off, s[0:3], 0
	buffer_load_dword v3, off, s[0:3], 0 offset:4
	buffer_load_dword v4, off, s[0:3], 0 offset:8
	;; [unrolled: 1-line block ×3, first 2 shown]
	s_mov_b32 s36, s31
	s_mov_b32 s37, s16
	s_branch .LBB209_37
.LBB209_44:
	s_mov_b64 s[12:13], 0
.LBB209_45:
	s_and_b64 vcc, exec, s[12:13]
	s_cbranch_vccz .LBB209_65
; %bb.46:
	v_mov_b32_e32 v1, 0x900
	s_mul_i32 s16, s33, 0xc0
	s_mov_b32 s13, 0
	v_lshl_or_b32 v1, v0, 4, v1
	s_addk_i32 s16, 0xff40
	v_mov_b32_e32 v6, 0
	s_mov_b32 s12, s13
	s_mov_b32 s17, s38
	s_branch .LBB209_48
.LBB209_47:                             ;   in Loop: Header=BB209_48 Depth=1
	s_cmp_lt_i32 s17, 0
	s_cselect_b64 s[14:15], -1, 0
	s_add_i32 s12, s12, 1
	s_cmp_eq_u32 s12, 3
	s_cselect_b64 s[18:19], -1, 0
	s_or_b64 s[14:15], s[14:15], s[18:19]
	s_and_b64 vcc, exec, s[14:15]
	s_cbranch_vccnz .LBB209_65
.LBB209_48:                             ; =>This Loop Header: Depth=1
                                        ;     Child Loop BB209_51 Depth 2
                                        ;       Child Loop BB209_52 Depth 3
                                        ;       Child Loop BB209_54 Depth 3
                                        ;         Child Loop BB209_55 Depth 4
                                        ;       Child Loop BB209_59 Depth 3
                                        ;         Child Loop BB209_61 Depth 4
	s_lshl_b64 s[14:15], s[12:13], 2
	s_getpc_b64 s[18:19]
	s_add_u32 s18, s18, __const._ZL38rocblas_trsm_small_left_device_sharedBILi12ELi12ELb0E19rocblas_complex_numIdES1_PKS1_PS1_Ev13rocblas_fill_18rocblas_operation_17rocblas_diagonal_iiT3_T4_lilT5_lili.step_sizes@rel32@lo+4
	s_addc_u32 s19, s19, __const._ZL38rocblas_trsm_small_left_device_sharedBILi12ELi12ELb0E19rocblas_complex_numIdES1_PKS1_PS1_Ev13rocblas_fill_18rocblas_operation_17rocblas_diagonal_iiT3_T4_lilT5_lili.step_sizes@rel32@hi+12
	s_add_u32 s14, s14, s18
	s_addc_u32 s15, s15, s19
	s_load_dword s18, s[14:15], 0x0
	s_waitcnt lgkmcnt(0)
	s_add_i32 s19, s18, -1
	s_cmp_lt_i32 s17, s19
	s_cbranch_scc1 .LBB209_47
; %bb.49:                               ;   in Loop: Header=BB209_48 Depth=1
	s_mul_i32 s14, s17, 0xc0
	v_add_u32_e32 v7, s14, v1
	s_lshl_b32 s14, s17, 4
	s_add_i32 s29, s16, s14
	s_lshl_b32 s14, s18, 4
	s_max_i32 s24, s18, 1
	s_mul_i32 s28, s18, 0xffffff40
	s_sub_i32 s30, 0, s14
	s_mul_i32 s31, s17, 0xd0
	s_mul_i32 s34, s18, 0xffffff30
	s_branch .LBB209_51
.LBB209_50:                             ;   in Loop: Header=BB209_51 Depth=2
	s_sub_i32 s17, s17, s18
	s_add_i32 s29, s29, s30
	s_add_i32 s31, s31, s34
	s_cmp_lt_i32 s17, s19
	v_add_u32_e32 v7, s28, v7
	s_cbranch_scc1 .LBB209_47
.LBB209_51:                             ;   Parent Loop BB209_48 Depth=1
                                        ; =>  This Loop Header: Depth=2
                                        ;       Child Loop BB209_52 Depth 3
                                        ;       Child Loop BB209_54 Depth 3
                                        ;         Child Loop BB209_55 Depth 4
                                        ;       Child Loop BB209_59 Depth 3
                                        ;         Child Loop BB209_61 Depth 4
	v_mov_b32_e32 v2, 0
	v_mov_b32_e32 v3, v7
	s_mov_b32 s14, s24
.LBB209_52:                             ;   Parent Loop BB209_48 Depth=1
                                        ;     Parent Loop BB209_51 Depth=2
                                        ; =>    This Inner Loop Header: Depth=3
	ds_read_b128 v[8:11], v3
	s_add_i32 s14, s14, -1
	v_add_u32_e32 v3, 0xffffff40, v3
	s_cmp_eq_u32 s14, 0
	s_waitcnt lgkmcnt(0)
	buffer_store_dword v11, v2, s[0:3], 0 offen offset:12
	buffer_store_dword v10, v2, s[0:3], 0 offen offset:8
	;; [unrolled: 1-line block ×3, first 2 shown]
	buffer_store_dword v8, v2, s[0:3], 0 offen
	v_add_u32_e32 v2, 16, v2
	s_cbranch_scc0 .LBB209_52
; %bb.53:                               ;   in Loop: Header=BB209_51 Depth=2
	s_cmp_le_i32 s38, s17
	s_mov_b32 s14, s29
	s_mov_b32 s15, s38
	s_cbranch_scc1 .LBB209_57
.LBB209_54:                             ;   Parent Loop BB209_48 Depth=1
                                        ;     Parent Loop BB209_51 Depth=2
                                        ; =>    This Loop Header: Depth=3
                                        ;         Child Loop BB209_55 Depth 4
	s_mul_i32 s35, s15, 12
	v_add_lshl_u32 v2, s35, v0, 4
	ds_read_b128 v[2:5], v2 offset:2304
	v_mov_b32_e32 v8, 0
	s_mov_b32 s35, s24
	s_mov_b32 s36, s14
.LBB209_55:                             ;   Parent Loop BB209_48 Depth=1
                                        ;     Parent Loop BB209_51 Depth=2
                                        ;       Parent Loop BB209_54 Depth=3
                                        ; =>      This Inner Loop Header: Depth=4
	buffer_load_dword v14, v8, s[0:3], 0 offen
	buffer_load_dword v15, v8, s[0:3], 0 offen offset:4
	buffer_load_dword v16, v8, s[0:3], 0 offen offset:8
	;; [unrolled: 1-line block ×3, first 2 shown]
	v_mov_b32_e32 v9, s36
	ds_read_b128 v[10:13], v9
	s_add_i32 s36, s36, -16
	s_add_i32 s35, s35, -1
	s_cmp_eq_u32 s35, 0
	s_waitcnt lgkmcnt(0)
	v_mul_f64 v[18:19], v[4:5], v[12:13]
	v_mul_f64 v[12:13], v[2:3], v[12:13]
	v_fma_f64 v[18:19], v[2:3], v[10:11], -v[18:19]
	v_fmac_f64_e32 v[12:13], v[4:5], v[10:11]
	s_waitcnt vmcnt(2)
	v_add_f64 v[10:11], v[14:15], -v[18:19]
	s_waitcnt vmcnt(0)
	v_add_f64 v[12:13], v[16:17], -v[12:13]
	buffer_store_dword v10, v8, s[0:3], 0 offen
	buffer_store_dword v11, v8, s[0:3], 0 offen offset:4
	buffer_store_dword v12, v8, s[0:3], 0 offen offset:8
	;; [unrolled: 1-line block ×3, first 2 shown]
	v_add_u32_e32 v8, 16, v8
	s_cbranch_scc0 .LBB209_55
; %bb.56:                               ;   in Loop: Header=BB209_54 Depth=3
	s_add_i32 s15, s15, -1
	s_addk_i32 s14, 0xff40
	s_cmp_le_i32 s15, s17
	s_cbranch_scc0 .LBB209_54
.LBB209_57:                             ;   in Loop: Header=BB209_51 Depth=2
	s_mov_b32 s35, 0
	s_mov_b32 s36, s31
	s_branch .LBB209_59
.LBB209_58:                             ;   in Loop: Header=BB209_59 Depth=3
	s_mul_i32 s14, s37, 0xd0
	v_mov_b32_e32 v8, s14
	ds_read_b128 v[8:11], v8
	s_mul_i32 s14, s37, 12
	s_lshl_b32 s15, s35, 4
	s_add_i32 s35, s35, 1
	s_add_i32 s36, s36, -16
	s_waitcnt vmcnt(0) lgkmcnt(0)
	v_mul_f64 v[12:13], v[10:11], v[4:5]
	v_mul_f64 v[14:15], v[8:9], v[4:5]
	v_add_u32_e32 v16, s15, v6
	v_fma_f64 v[12:13], v[8:9], v[2:3], -v[12:13]
	v_fmac_f64_e32 v[14:15], v[10:11], v[2:3]
	v_add_lshl_u32 v2, s14, v0, 4
	s_cmp_eq_u32 s35, s24
	buffer_store_dword v13, v16, s[0:3], 0 offen offset:4
	buffer_store_dword v12, v16, s[0:3], 0 offen
	buffer_store_dword v15, v16, s[0:3], 0 offen offset:12
	buffer_store_dword v14, v16, s[0:3], 0 offen offset:8
	ds_write_b128 v2, v[12:15] offset:2304
	s_cbranch_scc1 .LBB209_50
.LBB209_59:                             ;   Parent Loop BB209_48 Depth=1
                                        ;     Parent Loop BB209_51 Depth=2
                                        ; =>    This Loop Header: Depth=3
                                        ;         Child Loop BB209_61 Depth 4
	s_cmp_lg_u32 s35, 0
	s_cbranch_scc0 .LBB209_63
; %bb.60:                               ;   in Loop: Header=BB209_59 Depth=3
	s_lshl_b32 s14, s35, 4
	v_add_u32_e32 v8, s14, v6
	buffer_load_dword v2, v8, s[0:3], 0 offen
	buffer_load_dword v3, v8, s[0:3], 0 offen offset:4
	buffer_load_dword v4, v8, s[0:3], 0 offen offset:8
	;; [unrolled: 1-line block ×3, first 2 shown]
	s_sub_i32 s37, s17, s35
	v_mov_b32_e32 v9, 0
	s_mov_b32 s14, 0
	s_mov_b32 s15, s36
.LBB209_61:                             ;   Parent Loop BB209_48 Depth=1
                                        ;     Parent Loop BB209_51 Depth=2
                                        ;       Parent Loop BB209_59 Depth=3
                                        ; =>      This Inner Loop Header: Depth=4
	buffer_load_dword v14, v9, s[0:3], 0 offen offset:8
	buffer_load_dword v15, v9, s[0:3], 0 offen offset:12
	buffer_load_dword v16, v9, s[0:3], 0 offen
	buffer_load_dword v17, v9, s[0:3], 0 offen offset:4
	v_mov_b32_e32 v10, s15
	ds_read_b128 v[10:13], v10
	s_add_i32 s14, s14, 1
	s_addk_i32 s15, 0xff40
	v_add_u32_e32 v9, 16, v9
	s_cmp_ge_u32 s14, s35
	s_waitcnt vmcnt(2) lgkmcnt(0)
	v_mul_f64 v[18:19], v[12:13], v[14:15]
	v_mul_f64 v[14:15], v[10:11], v[14:15]
	s_waitcnt vmcnt(0)
	v_fma_f64 v[10:11], v[10:11], v[16:17], -v[18:19]
	v_fmac_f64_e32 v[14:15], v[12:13], v[16:17]
	v_add_f64 v[2:3], v[2:3], -v[10:11]
	v_add_f64 v[4:5], v[4:5], -v[14:15]
	buffer_store_dword v2, v8, s[0:3], 0 offen
	buffer_store_dword v3, v8, s[0:3], 0 offen offset:4
	buffer_store_dword v4, v8, s[0:3], 0 offen offset:8
	buffer_store_dword v5, v8, s[0:3], 0 offen offset:12
	s_cbranch_scc0 .LBB209_61
; %bb.62:                               ;   in Loop: Header=BB209_59 Depth=3
	s_branch .LBB209_58
.LBB209_63:                             ;   in Loop: Header=BB209_59 Depth=3
                                        ; implicit-def: $vgpr2_vgpr3
                                        ; implicit-def: $vgpr4_vgpr5
                                        ; implicit-def: $sgpr37
	s_cbranch_execz .LBB209_58
; %bb.64:                               ;   in Loop: Header=BB209_59 Depth=3
	buffer_load_dword v2, off, s[0:3], 0
	buffer_load_dword v3, off, s[0:3], 0 offset:4
	buffer_load_dword v4, off, s[0:3], 0 offset:8
	;; [unrolled: 1-line block ×3, first 2 shown]
	s_mov_b32 s37, s17
	s_branch .LBB209_58
.LBB209_65:
	s_waitcnt lgkmcnt(0)
	; wave barrier
	s_waitcnt lgkmcnt(0)
	s_and_saveexec_b64 s[12:13], s[10:11]
	s_cbranch_execz .LBB209_73
; %bb.66:
	s_cmp_lt_i32 s26, 8
	s_mov_b32 s11, 0
	s_cbranch_scc1 .LBB209_70
; %bb.67:
	v_mad_i64_i32 v[2:3], s[10:11], s20, v0, 0
	v_lshlrev_b64 v[2:3], 4, v[2:3]
	v_mov_b32_e32 v4, s27
	v_add_co_u32_e32 v1, vcc, s25, v2
	v_addc_co_u32_e32 v2, vcc, v4, v3, vcc
	v_mov_b32_e32 v3, 0x900
	s_lshl_b32 s10, s33, 4
	v_lshl_or_b32 v3, v0, 4, v3
	s_and_b32 s12, s10, 0x80
	s_mov_b64 s[10:11], 0
.LBB209_68:                             ; =>This Inner Loop Header: Depth=1
	ds_read2_b64 v[4:7], v3 offset1:1
	ds_read2_b64 v[8:11], v3 offset0:24 offset1:25
	ds_read2_b64 v[12:15], v3 offset0:48 offset1:49
	;; [unrolled: 1-line block ×7, first 2 shown]
	v_add_co_u32_e32 v36, vcc, s10, v1
	s_add_u32 s10, s10, 0x80
	v_mov_b32_e32 v37, s11
	s_addc_u32 s11, s11, 0
	v_add_u32_e32 v3, 0x600, v3
	v_addc_co_u32_e32 v37, vcc, v2, v37, vcc
	s_cmp_lg_u32 s12, s10
	s_waitcnt lgkmcnt(7)
	global_store_dwordx4 v[36:37], v[4:7], off
	s_waitcnt lgkmcnt(6)
	global_store_dwordx4 v[36:37], v[8:11], off offset:16
	s_waitcnt lgkmcnt(5)
	global_store_dwordx4 v[36:37], v[12:15], off offset:32
	;; [unrolled: 2-line block ×7, first 2 shown]
	s_cbranch_scc1 .LBB209_68
; %bb.69:
	s_mov_b32 s11, 8
.LBB209_70:
	s_and_b32 s10, s33, 7
	s_cmp_eq_u32 s10, 0
	s_cbranch_scc1 .LBB209_73
; %bb.71:
	s_lshl_b64 s[8:9], s[8:9], 4
	v_lshlrev_b32_e32 v1, 4, v0
	v_add_co_u32_e32 v1, vcc, s8, v1
	s_lshl_b32 s8, s11, 4
	s_add_u32 s8, s22, s8
	v_mov_b32_e32 v2, s9
	s_addc_u32 s9, s23, 0
	s_add_u32 s6, s8, s6
	s_addc_u32 s7, s9, s7
	s_add_u32 s4, s6, s4
	s_addc_u32 s5, s7, s5
	v_addc_co_u32_e32 v4, vcc, 0, v2, vcc
	v_pk_mov_b32 v[2:3], s[4:5], s[4:5] op_sel:[0,1]
	v_mad_u64_u32 v[2:3], s[4:5], v1, s20, v[2:3]
	s_mul_i32 s4, s11, 0xc0
	v_mul_lo_u32 v1, v1, s21
	v_mul_lo_u32 v4, v4, s20
	v_lshl_add_u32 v0, v0, 4, s4
	v_add3_u32 v3, v4, v3, v1
	v_add_u32_e32 v0, 0x900, v0
.LBB209_72:                             ; =>This Inner Loop Header: Depth=1
	ds_read2_b64 v[4:7], v0 offset1:1
	s_add_i32 s10, s10, -1
	v_add_u32_e32 v0, 0xc0, v0
	s_cmp_lg_u32 s10, 0
	s_waitcnt lgkmcnt(0)
	global_store_dwordx4 v[2:3], v[4:7], off
	v_add_co_u32_e32 v2, vcc, 16, v2
	v_addc_co_u32_e32 v3, vcc, 0, v3, vcc
	s_cbranch_scc1 .LBB209_72
.LBB209_73:
	s_endpgm
	.section	.rodata,"a",@progbits
	.p2align	6, 0x0
	.amdhsa_kernel _ZL38rocblas_trsm_small_left_device_sharedBILi12ELi12ELb0E19rocblas_complex_numIdES1_PKS1_PS1_Ev13rocblas_fill_18rocblas_operation_17rocblas_diagonal_iiT3_T4_lilT5_lili
		.amdhsa_group_segment_fixed_size 4608
		.amdhsa_private_segment_fixed_size 208
		.amdhsa_kernarg_size 368
		.amdhsa_user_sgpr_count 8
		.amdhsa_user_sgpr_private_segment_buffer 1
		.amdhsa_user_sgpr_dispatch_ptr 0
		.amdhsa_user_sgpr_queue_ptr 0
		.amdhsa_user_sgpr_kernarg_segment_ptr 1
		.amdhsa_user_sgpr_dispatch_id 0
		.amdhsa_user_sgpr_flat_scratch_init 1
		.amdhsa_user_sgpr_kernarg_preload_length 0
		.amdhsa_user_sgpr_kernarg_preload_offset 0
		.amdhsa_user_sgpr_private_segment_size 0
		.amdhsa_uses_dynamic_stack 0
		.amdhsa_system_sgpr_private_segment_wavefront_offset 1
		.amdhsa_system_sgpr_workgroup_id_x 1
		.amdhsa_system_sgpr_workgroup_id_y 0
		.amdhsa_system_sgpr_workgroup_id_z 1
		.amdhsa_system_sgpr_workgroup_info 0
		.amdhsa_system_vgpr_workitem_id 0
		.amdhsa_next_free_vgpr 54
		.amdhsa_next_free_sgpr 43
		.amdhsa_accum_offset 56
		.amdhsa_reserve_vcc 1
		.amdhsa_reserve_flat_scratch 0
		.amdhsa_float_round_mode_32 0
		.amdhsa_float_round_mode_16_64 0
		.amdhsa_float_denorm_mode_32 3
		.amdhsa_float_denorm_mode_16_64 3
		.amdhsa_dx10_clamp 1
		.amdhsa_ieee_mode 1
		.amdhsa_fp16_overflow 0
		.amdhsa_tg_split 0
		.amdhsa_exception_fp_ieee_invalid_op 0
		.amdhsa_exception_fp_denorm_src 0
		.amdhsa_exception_fp_ieee_div_zero 0
		.amdhsa_exception_fp_ieee_overflow 0
		.amdhsa_exception_fp_ieee_underflow 0
		.amdhsa_exception_fp_ieee_inexact 0
		.amdhsa_exception_int_div_zero 0
	.end_amdhsa_kernel
	.section	.text._ZL38rocblas_trsm_small_left_device_sharedBILi12ELi12ELb0E19rocblas_complex_numIdES1_PKS1_PS1_Ev13rocblas_fill_18rocblas_operation_17rocblas_diagonal_iiT3_T4_lilT5_lili,"axG",@progbits,_ZL38rocblas_trsm_small_left_device_sharedBILi12ELi12ELb0E19rocblas_complex_numIdES1_PKS1_PS1_Ev13rocblas_fill_18rocblas_operation_17rocblas_diagonal_iiT3_T4_lilT5_lili,comdat
.Lfunc_end209:
	.size	_ZL38rocblas_trsm_small_left_device_sharedBILi12ELi12ELb0E19rocblas_complex_numIdES1_PKS1_PS1_Ev13rocblas_fill_18rocblas_operation_17rocblas_diagonal_iiT3_T4_lilT5_lili, .Lfunc_end209-_ZL38rocblas_trsm_small_left_device_sharedBILi12ELi12ELb0E19rocblas_complex_numIdES1_PKS1_PS1_Ev13rocblas_fill_18rocblas_operation_17rocblas_diagonal_iiT3_T4_lilT5_lili
                                        ; -- End function
	.section	.AMDGPU.csdata,"",@progbits
; Kernel info:
; codeLenInByte = 4308
; NumSgprs: 47
; NumVgprs: 54
; NumAgprs: 0
; TotalNumVgprs: 54
; ScratchSize: 208
; MemoryBound: 0
; FloatMode: 240
; IeeeMode: 1
; LDSByteSize: 4608 bytes/workgroup (compile time only)
; SGPRBlocks: 5
; VGPRBlocks: 6
; NumSGPRsForWavesPerEU: 47
; NumVGPRsForWavesPerEU: 54
; AccumOffset: 56
; Occupancy: 4
; WaveLimiterHint : 0
; COMPUTE_PGM_RSRC2:SCRATCH_EN: 1
; COMPUTE_PGM_RSRC2:USER_SGPR: 8
; COMPUTE_PGM_RSRC2:TRAP_HANDLER: 0
; COMPUTE_PGM_RSRC2:TGID_X_EN: 1
; COMPUTE_PGM_RSRC2:TGID_Y_EN: 0
; COMPUTE_PGM_RSRC2:TGID_Z_EN: 1
; COMPUTE_PGM_RSRC2:TIDIG_COMP_CNT: 0
; COMPUTE_PGM_RSRC3_GFX90A:ACCUM_OFFSET: 13
; COMPUTE_PGM_RSRC3_GFX90A:TG_SPLIT: 0
	.section	.text._ZL30rocblas_trsm_small_left_deviceILi12ELi12ELb0E19rocblas_complex_numIdES1_PKS1_PS1_Ev13rocblas_fill_18rocblas_operation_17rocblas_diagonal_iiT3_T4_lilT5_lili,"axG",@progbits,_ZL30rocblas_trsm_small_left_deviceILi12ELi12ELb0E19rocblas_complex_numIdES1_PKS1_PS1_Ev13rocblas_fill_18rocblas_operation_17rocblas_diagonal_iiT3_T4_lilT5_lili,comdat
	.globl	_ZL30rocblas_trsm_small_left_deviceILi12ELi12ELb0E19rocblas_complex_numIdES1_PKS1_PS1_Ev13rocblas_fill_18rocblas_operation_17rocblas_diagonal_iiT3_T4_lilT5_lili ; -- Begin function _ZL30rocblas_trsm_small_left_deviceILi12ELi12ELb0E19rocblas_complex_numIdES1_PKS1_PS1_Ev13rocblas_fill_18rocblas_operation_17rocblas_diagonal_iiT3_T4_lilT5_lili
	.p2align	8
	.type	_ZL30rocblas_trsm_small_left_deviceILi12ELi12ELb0E19rocblas_complex_numIdES1_PKS1_PS1_Ev13rocblas_fill_18rocblas_operation_17rocblas_diagonal_iiT3_T4_lilT5_lili,@function
_ZL30rocblas_trsm_small_left_deviceILi12ELi12ELb0E19rocblas_complex_numIdES1_PKS1_PS1_Ev13rocblas_fill_18rocblas_operation_17rocblas_diagonal_iiT3_T4_lilT5_lili: ; @_ZL30rocblas_trsm_small_left_deviceILi12ELi12ELb0E19rocblas_complex_numIdES1_PKS1_PS1_Ev13rocblas_fill_18rocblas_operation_17rocblas_diagonal_iiT3_T4_lilT5_lili
; %bb.0:
	s_add_u32 s0, s0, s10
	s_load_dwordx4 s[24:27], s[4:5], 0x4
	s_load_dwordx8 s[12:19], s[4:5], 0x18
	s_load_dwordx4 s[20:23], s[4:5], 0x40
	s_load_dwordx2 s[10:11], s[4:5], 0x50
	s_load_dword s39, s[4:5], 0x70
	s_addc_u32 s1, s1, 0
	s_waitcnt lgkmcnt(0)
	s_min_i32 s38, s26, 12
	s_mov_b32 s40, 0
	s_add_i32 s33, s38, -1
	v_cmp_gt_i32_e32 vcc, s38, v0
	s_and_saveexec_b64 s[28:29], vcc
	s_cbranch_execz .LBB210_15
; %bb.1:
	s_load_dword s30, s[4:5], 0x38
	v_lshlrev_b32_e32 v1, 4, v0
	s_mul_i32 s26, s21, s9
	s_mul_hi_u32 s41, s20, s9
	s_mul_i32 s20, s20, s9
	s_waitcnt lgkmcnt(0)
	s_ashr_i32 s31, s30, 31
	s_cmpk_eq_i32 s24, 0x71
	s_cselect_b64 vcc, -1, 0
	s_cmp_lt_u32 s33, 3
	s_cbranch_scc1 .LBB210_4
; %bb.2:
	s_add_i32 s21, s41, s26
	s_and_b32 s40, s38, -4
	s_lshl_b64 s[6:7], s[20:21], 4
	s_lshl_b64 s[34:35], s[18:19], 4
	s_add_u32 s6, s6, s34
	s_addc_u32 s7, s7, s35
	s_add_u32 s6, s16, s6
	v_lshlrev_b32_e32 v2, 4, v0
	s_addc_u32 s7, s17, s7
	v_mov_b32_e32 v3, s7
	v_add_co_u32_e64 v2, s[6:7], s6, v2
	v_addc_co_u32_e64 v3, s[6:7], 0, v3, s[6:7]
	v_add_co_u32_e64 v2, s[6:7], 8, v2
	s_lshl_b64 s[34:35], s[30:31], 6
	s_lshl_b64 s[36:37], s[30:31], 4
	v_addc_co_u32_e64 v3, s[6:7], 0, v3, s[6:7]
	s_mov_b32 s21, 0
	v_mov_b32_e32 v4, s37
	v_mov_b32_e32 v5, s35
	;; [unrolled: 1-line block ×3, first 2 shown]
.LBB210_3:                              ; =>This Inner Loop Header: Depth=1
	v_add_co_u32_e64 v20, s[6:7], s36, v2
	v_addc_co_u32_e64 v21, s[6:7], v3, v4, s[6:7]
	v_add_co_u32_e64 v22, s[6:7], s36, v20
	global_load_dwordx4 v[8:11], v[2:3], off offset:-8
	v_addc_co_u32_e64 v23, s[6:7], v21, v4, s[6:7]
	global_load_dwordx4 v[12:15], v[20:21], off offset:-8
	global_load_dwordx4 v[16:19], v[22:23], off offset:-8
	v_add_co_u32_e64 v20, s[6:7], s36, v22
	v_addc_co_u32_e64 v21, s[6:7], v23, v4, s[6:7]
	global_load_dwordx4 v[20:23], v[20:21], off offset:-8
	s_add_i32 s21, s21, 4
	v_add_co_u32_e64 v2, s[6:7], s34, v2
	s_cmp_eq_u32 s40, s21
	v_addc_co_u32_e64 v3, s[6:7], v3, v5, s[6:7]
	s_waitcnt vmcnt(3)
	v_xor_b32_e32 v7, 0x80000000, v11
	v_cndmask_b32_e32 v11, v11, v7, vcc
	s_waitcnt vmcnt(2)
	v_xor_b32_e32 v7, 0x80000000, v15
	v_cndmask_b32_e32 v15, v15, v7, vcc
	;; [unrolled: 3-line block ×3, first 2 shown]
	ds_write_b128 v6, v[8:11]
	ds_write_b128 v6, v[12:15] offset:192
	s_waitcnt vmcnt(0)
	v_xor_b32_e32 v7, 0x80000000, v23
	v_cndmask_b32_e32 v23, v23, v7, vcc
	ds_write_b128 v6, v[16:19] offset:384
	ds_write_b128 v6, v[20:23] offset:576
	v_add_u32_e32 v6, 0x300, v6
	s_cbranch_scc0 .LBB210_3
.LBB210_4:
	s_and_b32 s34, s38, 3
	s_cmp_eq_u32 s34, 0
	s_cbranch_scc1 .LBB210_7
; %bb.5:
	s_mul_i32 s6, s40, 0xc0
	s_add_i32 s21, s41, s26
	v_lshl_add_u32 v4, v0, 4, s6
	s_lshl_b64 s[6:7], s[20:21], 4
	s_mul_i32 s20, s31, s40
	s_mul_hi_u32 s21, s30, s40
	s_add_i32 s21, s21, s20
	s_mul_i32 s20, s30, s40
	s_lshl_b64 s[20:21], s[20:21], 4
	s_add_u32 s20, s6, s20
	s_addc_u32 s21, s7, s21
	s_lshl_b64 s[6:7], s[18:19], 4
	s_add_u32 s6, s20, s6
	s_addc_u32 s7, s21, s7
	s_add_u32 s6, s16, s6
	s_addc_u32 s7, s17, s7
	v_mov_b32_e32 v2, s7
	v_add_co_u32_e64 v1, s[6:7], s6, v1
	v_addc_co_u32_e64 v3, s[6:7], 0, v2, s[6:7]
	v_add_co_u32_e64 v2, s[6:7], 8, v1
	s_lshl_b64 s[16:17], s[30:31], 4
	v_addc_co_u32_e64 v3, s[6:7], 0, v3, s[6:7]
	v_mov_b32_e32 v1, s17
.LBB210_6:                              ; =>This Inner Loop Header: Depth=1
	global_load_dwordx4 v[6:9], v[2:3], off offset:-8
	v_add_co_u32_e64 v2, s[6:7], s16, v2
	s_add_i32 s34, s34, -1
	v_addc_co_u32_e64 v3, s[6:7], v3, v1, s[6:7]
	s_cmp_lg_u32 s34, 0
	s_waitcnt vmcnt(0)
	v_xor_b32_e32 v5, 0x80000000, v9
	v_cndmask_b32_e32 v9, v9, v5, vcc
	ds_write_b128 v4, v[6:9]
	v_add_u32_e32 v4, 0xc0, v4
	s_cbranch_scc1 .LBB210_6
.LBB210_7:
	v_mul_u32_u24_e32 v1, 13, v0
	s_cmpk_lg_i32 s25, 0x84
	v_lshlrev_b32_e32 v1, 4, v1
	s_cbranch_scc0 .LBB210_13
; %bb.8:
	ds_read_b128 v[2:5], v1
	s_waitcnt lgkmcnt(0)
	v_xor_b32_e32 v7, 0x80000000, v3
	v_cmp_gt_f64_e32 vcc, 0, v[2:3]
	v_xor_b32_e32 v8, 0x80000000, v5
	v_cndmask_b32_e32 v7, v3, v7, vcc
	v_cmp_gt_f64_e32 vcc, 0, v[4:5]
	v_mov_b32_e32 v6, v2
	v_cndmask_b32_e32 v9, v5, v8, vcc
	v_mov_b32_e32 v8, v4
	v_cmp_ngt_f64_e32 vcc, v[6:7], v[8:9]
                                        ; implicit-def: $vgpr8_vgpr9
	s_and_saveexec_b64 s[6:7], vcc
	s_xor_b64 s[6:7], exec, s[6:7]
	s_cbranch_execz .LBB210_10
; %bb.9:
	v_div_scale_f64 v[6:7], s[16:17], v[4:5], v[4:5], v[2:3]
	v_rcp_f64_e32 v[8:9], v[6:7]
	v_div_scale_f64 v[10:11], vcc, v[2:3], v[4:5], v[2:3]
	v_fma_f64 v[12:13], -v[6:7], v[8:9], 1.0
	v_fmac_f64_e32 v[8:9], v[8:9], v[12:13]
	v_fma_f64 v[12:13], -v[6:7], v[8:9], 1.0
	v_fmac_f64_e32 v[8:9], v[8:9], v[12:13]
	v_mul_f64 v[12:13], v[10:11], v[8:9]
	v_fma_f64 v[6:7], -v[6:7], v[12:13], v[10:11]
	v_div_fmas_f64 v[6:7], v[6:7], v[8:9], v[12:13]
	v_div_fixup_f64 v[8:9], v[6:7], v[4:5], v[2:3]
	v_fmac_f64_e32 v[4:5], v[2:3], v[8:9]
	v_div_scale_f64 v[2:3], s[16:17], v[4:5], v[4:5], 1.0
	v_rcp_f64_e32 v[6:7], v[2:3]
	v_fma_f64 v[10:11], -v[2:3], v[6:7], 1.0
	v_fmac_f64_e32 v[6:7], v[6:7], v[10:11]
	v_fma_f64 v[10:11], -v[2:3], v[6:7], 1.0
	v_fmac_f64_e32 v[6:7], v[6:7], v[10:11]
	v_div_scale_f64 v[10:11], vcc, 1.0, v[4:5], 1.0
	v_mul_f64 v[12:13], v[10:11], v[6:7]
	v_fma_f64 v[2:3], -v[2:3], v[12:13], v[10:11]
	s_nop 1
	v_div_fmas_f64 v[2:3], v[2:3], v[6:7], v[12:13]
	v_div_fixup_f64 v[2:3], v[2:3], v[4:5], 1.0
	v_add_f64 v[4:5], v[8:9], 0
	v_mul_f64 v[6:7], v[4:5], v[2:3]
	v_fma_f64 v[4:5], v[8:9], 0, -1.0
	v_mul_f64 v[8:9], v[4:5], v[2:3]
                                        ; implicit-def: $vgpr2_vgpr3
.LBB210_10:
	s_andn2_saveexec_b64 s[6:7], s[6:7]
	s_cbranch_execz .LBB210_12
; %bb.11:
	v_div_scale_f64 v[6:7], s[16:17], v[2:3], v[2:3], v[4:5]
	v_rcp_f64_e32 v[8:9], v[6:7]
	v_div_scale_f64 v[10:11], vcc, v[4:5], v[2:3], v[4:5]
	v_fma_f64 v[12:13], -v[6:7], v[8:9], 1.0
	v_fmac_f64_e32 v[8:9], v[8:9], v[12:13]
	v_fma_f64 v[12:13], -v[6:7], v[8:9], 1.0
	v_fmac_f64_e32 v[8:9], v[8:9], v[12:13]
	v_mul_f64 v[12:13], v[10:11], v[8:9]
	v_fma_f64 v[6:7], -v[6:7], v[12:13], v[10:11]
	v_div_fmas_f64 v[6:7], v[6:7], v[8:9], v[12:13]
	v_div_fixup_f64 v[8:9], v[6:7], v[2:3], v[4:5]
	v_fmac_f64_e32 v[2:3], v[4:5], v[8:9]
	v_div_scale_f64 v[4:5], s[16:17], v[2:3], v[2:3], 1.0
	v_rcp_f64_e32 v[6:7], v[4:5]
	v_fma_f64 v[10:11], -v[4:5], v[6:7], 1.0
	v_fmac_f64_e32 v[6:7], v[6:7], v[10:11]
	v_fma_f64 v[10:11], -v[4:5], v[6:7], 1.0
	v_fmac_f64_e32 v[6:7], v[6:7], v[10:11]
	v_div_scale_f64 v[10:11], vcc, 1.0, v[2:3], 1.0
	v_mul_f64 v[12:13], v[10:11], v[6:7]
	v_fma_f64 v[4:5], -v[4:5], v[12:13], v[10:11]
	s_nop 1
	v_div_fmas_f64 v[4:5], v[4:5], v[6:7], v[12:13]
	v_div_fixup_f64 v[2:3], v[4:5], v[2:3], 1.0
	v_fma_f64 v[4:5], v[8:9], 0, 1.0
	v_mul_f64 v[6:7], v[4:5], v[2:3]
	v_add_f64 v[4:5], -v[8:9], 0
	v_mul_f64 v[8:9], v[4:5], v[2:3]
.LBB210_12:
	s_or_b64 exec, exec, s[6:7]
	s_branch .LBB210_14
.LBB210_13:
	v_mov_b32_e32 v6, 0
	v_mov_b32_e32 v7, 0x3ff00000
	v_pk_mov_b32 v[8:9], 0, 0
.LBB210_14:
	ds_write_b128 v1, v[6:9]
.LBB210_15:
	s_or_b64 exec, exec, s[28:29]
	s_mul_i32 s6, s8, -12
	s_add_i32 s39, s39, -1
	s_add_i32 s6, s6, s27
	s_cmp_ge_u32 s8, s39
	s_cselect_b32 s6, s6, 12
	v_cmp_gt_i32_e32 vcc, s6, v0
	s_waitcnt lgkmcnt(0)
	; wave barrier
	s_waitcnt lgkmcnt(0)
	s_and_saveexec_b64 s[6:7], vcc
	s_cbranch_execz .LBB210_58
; %bb.16:
	s_load_dwordx2 s[6:7], s[4:5], 0x60
	s_load_dword s16, s[4:5], 0x58
	s_waitcnt lgkmcnt(0)
	s_mul_i32 s5, s9, s7
	s_mul_hi_u32 s7, s9, s6
	s_mul_i32 s4, s9, s6
	s_add_i32 s5, s7, s5
	s_lshl_b64 s[4:5], s[4:5], 4
	s_add_u32 s9, s22, s4
	s_addc_u32 s17, s23, s5
	s_lshl_b64 s[6:7], s[10:11], 4
	s_add_u32 s10, s9, s6
	v_mad_u64_u32 v[0:1], s[8:9], s8, 12, v[0:1]
	v_mad_i64_i32 v[0:1], s[8:9], s16, v0, 0
	s_addc_u32 s11, s17, s7
	v_lshlrev_b64 v[4:5], 4, v[0:1]
	v_mov_b32_e32 v0, s11
	v_add_co_u32_e32 v8, vcc, s10, v4
	v_addc_co_u32_e32 v9, vcc, v0, v5, vcc
	s_cmpk_eq_i32 s24, 0x6f
	s_mov_b64 s[8:9], -1
	s_cbranch_scc1 .LBB210_38
; %bb.17:
	s_add_u32 s8, s22, s6
	s_addc_u32 s9, s23, s7
	s_add_u32 s8, s8, s4
	s_addc_u32 s9, s9, s5
	v_mov_b32_e32 v0, s9
	v_add_co_u32_e32 v1, vcc, s8, v4
	v_addc_co_u32_e32 v0, vcc, v0, v5, vcc
	v_add_co_u32_e32 v10, vcc, 8, v1
	s_mov_b32 s9, 0
	v_addc_co_u32_e32 v11, vcc, 0, v0, vcc
	v_mov_b32_e32 v12, 0
	s_mov_b32 s10, s9
	s_mov_b32 s16, s9
	s_branch .LBB210_19
.LBB210_18:                             ;   in Loop: Header=BB210_19 Depth=1
	s_cmp_ge_i32 s16, s38
	s_cselect_b64 s[18:19], -1, 0
	s_add_i32 s10, s10, 1
	s_cmp_eq_u32 s10, 3
	s_cselect_b64 s[20:21], -1, 0
	s_or_b64 s[18:19], s[18:19], s[20:21]
	s_andn2_b64 vcc, exec, s[18:19]
	s_cbranch_vccz .LBB210_37
.LBB210_19:                             ; =>This Loop Header: Depth=1
                                        ;     Child Loop BB210_22 Depth 2
                                        ;       Child Loop BB210_23 Depth 3
                                        ;       Child Loop BB210_26 Depth 3
                                        ;         Child Loop BB210_27 Depth 4
                                        ;       Child Loop BB210_31 Depth 3
                                        ;         Child Loop BB210_33 Depth 4
	s_mov_b32 s11, s9
	s_lshl_b64 s[18:19], s[10:11], 2
	s_getpc_b64 s[20:21]
	s_add_u32 s20, s20, __const._ZL30rocblas_trsm_small_left_deviceILi12ELi12ELb0E19rocblas_complex_numIdES1_PKS1_PS1_Ev13rocblas_fill_18rocblas_operation_17rocblas_diagonal_iiT3_T4_lilT5_lili.step_sizes@rel32@lo+4
	s_addc_u32 s21, s21, __const._ZL30rocblas_trsm_small_left_deviceILi12ELi12ELb0E19rocblas_complex_numIdES1_PKS1_PS1_Ev13rocblas_fill_18rocblas_operation_17rocblas_diagonal_iiT3_T4_lilT5_lili.step_sizes@rel32@hi+12
	s_add_u32 s18, s18, s20
	s_addc_u32 s19, s19, s21
	s_load_dword s18, s[18:19], 0x0
	s_waitcnt lgkmcnt(0)
	s_add_i32 s11, s18, -1
	s_add_i32 s8, s11, s16
	s_cmp_ge_i32 s8, s38
	s_cbranch_scc1 .LBB210_18
; %bb.20:                               ;   in Loop: Header=BB210_19 Depth=1
	s_ashr_i32 s17, s16, 31
	s_lshl_b64 s[20:21], s[16:17], 4
	v_mov_b32_e32 v0, s21
	v_add_co_u32_e32 v6, vcc, s20, v10
	s_ashr_i32 s19, s18, 31
	s_max_i32 s28, s18, 1
	v_addc_co_u32_e32 v7, vcc, v11, v0, vcc
	s_lshl_b64 s[20:21], s[18:19], 4
	s_mul_i32 s17, s16, 0xc0
	s_mul_i32 s19, s18, 0xc0
	;; [unrolled: 1-line block ×4, first 2 shown]
	s_branch .LBB210_22
.LBB210_21:                             ;   in Loop: Header=BB210_22 Depth=2
	s_add_i32 s16, s16, s18
	s_add_i32 s8, s11, s16
	v_mov_b32_e32 v0, s21
	s_add_i32 s17, s17, s19
	s_add_i32 s29, s29, s30
	v_add_co_u32_e32 v6, vcc, s20, v6
	s_cmp_ge_i32 s8, s38
	v_addc_co_u32_e32 v7, vcc, v7, v0, vcc
	s_cbranch_scc1 .LBB210_18
.LBB210_22:                             ;   Parent Loop BB210_19 Depth=1
                                        ; =>  This Loop Header: Depth=2
                                        ;       Child Loop BB210_23 Depth 3
                                        ;       Child Loop BB210_26 Depth 3
                                        ;         Child Loop BB210_27 Depth 4
                                        ;       Child Loop BB210_31 Depth 3
                                        ;         Child Loop BB210_33 Depth 4
	v_mov_b32_e32 v2, 0
	v_pk_mov_b32 v[0:1], v[6:7], v[6:7] op_sel:[0,1]
	s_mov_b32 s8, s28
.LBB210_23:                             ;   Parent Loop BB210_19 Depth=1
                                        ;     Parent Loop BB210_22 Depth=2
                                        ; =>    This Inner Loop Header: Depth=3
	global_load_dwordx4 v[14:17], v[0:1], off offset:-8
	s_add_i32 s8, s8, -1
	v_add_co_u32_e32 v0, vcc, 16, v0
	v_addc_co_u32_e32 v1, vcc, 0, v1, vcc
	s_cmp_eq_u32 s8, 0
	s_waitcnt vmcnt(0)
	v_mul_f64 v[18:19], s[14:15], v[16:17]
	v_mul_f64 v[16:17], s[12:13], v[16:17]
	v_fma_f64 v[18:19], s[12:13], v[14:15], -v[18:19]
	v_fmac_f64_e32 v[16:17], s[14:15], v[14:15]
	buffer_store_dword v19, v2, s[0:3], 0 offen offset:4
	buffer_store_dword v18, v2, s[0:3], 0 offen
	buffer_store_dword v17, v2, s[0:3], 0 offen offset:12
	buffer_store_dword v16, v2, s[0:3], 0 offen offset:8
	v_add_u32_e32 v2, 16, v2
	s_cbranch_scc0 .LBB210_23
; %bb.24:                               ;   in Loop: Header=BB210_22 Depth=2
	s_cmp_lt_i32 s16, 1
	s_cbranch_scc1 .LBB210_29
; %bb.25:                               ;   in Loop: Header=BB210_22 Depth=2
	s_mov_b32 s8, 0
	s_mov_b32 s24, s17
.LBB210_26:                             ;   Parent Loop BB210_19 Depth=1
                                        ;     Parent Loop BB210_22 Depth=2
                                        ; =>    This Loop Header: Depth=3
                                        ;         Child Loop BB210_27 Depth 4
	s_lshl_b64 s[26:27], s[8:9], 4
	v_mov_b32_e32 v1, s27
	v_add_co_u32_e32 v0, vcc, s26, v8
	v_addc_co_u32_e32 v1, vcc, v9, v1, vcc
	global_load_dwordx4 v[0:3], v[0:1], off
	v_mov_b32_e32 v13, 0
	s_mov_b32 s25, s24
	s_mov_b32 s26, s28
.LBB210_27:                             ;   Parent Loop BB210_19 Depth=1
                                        ;     Parent Loop BB210_22 Depth=2
                                        ;       Parent Loop BB210_26 Depth=3
                                        ; =>      This Inner Loop Header: Depth=4
	buffer_load_dword v18, v13, s[0:3], 0 offen
	buffer_load_dword v19, v13, s[0:3], 0 offen offset:4
	buffer_load_dword v20, v13, s[0:3], 0 offen offset:8
	;; [unrolled: 1-line block ×3, first 2 shown]
	v_mov_b32_e32 v14, s25
	ds_read_b128 v[14:17], v14
	s_add_i32 s26, s26, -1
	s_addk_i32 s25, 0xc0
	s_cmp_eq_u32 s26, 0
	s_waitcnt vmcnt(4) lgkmcnt(0)
	v_mul_f64 v[22:23], v[2:3], v[16:17]
	v_mul_f64 v[16:17], v[0:1], v[16:17]
	v_fma_f64 v[22:23], v[0:1], v[14:15], -v[22:23]
	v_fmac_f64_e32 v[16:17], v[2:3], v[14:15]
	s_waitcnt vmcnt(2)
	v_add_f64 v[14:15], v[18:19], -v[22:23]
	s_waitcnt vmcnt(0)
	v_add_f64 v[16:17], v[20:21], -v[16:17]
	buffer_store_dword v14, v13, s[0:3], 0 offen
	buffer_store_dword v15, v13, s[0:3], 0 offen offset:4
	buffer_store_dword v16, v13, s[0:3], 0 offen offset:8
	;; [unrolled: 1-line block ×3, first 2 shown]
	v_add_u32_e32 v13, 16, v13
	s_cbranch_scc0 .LBB210_27
; %bb.28:                               ;   in Loop: Header=BB210_26 Depth=3
	s_add_i32 s8, s8, 1
	s_add_i32 s24, s24, 16
	s_cmp_ge_i32 s8, s16
	s_cbranch_scc0 .LBB210_26
.LBB210_29:                             ;   in Loop: Header=BB210_22 Depth=2
	s_mov_b32 s8, 0
	s_mov_b32 s31, s29
	s_branch .LBB210_31
.LBB210_30:                             ;   in Loop: Header=BB210_31 Depth=3
	s_mul_i32 s25, s24, 0xd0
	v_mov_b32_e32 v13, s25
	ds_read_b128 v[14:17], v13
	s_lshl_b32 s25, s8, 4
	v_add_u32_e32 v13, s25, v12
	s_ashr_i32 s25, s24, 31
	s_lshl_b64 s[24:25], s[24:25], 4
	s_waitcnt vmcnt(0) lgkmcnt(0)
	v_mul_f64 v[18:19], v[16:17], v[2:3]
	v_mul_f64 v[20:21], v[14:15], v[2:3]
	v_fma_f64 v[18:19], v[14:15], v[0:1], -v[18:19]
	v_fmac_f64_e32 v[20:21], v[16:17], v[0:1]
	v_mov_b32_e32 v1, s25
	v_add_co_u32_e32 v0, vcc, s24, v8
	s_add_i32 s8, s8, 1
	s_addk_i32 s31, 0xc0
	v_addc_co_u32_e32 v1, vcc, v9, v1, vcc
	s_cmp_eq_u32 s8, s28
	buffer_store_dword v19, v13, s[0:3], 0 offen offset:4
	buffer_store_dword v18, v13, s[0:3], 0 offen
	buffer_store_dword v21, v13, s[0:3], 0 offen offset:12
	buffer_store_dword v20, v13, s[0:3], 0 offen offset:8
	global_store_dwordx4 v[0:1], v[18:21], off
	s_cbranch_scc1 .LBB210_21
.LBB210_31:                             ;   Parent Loop BB210_19 Depth=1
                                        ;     Parent Loop BB210_22 Depth=2
                                        ; =>    This Loop Header: Depth=3
                                        ;         Child Loop BB210_33 Depth 4
	s_cmp_lg_u32 s8, 0
	s_cbranch_scc0 .LBB210_35
; %bb.32:                               ;   in Loop: Header=BB210_31 Depth=3
	s_lshl_b32 s24, s8, 4
	v_add_u32_e32 v13, s24, v12
	buffer_load_dword v0, v13, s[0:3], 0 offen
	buffer_load_dword v1, v13, s[0:3], 0 offen offset:4
	buffer_load_dword v2, v13, s[0:3], 0 offen offset:8
	;; [unrolled: 1-line block ×3, first 2 shown]
	s_add_i32 s24, s8, s16
	v_mov_b32_e32 v14, 0
	s_mov_b32 s25, 0
	s_mov_b32 s26, s31
.LBB210_33:                             ;   Parent Loop BB210_19 Depth=1
                                        ;     Parent Loop BB210_22 Depth=2
                                        ;       Parent Loop BB210_31 Depth=3
                                        ; =>      This Inner Loop Header: Depth=4
	buffer_load_dword v20, v14, s[0:3], 0 offen offset:8
	buffer_load_dword v21, v14, s[0:3], 0 offen offset:12
	buffer_load_dword v22, v14, s[0:3], 0 offen
	buffer_load_dword v23, v14, s[0:3], 0 offen offset:4
	v_mov_b32_e32 v15, s26
	ds_read_b128 v[16:19], v15
	s_add_i32 s25, s25, 1
	s_add_i32 s26, s26, 16
	v_add_u32_e32 v14, 16, v14
	s_cmp_ge_u32 s25, s8
	s_waitcnt vmcnt(2) lgkmcnt(0)
	v_mul_f64 v[24:25], v[18:19], v[20:21]
	v_mul_f64 v[20:21], v[16:17], v[20:21]
	s_waitcnt vmcnt(0)
	v_fma_f64 v[16:17], v[16:17], v[22:23], -v[24:25]
	v_fmac_f64_e32 v[20:21], v[18:19], v[22:23]
	v_add_f64 v[0:1], v[0:1], -v[16:17]
	v_add_f64 v[2:3], v[2:3], -v[20:21]
	buffer_store_dword v0, v13, s[0:3], 0 offen
	buffer_store_dword v1, v13, s[0:3], 0 offen offset:4
	buffer_store_dword v2, v13, s[0:3], 0 offen offset:8
	;; [unrolled: 1-line block ×3, first 2 shown]
	s_cbranch_scc0 .LBB210_33
; %bb.34:                               ;   in Loop: Header=BB210_31 Depth=3
	s_branch .LBB210_30
.LBB210_35:                             ;   in Loop: Header=BB210_31 Depth=3
                                        ; implicit-def: $vgpr0_vgpr1
                                        ; implicit-def: $vgpr2_vgpr3
                                        ; implicit-def: $sgpr24
	s_cbranch_execz .LBB210_30
; %bb.36:                               ;   in Loop: Header=BB210_31 Depth=3
	buffer_load_dword v0, off, s[0:3], 0
	buffer_load_dword v1, off, s[0:3], 0 offset:4
	buffer_load_dword v2, off, s[0:3], 0 offset:8
	;; [unrolled: 1-line block ×3, first 2 shown]
	s_mov_b32 s24, s16
	s_branch .LBB210_30
.LBB210_37:
	s_mov_b64 s[8:9], 0
.LBB210_38:
	s_and_b64 vcc, exec, s[8:9]
	s_cbranch_vccz .LBB210_58
; %bb.39:
	s_add_u32 s6, s22, s6
	s_addc_u32 s7, s23, s7
	s_add_u32 s4, s6, s4
	s_addc_u32 s5, s7, s5
	v_mov_b32_e32 v0, s5
	v_add_co_u32_e32 v1, vcc, s4, v4
	v_addc_co_u32_e32 v0, vcc, v0, v5, vcc
	v_add_co_u32_e32 v4, vcc, 8, v1
	s_mul_i32 s18, s38, 0xc0
	s_mov_b32 s5, 0
	v_addc_co_u32_e32 v5, vcc, 0, v0, vcc
	s_addk_i32 s18, 0xff40
	v_mov_b32_e32 v6, 0
	s_mov_b32 s6, s33
	s_mov_b32 s4, s5
	s_branch .LBB210_41
.LBB210_40:                             ;   in Loop: Header=BB210_41 Depth=1
	s_cmp_lt_i32 s6, 0
	s_cselect_b64 s[8:9], -1, 0
	s_add_i32 s4, s4, 1
	s_cmp_eq_u32 s4, 3
	s_cselect_b64 s[10:11], -1, 0
	s_or_b64 s[8:9], s[8:9], s[10:11]
	s_and_b64 vcc, exec, s[8:9]
	s_cbranch_vccnz .LBB210_58
.LBB210_41:                             ; =>This Loop Header: Depth=1
                                        ;     Child Loop BB210_44 Depth 2
                                        ;       Child Loop BB210_45 Depth 3
                                        ;       Child Loop BB210_47 Depth 3
                                        ;         Child Loop BB210_48 Depth 4
                                        ;       Child Loop BB210_52 Depth 3
                                        ;         Child Loop BB210_54 Depth 4
	s_lshl_b64 s[8:9], s[4:5], 2
	s_getpc_b64 s[10:11]
	s_add_u32 s10, s10, __const._ZL30rocblas_trsm_small_left_deviceILi12ELi12ELb0E19rocblas_complex_numIdES1_PKS1_PS1_Ev13rocblas_fill_18rocblas_operation_17rocblas_diagonal_iiT3_T4_lilT5_lili.step_sizes@rel32@lo+4
	s_addc_u32 s11, s11, __const._ZL30rocblas_trsm_small_left_deviceILi12ELi12ELb0E19rocblas_complex_numIdES1_PKS1_PS1_Ev13rocblas_fill_18rocblas_operation_17rocblas_diagonal_iiT3_T4_lilT5_lili.step_sizes@rel32@hi+12
	s_add_u32 s8, s8, s10
	s_addc_u32 s9, s9, s11
	s_load_dword s19, s[8:9], 0x0
	s_waitcnt lgkmcnt(0)
	s_add_i32 s20, s19, -1
	s_cmp_lt_i32 s6, s20
	s_cbranch_scc1 .LBB210_40
; %bb.42:                               ;   in Loop: Header=BB210_41 Depth=1
	s_lshl_b32 s7, s6, 4
	s_add_i32 s22, s18, s7
	s_lshl_b32 s7, s19, 4
	s_max_i32 s21, s19, 1
	s_sub_i32 s23, 0, s7
	s_mul_i32 s24, s6, 0xd0
	s_mul_i32 s25, s19, 0xffffff30
	s_branch .LBB210_44
.LBB210_43:                             ;   in Loop: Header=BB210_44 Depth=2
	s_sub_i32 s6, s6, s19
	s_add_i32 s22, s22, s23
	s_add_i32 s24, s24, s25
	s_cmp_lt_i32 s6, s20
	s_cbranch_scc1 .LBB210_40
.LBB210_44:                             ;   Parent Loop BB210_41 Depth=1
                                        ; =>  This Loop Header: Depth=2
                                        ;       Child Loop BB210_45 Depth 3
                                        ;       Child Loop BB210_47 Depth 3
                                        ;         Child Loop BB210_48 Depth 4
                                        ;       Child Loop BB210_52 Depth 3
                                        ;         Child Loop BB210_54 Depth 4
	s_ashr_i32 s7, s6, 31
	s_lshl_b64 s[8:9], s[6:7], 4
	v_mov_b32_e32 v1, s9
	v_add_co_u32_e32 v0, vcc, s8, v4
	v_addc_co_u32_e32 v1, vcc, v5, v1, vcc
	v_mov_b32_e32 v2, 0
	s_mov_b32 s8, s21
.LBB210_45:                             ;   Parent Loop BB210_41 Depth=1
                                        ;     Parent Loop BB210_44 Depth=2
                                        ; =>    This Inner Loop Header: Depth=3
	global_load_dwordx4 v[10:13], v[0:1], off offset:-8
	s_add_i32 s8, s8, -1
	v_add_co_u32_e32 v0, vcc, -16, v0
	v_addc_co_u32_e32 v1, vcc, -1, v1, vcc
	s_cmp_eq_u32 s8, 0
	s_waitcnt vmcnt(0)
	v_mul_f64 v[14:15], s[14:15], v[12:13]
	v_mul_f64 v[12:13], s[12:13], v[12:13]
	v_fma_f64 v[14:15], s[12:13], v[10:11], -v[14:15]
	v_fmac_f64_e32 v[12:13], s[14:15], v[10:11]
	buffer_store_dword v15, v2, s[0:3], 0 offen offset:4
	buffer_store_dword v14, v2, s[0:3], 0 offen
	buffer_store_dword v13, v2, s[0:3], 0 offen offset:12
	buffer_store_dword v12, v2, s[0:3], 0 offen offset:8
	v_add_u32_e32 v2, 16, v2
	s_cbranch_scc0 .LBB210_45
; %bb.46:                               ;   in Loop: Header=BB210_44 Depth=2
	s_cmp_le_i32 s33, s6
	s_mov_b32 s10, s22
	s_mov_b32 s8, s33
	s_cbranch_scc1 .LBB210_50
.LBB210_47:                             ;   Parent Loop BB210_41 Depth=1
                                        ;     Parent Loop BB210_44 Depth=2
                                        ; =>    This Loop Header: Depth=3
                                        ;         Child Loop BB210_48 Depth 4
	s_ashr_i32 s9, s8, 31
	s_lshl_b64 s[16:17], s[8:9], 4
	v_mov_b32_e32 v1, s17
	v_add_co_u32_e32 v0, vcc, s16, v8
	v_addc_co_u32_e32 v1, vcc, v9, v1, vcc
	global_load_dwordx4 v[0:3], v[0:1], off
	v_mov_b32_e32 v7, 0
	s_mov_b32 s9, s21
	s_mov_b32 s11, s10
.LBB210_48:                             ;   Parent Loop BB210_41 Depth=1
                                        ;     Parent Loop BB210_44 Depth=2
                                        ;       Parent Loop BB210_47 Depth=3
                                        ; =>      This Inner Loop Header: Depth=4
	buffer_load_dword v14, v7, s[0:3], 0 offen
	buffer_load_dword v15, v7, s[0:3], 0 offen offset:4
	buffer_load_dword v16, v7, s[0:3], 0 offen offset:8
	;; [unrolled: 1-line block ×3, first 2 shown]
	v_mov_b32_e32 v10, s11
	ds_read_b128 v[10:13], v10
	s_add_i32 s11, s11, -16
	s_add_i32 s9, s9, -1
	s_cmp_eq_u32 s9, 0
	s_waitcnt vmcnt(4) lgkmcnt(0)
	v_mul_f64 v[18:19], v[2:3], v[12:13]
	v_mul_f64 v[12:13], v[0:1], v[12:13]
	v_fma_f64 v[18:19], v[0:1], v[10:11], -v[18:19]
	v_fmac_f64_e32 v[12:13], v[2:3], v[10:11]
	s_waitcnt vmcnt(2)
	v_add_f64 v[10:11], v[14:15], -v[18:19]
	s_waitcnt vmcnt(0)
	v_add_f64 v[12:13], v[16:17], -v[12:13]
	buffer_store_dword v10, v7, s[0:3], 0 offen
	buffer_store_dword v11, v7, s[0:3], 0 offen offset:4
	buffer_store_dword v12, v7, s[0:3], 0 offen offset:8
	buffer_store_dword v13, v7, s[0:3], 0 offen offset:12
	v_add_u32_e32 v7, 16, v7
	s_cbranch_scc0 .LBB210_48
; %bb.49:                               ;   in Loop: Header=BB210_47 Depth=3
	s_add_i32 s8, s8, -1
	s_addk_i32 s10, 0xff40
	s_cmp_le_i32 s8, s6
	s_cbranch_scc0 .LBB210_47
.LBB210_50:                             ;   in Loop: Header=BB210_44 Depth=2
	s_mov_b32 s26, 0
	s_mov_b32 s27, s24
	s_branch .LBB210_52
.LBB210_51:                             ;   in Loop: Header=BB210_52 Depth=3
	s_mulk_i32 s10, 0xd0
	v_mov_b32_e32 v7, s10
	ds_read_b128 v[10:13], v7
	s_lshl_b64 s[8:9], s[8:9], 4
	s_lshl_b32 s10, s26, 4
	s_add_i32 s26, s26, 1
	s_add_i32 s27, s27, -16
	s_waitcnt vmcnt(0) lgkmcnt(0)
	v_mul_f64 v[14:15], v[12:13], v[2:3]
	v_mul_f64 v[16:17], v[10:11], v[2:3]
	v_fma_f64 v[14:15], v[10:11], v[0:1], -v[14:15]
	v_fmac_f64_e32 v[16:17], v[12:13], v[0:1]
	v_mov_b32_e32 v1, s9
	v_add_co_u32_e32 v0, vcc, s8, v8
	v_add_u32_e32 v7, s10, v6
	v_addc_co_u32_e32 v1, vcc, v9, v1, vcc
	s_cmp_eq_u32 s26, s21
	buffer_store_dword v15, v7, s[0:3], 0 offen offset:4
	buffer_store_dword v14, v7, s[0:3], 0 offen
	buffer_store_dword v17, v7, s[0:3], 0 offen offset:12
	buffer_store_dword v16, v7, s[0:3], 0 offen offset:8
	global_store_dwordx4 v[0:1], v[14:17], off
	s_cbranch_scc1 .LBB210_43
.LBB210_52:                             ;   Parent Loop BB210_41 Depth=1
                                        ;     Parent Loop BB210_44 Depth=2
                                        ; =>    This Loop Header: Depth=3
                                        ;         Child Loop BB210_54 Depth 4
	s_cmp_lg_u32 s26, 0
	s_cbranch_scc0 .LBB210_56
; %bb.53:                               ;   in Loop: Header=BB210_52 Depth=3
	s_lshl_b32 s8, s26, 4
	v_add_u32_e32 v7, s8, v6
	buffer_load_dword v0, v7, s[0:3], 0 offen
	buffer_load_dword v1, v7, s[0:3], 0 offen offset:4
	buffer_load_dword v2, v7, s[0:3], 0 offen offset:8
	;; [unrolled: 1-line block ×3, first 2 shown]
	v_mov_b32_e32 v10, 0
	s_mov_b32 s8, 0
	s_mov_b32 s9, s27
.LBB210_54:                             ;   Parent Loop BB210_41 Depth=1
                                        ;     Parent Loop BB210_44 Depth=2
                                        ;       Parent Loop BB210_52 Depth=3
                                        ; =>      This Inner Loop Header: Depth=4
	buffer_load_dword v16, v10, s[0:3], 0 offen offset:8
	buffer_load_dword v17, v10, s[0:3], 0 offen offset:12
	buffer_load_dword v18, v10, s[0:3], 0 offen
	buffer_load_dword v19, v10, s[0:3], 0 offen offset:4
	v_mov_b32_e32 v11, s9
	ds_read_b128 v[12:15], v11
	s_add_i32 s8, s8, 1
	s_addk_i32 s9, 0xff40
	v_add_u32_e32 v10, 16, v10
	s_cmp_ge_u32 s8, s26
	s_waitcnt vmcnt(2) lgkmcnt(0)
	v_mul_f64 v[20:21], v[14:15], v[16:17]
	v_mul_f64 v[16:17], v[12:13], v[16:17]
	s_waitcnt vmcnt(0)
	v_fma_f64 v[12:13], v[12:13], v[18:19], -v[20:21]
	v_fmac_f64_e32 v[16:17], v[14:15], v[18:19]
	v_add_f64 v[0:1], v[0:1], -v[12:13]
	v_add_f64 v[2:3], v[2:3], -v[16:17]
	buffer_store_dword v0, v7, s[0:3], 0 offen
	buffer_store_dword v1, v7, s[0:3], 0 offen offset:4
	buffer_store_dword v2, v7, s[0:3], 0 offen offset:8
	;; [unrolled: 1-line block ×3, first 2 shown]
	s_cbranch_scc0 .LBB210_54
; %bb.55:                               ;   in Loop: Header=BB210_52 Depth=3
	s_sub_i32 s10, s6, s26
	s_ashr_i32 s11, s10, 31
	s_mov_b64 s[8:9], s[10:11]
	s_branch .LBB210_51
.LBB210_56:                             ;   in Loop: Header=BB210_52 Depth=3
                                        ; implicit-def: $vgpr0_vgpr1
                                        ; implicit-def: $vgpr2_vgpr3
                                        ; implicit-def: $sgpr10
                                        ; implicit-def: $sgpr8_sgpr9
	s_cbranch_execz .LBB210_51
; %bb.57:                               ;   in Loop: Header=BB210_52 Depth=3
	buffer_load_dword v0, off, s[0:3], 0
	buffer_load_dword v1, off, s[0:3], 0 offset:4
	buffer_load_dword v2, off, s[0:3], 0 offset:8
	;; [unrolled: 1-line block ×3, first 2 shown]
	s_mov_b64 s[8:9], s[6:7]
	s_mov_b32 s10, s6
	s_branch .LBB210_51
.LBB210_58:
	s_endpgm
	.section	.rodata,"a",@progbits
	.p2align	6, 0x0
	.amdhsa_kernel _ZL30rocblas_trsm_small_left_deviceILi12ELi12ELb0E19rocblas_complex_numIdES1_PKS1_PS1_Ev13rocblas_fill_18rocblas_operation_17rocblas_diagonal_iiT3_T4_lilT5_lili
		.amdhsa_group_segment_fixed_size 2304
		.amdhsa_private_segment_fixed_size 208
		.amdhsa_kernarg_size 368
		.amdhsa_user_sgpr_count 8
		.amdhsa_user_sgpr_private_segment_buffer 1
		.amdhsa_user_sgpr_dispatch_ptr 0
		.amdhsa_user_sgpr_queue_ptr 0
		.amdhsa_user_sgpr_kernarg_segment_ptr 1
		.amdhsa_user_sgpr_dispatch_id 0
		.amdhsa_user_sgpr_flat_scratch_init 1
		.amdhsa_user_sgpr_kernarg_preload_length 0
		.amdhsa_user_sgpr_kernarg_preload_offset 0
		.amdhsa_user_sgpr_private_segment_size 0
		.amdhsa_uses_dynamic_stack 0
		.amdhsa_system_sgpr_private_segment_wavefront_offset 1
		.amdhsa_system_sgpr_workgroup_id_x 1
		.amdhsa_system_sgpr_workgroup_id_y 0
		.amdhsa_system_sgpr_workgroup_id_z 1
		.amdhsa_system_sgpr_workgroup_info 0
		.amdhsa_system_vgpr_workitem_id 0
		.amdhsa_next_free_vgpr 26
		.amdhsa_next_free_sgpr 42
		.amdhsa_accum_offset 28
		.amdhsa_reserve_vcc 1
		.amdhsa_reserve_flat_scratch 0
		.amdhsa_float_round_mode_32 0
		.amdhsa_float_round_mode_16_64 0
		.amdhsa_float_denorm_mode_32 3
		.amdhsa_float_denorm_mode_16_64 3
		.amdhsa_dx10_clamp 1
		.amdhsa_ieee_mode 1
		.amdhsa_fp16_overflow 0
		.amdhsa_tg_split 0
		.amdhsa_exception_fp_ieee_invalid_op 0
		.amdhsa_exception_fp_denorm_src 0
		.amdhsa_exception_fp_ieee_div_zero 0
		.amdhsa_exception_fp_ieee_overflow 0
		.amdhsa_exception_fp_ieee_underflow 0
		.amdhsa_exception_fp_ieee_inexact 0
		.amdhsa_exception_int_div_zero 0
	.end_amdhsa_kernel
	.section	.text._ZL30rocblas_trsm_small_left_deviceILi12ELi12ELb0E19rocblas_complex_numIdES1_PKS1_PS1_Ev13rocblas_fill_18rocblas_operation_17rocblas_diagonal_iiT3_T4_lilT5_lili,"axG",@progbits,_ZL30rocblas_trsm_small_left_deviceILi12ELi12ELb0E19rocblas_complex_numIdES1_PKS1_PS1_Ev13rocblas_fill_18rocblas_operation_17rocblas_diagonal_iiT3_T4_lilT5_lili,comdat
.Lfunc_end210:
	.size	_ZL30rocblas_trsm_small_left_deviceILi12ELi12ELb0E19rocblas_complex_numIdES1_PKS1_PS1_Ev13rocblas_fill_18rocblas_operation_17rocblas_diagonal_iiT3_T4_lilT5_lili, .Lfunc_end210-_ZL30rocblas_trsm_small_left_deviceILi12ELi12ELb0E19rocblas_complex_numIdES1_PKS1_PS1_Ev13rocblas_fill_18rocblas_operation_17rocblas_diagonal_iiT3_T4_lilT5_lili
                                        ; -- End function
	.section	.AMDGPU.csdata,"",@progbits
; Kernel info:
; codeLenInByte = 3280
; NumSgprs: 46
; NumVgprs: 26
; NumAgprs: 0
; TotalNumVgprs: 26
; ScratchSize: 208
; MemoryBound: 0
; FloatMode: 240
; IeeeMode: 1
; LDSByteSize: 2304 bytes/workgroup (compile time only)
; SGPRBlocks: 5
; VGPRBlocks: 3
; NumSGPRsForWavesPerEU: 46
; NumVGPRsForWavesPerEU: 26
; AccumOffset: 28
; Occupancy: 7
; WaveLimiterHint : 0
; COMPUTE_PGM_RSRC2:SCRATCH_EN: 1
; COMPUTE_PGM_RSRC2:USER_SGPR: 8
; COMPUTE_PGM_RSRC2:TRAP_HANDLER: 0
; COMPUTE_PGM_RSRC2:TGID_X_EN: 1
; COMPUTE_PGM_RSRC2:TGID_Y_EN: 0
; COMPUTE_PGM_RSRC2:TGID_Z_EN: 1
; COMPUTE_PGM_RSRC2:TIDIG_COMP_CNT: 0
; COMPUTE_PGM_RSRC3_GFX90A:ACCUM_OFFSET: 6
; COMPUTE_PGM_RSRC3_GFX90A:TG_SPLIT: 0
	.section	.text._ZL38rocblas_trsm_small_left_device_sharedBILi12ELi12ELb1E19rocblas_complex_numIdES1_PKS1_PS1_Ev13rocblas_fill_18rocblas_operation_17rocblas_diagonal_iiT3_T4_lilT5_lili,"axG",@progbits,_ZL38rocblas_trsm_small_left_device_sharedBILi12ELi12ELb1E19rocblas_complex_numIdES1_PKS1_PS1_Ev13rocblas_fill_18rocblas_operation_17rocblas_diagonal_iiT3_T4_lilT5_lili,comdat
	.globl	_ZL38rocblas_trsm_small_left_device_sharedBILi12ELi12ELb1E19rocblas_complex_numIdES1_PKS1_PS1_Ev13rocblas_fill_18rocblas_operation_17rocblas_diagonal_iiT3_T4_lilT5_lili ; -- Begin function _ZL38rocblas_trsm_small_left_device_sharedBILi12ELi12ELb1E19rocblas_complex_numIdES1_PKS1_PS1_Ev13rocblas_fill_18rocblas_operation_17rocblas_diagonal_iiT3_T4_lilT5_lili
	.p2align	8
	.type	_ZL38rocblas_trsm_small_left_device_sharedBILi12ELi12ELb1E19rocblas_complex_numIdES1_PKS1_PS1_Ev13rocblas_fill_18rocblas_operation_17rocblas_diagonal_iiT3_T4_lilT5_lili,@function
_ZL38rocblas_trsm_small_left_device_sharedBILi12ELi12ELb1E19rocblas_complex_numIdES1_PKS1_PS1_Ev13rocblas_fill_18rocblas_operation_17rocblas_diagonal_iiT3_T4_lilT5_lili: ; @_ZL38rocblas_trsm_small_left_device_sharedBILi12ELi12ELb1E19rocblas_complex_numIdES1_PKS1_PS1_Ev13rocblas_fill_18rocblas_operation_17rocblas_diagonal_iiT3_T4_lilT5_lili
; %bb.0:
	s_add_u32 s0, s0, s10
	s_load_dwordx4 s[24:27], s[4:5], 0x4
	s_load_dwordx8 s[12:19], s[4:5], 0x18
	s_load_dwordx4 s[20:23], s[4:5], 0x40
	s_load_dwordx2 s[10:11], s[4:5], 0x50
	s_load_dword s39, s[4:5], 0x70
	s_addc_u32 s1, s1, 0
	s_waitcnt lgkmcnt(0)
	s_min_i32 s33, s26, 12
	s_mov_b32 s40, 0
	s_add_i32 s38, s33, -1
	v_cmp_gt_i32_e32 vcc, s33, v0
	s_and_saveexec_b64 s[28:29], vcc
	s_cbranch_execz .LBB211_15
; %bb.1:
	s_load_dword s30, s[4:5], 0x38
	s_mul_i32 s41, s21, s9
	s_mul_hi_u32 s42, s20, s9
	s_mul_i32 s20, s20, s9
	s_waitcnt lgkmcnt(0)
	s_ashr_i32 s31, s30, 31
	s_cmpk_eq_i32 s24, 0x71
	s_cselect_b64 vcc, -1, 0
	s_cmp_lt_u32 s38, 3
	s_cbranch_scc1 .LBB211_4
; %bb.2:
	s_add_i32 s21, s42, s41
	s_and_b32 s40, s33, -4
	s_lshl_b64 s[6:7], s[20:21], 4
	s_lshl_b64 s[34:35], s[18:19], 4
	s_add_u32 s6, s6, s34
	s_addc_u32 s7, s7, s35
	s_add_u32 s6, s16, s6
	v_lshlrev_b32_e32 v2, 4, v0
	s_addc_u32 s7, s17, s7
	v_mov_b32_e32 v3, s7
	v_add_co_u32_e64 v2, s[6:7], s6, v2
	v_addc_co_u32_e64 v3, s[6:7], 0, v3, s[6:7]
	v_add_co_u32_e64 v2, s[6:7], 8, v2
	s_lshl_b64 s[34:35], s[30:31], 6
	s_lshl_b64 s[36:37], s[30:31], 4
	v_lshlrev_b32_e32 v1, 4, v0
	v_addc_co_u32_e64 v3, s[6:7], 0, v3, s[6:7]
	s_mov_b32 s21, 0
	v_mov_b32_e32 v4, s37
	v_mov_b32_e32 v5, s35
.LBB211_3:                              ; =>This Inner Loop Header: Depth=1
	v_add_co_u32_e64 v18, s[6:7], s36, v2
	v_addc_co_u32_e64 v19, s[6:7], v3, v4, s[6:7]
	v_add_co_u32_e64 v20, s[6:7], s36, v18
	global_load_dwordx4 v[6:9], v[2:3], off offset:-8
	v_addc_co_u32_e64 v21, s[6:7], v19, v4, s[6:7]
	global_load_dwordx4 v[10:13], v[18:19], off offset:-8
	global_load_dwordx4 v[14:17], v[20:21], off offset:-8
	v_add_co_u32_e64 v18, s[6:7], s36, v20
	v_addc_co_u32_e64 v19, s[6:7], v21, v4, s[6:7]
	global_load_dwordx4 v[18:21], v[18:19], off offset:-8
	s_add_i32 s21, s21, 4
	v_add_co_u32_e64 v2, s[6:7], s34, v2
	s_cmp_eq_u32 s40, s21
	v_addc_co_u32_e64 v3, s[6:7], v3, v5, s[6:7]
	s_waitcnt vmcnt(3)
	v_xor_b32_e32 v22, 0x80000000, v9
	v_cndmask_b32_e32 v9, v9, v22, vcc
	ds_write_b128 v1, v[6:9]
	s_waitcnt vmcnt(1)
	v_xor_b32_e32 v6, 0x80000000, v17
	v_xor_b32_e32 v22, 0x80000000, v13
	v_cndmask_b32_e32 v17, v17, v6, vcc
	v_cndmask_b32_e32 v13, v13, v22, vcc
	ds_write_b128 v1, v[10:13] offset:192
	s_waitcnt vmcnt(0)
	v_xor_b32_e32 v6, 0x80000000, v21
	v_cndmask_b32_e32 v21, v21, v6, vcc
	ds_write_b128 v1, v[14:17] offset:384
	ds_write_b128 v1, v[18:21] offset:576
	v_add_u32_e32 v1, 0x300, v1
	s_cbranch_scc0 .LBB211_3
.LBB211_4:
	s_and_b32 s34, s33, 3
	s_cmp_eq_u32 s34, 0
	s_cbranch_scc1 .LBB211_7
; %bb.5:
	s_mul_i32 s6, s40, 0xc0
	s_add_i32 s21, s42, s41
	v_lshl_add_u32 v1, v0, 4, s6
	s_lshl_b64 s[6:7], s[20:21], 4
	s_mul_i32 s20, s31, s40
	s_mul_hi_u32 s21, s30, s40
	s_add_i32 s21, s21, s20
	s_mul_i32 s20, s30, s40
	s_lshl_b64 s[20:21], s[20:21], 4
	s_add_u32 s20, s6, s20
	s_addc_u32 s21, s7, s21
	s_lshl_b64 s[6:7], s[18:19], 4
	s_add_u32 s6, s20, s6
	s_addc_u32 s7, s21, s7
	s_add_u32 s6, s16, s6
	v_lshlrev_b32_e32 v2, 4, v0
	s_addc_u32 s7, s17, s7
	v_mov_b32_e32 v3, s7
	v_add_co_u32_e64 v2, s[6:7], s6, v2
	v_addc_co_u32_e64 v3, s[6:7], 0, v3, s[6:7]
	v_add_co_u32_e64 v2, s[6:7], 8, v2
	s_lshl_b64 s[16:17], s[30:31], 4
	v_addc_co_u32_e64 v3, s[6:7], 0, v3, s[6:7]
	v_mov_b32_e32 v4, s17
.LBB211_6:                              ; =>This Inner Loop Header: Depth=1
	global_load_dwordx4 v[6:9], v[2:3], off offset:-8
	v_add_co_u32_e64 v2, s[6:7], s16, v2
	s_add_i32 s34, s34, -1
	v_addc_co_u32_e64 v3, s[6:7], v3, v4, s[6:7]
	s_cmp_lg_u32 s34, 0
	s_waitcnt vmcnt(0)
	v_xor_b32_e32 v5, 0x80000000, v9
	v_cndmask_b32_e32 v9, v9, v5, vcc
	ds_write_b128 v1, v[6:9]
	v_add_u32_e32 v1, 0xc0, v1
	s_cbranch_scc1 .LBB211_6
.LBB211_7:
	v_mul_u32_u24_e32 v1, 13, v0
	s_cmpk_lg_i32 s25, 0x84
	v_lshlrev_b32_e32 v1, 4, v1
	s_cbranch_scc0 .LBB211_13
; %bb.8:
	ds_read_b128 v[2:5], v1
	s_waitcnt lgkmcnt(0)
	v_xor_b32_e32 v7, 0x80000000, v3
	v_cmp_gt_f64_e32 vcc, 0, v[2:3]
	v_xor_b32_e32 v8, 0x80000000, v5
	v_cndmask_b32_e32 v7, v3, v7, vcc
	v_cmp_gt_f64_e32 vcc, 0, v[4:5]
	v_mov_b32_e32 v6, v2
	v_cndmask_b32_e32 v9, v5, v8, vcc
	v_mov_b32_e32 v8, v4
	v_cmp_ngt_f64_e32 vcc, v[6:7], v[8:9]
                                        ; implicit-def: $vgpr8_vgpr9
	s_and_saveexec_b64 s[6:7], vcc
	s_xor_b64 s[6:7], exec, s[6:7]
	s_cbranch_execz .LBB211_10
; %bb.9:
	v_div_scale_f64 v[6:7], s[16:17], v[4:5], v[4:5], v[2:3]
	v_rcp_f64_e32 v[8:9], v[6:7]
	v_div_scale_f64 v[10:11], vcc, v[2:3], v[4:5], v[2:3]
	v_fma_f64 v[12:13], -v[6:7], v[8:9], 1.0
	v_fmac_f64_e32 v[8:9], v[8:9], v[12:13]
	v_fma_f64 v[12:13], -v[6:7], v[8:9], 1.0
	v_fmac_f64_e32 v[8:9], v[8:9], v[12:13]
	v_mul_f64 v[12:13], v[10:11], v[8:9]
	v_fma_f64 v[6:7], -v[6:7], v[12:13], v[10:11]
	v_div_fmas_f64 v[6:7], v[6:7], v[8:9], v[12:13]
	v_div_fixup_f64 v[8:9], v[6:7], v[4:5], v[2:3]
	v_fmac_f64_e32 v[4:5], v[2:3], v[8:9]
	v_div_scale_f64 v[2:3], s[16:17], v[4:5], v[4:5], 1.0
	v_rcp_f64_e32 v[6:7], v[2:3]
	v_fma_f64 v[10:11], -v[2:3], v[6:7], 1.0
	v_fmac_f64_e32 v[6:7], v[6:7], v[10:11]
	v_fma_f64 v[10:11], -v[2:3], v[6:7], 1.0
	v_fmac_f64_e32 v[6:7], v[6:7], v[10:11]
	v_div_scale_f64 v[10:11], vcc, 1.0, v[4:5], 1.0
	v_mul_f64 v[12:13], v[10:11], v[6:7]
	v_fma_f64 v[2:3], -v[2:3], v[12:13], v[10:11]
	s_nop 1
	v_div_fmas_f64 v[2:3], v[2:3], v[6:7], v[12:13]
	v_div_fixup_f64 v[2:3], v[2:3], v[4:5], 1.0
	v_add_f64 v[4:5], v[8:9], 0
	v_mul_f64 v[6:7], v[4:5], v[2:3]
	v_fma_f64 v[4:5], v[8:9], 0, -1.0
	v_mul_f64 v[8:9], v[4:5], v[2:3]
                                        ; implicit-def: $vgpr2_vgpr3
.LBB211_10:
	s_andn2_saveexec_b64 s[6:7], s[6:7]
	s_cbranch_execz .LBB211_12
; %bb.11:
	v_div_scale_f64 v[6:7], s[16:17], v[2:3], v[2:3], v[4:5]
	v_rcp_f64_e32 v[8:9], v[6:7]
	v_div_scale_f64 v[10:11], vcc, v[4:5], v[2:3], v[4:5]
	v_fma_f64 v[12:13], -v[6:7], v[8:9], 1.0
	v_fmac_f64_e32 v[8:9], v[8:9], v[12:13]
	v_fma_f64 v[12:13], -v[6:7], v[8:9], 1.0
	v_fmac_f64_e32 v[8:9], v[8:9], v[12:13]
	v_mul_f64 v[12:13], v[10:11], v[8:9]
	v_fma_f64 v[6:7], -v[6:7], v[12:13], v[10:11]
	v_div_fmas_f64 v[6:7], v[6:7], v[8:9], v[12:13]
	v_div_fixup_f64 v[8:9], v[6:7], v[2:3], v[4:5]
	v_fmac_f64_e32 v[2:3], v[4:5], v[8:9]
	v_div_scale_f64 v[4:5], s[16:17], v[2:3], v[2:3], 1.0
	v_rcp_f64_e32 v[6:7], v[4:5]
	v_fma_f64 v[10:11], -v[4:5], v[6:7], 1.0
	v_fmac_f64_e32 v[6:7], v[6:7], v[10:11]
	v_fma_f64 v[10:11], -v[4:5], v[6:7], 1.0
	v_fmac_f64_e32 v[6:7], v[6:7], v[10:11]
	v_div_scale_f64 v[10:11], vcc, 1.0, v[2:3], 1.0
	v_mul_f64 v[12:13], v[10:11], v[6:7]
	v_fma_f64 v[4:5], -v[4:5], v[12:13], v[10:11]
	s_nop 1
	v_div_fmas_f64 v[4:5], v[4:5], v[6:7], v[12:13]
	v_div_fixup_f64 v[2:3], v[4:5], v[2:3], 1.0
	v_fma_f64 v[4:5], v[8:9], 0, 1.0
	v_mul_f64 v[6:7], v[4:5], v[2:3]
	v_add_f64 v[4:5], -v[8:9], 0
	v_mul_f64 v[8:9], v[4:5], v[2:3]
.LBB211_12:
	s_or_b64 exec, exec, s[6:7]
	s_branch .LBB211_14
.LBB211_13:
	v_mov_b32_e32 v6, 0
	v_mov_b32_e32 v7, 0x3ff00000
	v_pk_mov_b32 v[8:9], 0, 0
.LBB211_14:
	ds_write_b128 v1, v[6:9]
.LBB211_15:
	s_or_b64 exec, exec, s[28:29]
	s_load_dword s20, s[4:5], 0x58
	s_load_dwordx2 s[6:7], s[4:5], 0x60
	s_mov_b32 s19, 0
	s_waitcnt lgkmcnt(0)
	s_ashr_i32 s21, s20, 31
	s_mul_i32 s5, s9, s7
	s_mul_hi_u32 s7, s9, s6
	s_mul_i32 s4, s9, s6
	s_add_i32 s5, s7, s5
	s_lshl_b64 s[4:5], s[4:5], 4
	s_add_u32 s9, s22, s4
	s_addc_u32 s16, s23, s5
	s_lshl_b64 s[6:7], s[10:11], 4
	s_add_u32 s17, s9, s6
	s_mul_i32 s9, s8, -12
	s_addc_u32 s16, s16, s7
	s_add_i32 s39, s39, -1
	s_add_i32 s9, s9, s27
	s_cmp_ge_u32 s8, s39
	s_mul_i32 s8, s8, 12
	s_mul_hi_i32 s11, s20, s8
	s_mul_i32 s10, s20, s8
	s_cselect_b32 s18, s9, 12
	s_ashr_i32 s9, s8, 31
	s_lshl_b64 s[10:11], s[10:11], 4
	s_add_u32 s25, s17, s10
	s_addc_u32 s27, s16, s11
	s_cmp_gt_i32 s26, 0
	v_cmp_gt_i32_e32 vcc, s18, v0
	s_cselect_b64 s[10:11], -1, 0
	s_and_b64 s[10:11], vcc, s[10:11]
	s_and_saveexec_b64 s[16:17], s[10:11]
	s_cbranch_execz .LBB211_23
; %bb.16:
	s_cmp_lt_i32 s26, 8
	s_cbranch_scc1 .LBB211_20
; %bb.17:
	v_mad_i64_i32 v[2:3], s[18:19], s20, v0, 0
	v_lshlrev_b64 v[2:3], 4, v[2:3]
	v_mov_b32_e32 v4, s27
	v_add_co_u32_e32 v1, vcc, s25, v2
	v_addc_co_u32_e32 v2, vcc, v4, v3, vcc
	v_mov_b32_e32 v3, 0x900
	s_lshl_b32 s18, s33, 4
	v_lshl_or_b32 v3, v0, 4, v3
	s_and_b32 s28, s18, 0x80
	s_mov_b64 s[18:19], 0
.LBB211_18:                             ; =>This Inner Loop Header: Depth=1
	v_mov_b32_e32 v4, s19
	v_add_co_u32_e32 v36, vcc, s18, v1
	v_addc_co_u32_e32 v37, vcc, v2, v4, vcc
	global_load_dwordx4 v[4:7], v[36:37], off
	global_load_dwordx4 v[8:11], v[36:37], off offset:16
	global_load_dwordx4 v[12:15], v[36:37], off offset:32
	;; [unrolled: 1-line block ×7, first 2 shown]
	s_add_u32 s18, s18, 0x80
	s_addc_u32 s19, s19, 0
	s_cmp_lg_u32 s28, s18
	s_waitcnt vmcnt(7)
	v_mul_f64 v[38:39], s[14:15], v[6:7]
	v_mul_f64 v[36:37], s[12:13], v[6:7]
	s_waitcnt vmcnt(6)
	v_mul_f64 v[40:41], s[14:15], v[10:11]
	v_mul_f64 v[6:7], s[12:13], v[10:11]
	;; [unrolled: 3-line block ×8, first 2 shown]
	v_fma_f64 v[34:35], s[12:13], v[4:5], -v[38:39]
	v_fmac_f64_e32 v[36:37], s[14:15], v[4:5]
	v_fma_f64 v[4:5], s[12:13], v[8:9], -v[40:41]
	v_fmac_f64_e32 v[6:7], s[14:15], v[8:9]
	v_fma_f64 v[8:9], s[12:13], v[12:13], -v[42:43]
	v_fmac_f64_e32 v[10:11], s[14:15], v[12:13]
	v_fma_f64 v[12:13], s[12:13], v[16:17], -v[44:45]
	v_fmac_f64_e32 v[14:15], s[14:15], v[16:17]
	v_fma_f64 v[16:17], s[12:13], v[20:21], -v[46:47]
	v_fmac_f64_e32 v[18:19], s[14:15], v[20:21]
	v_fma_f64 v[20:21], s[12:13], v[24:25], -v[48:49]
	v_fmac_f64_e32 v[22:23], s[14:15], v[24:25]
	v_fma_f64 v[24:25], s[12:13], v[28:29], -v[50:51]
	v_fmac_f64_e32 v[26:27], s[14:15], v[28:29]
	v_fma_f64 v[28:29], s[12:13], v[32:33], -v[52:53]
	v_fmac_f64_e32 v[30:31], s[14:15], v[32:33]
	ds_write_b128 v3, v[34:37]
	ds_write_b128 v3, v[4:7] offset:192
	ds_write_b128 v3, v[8:11] offset:384
	;; [unrolled: 1-line block ×7, first 2 shown]
	v_add_u32_e32 v3, 0x600, v3
	s_cbranch_scc1 .LBB211_18
; %bb.19:
	s_mov_b32 s19, 8
.LBB211_20:
	s_and_b32 s18, s33, 7
	s_cmp_eq_u32 s18, 0
	s_cbranch_scc1 .LBB211_23
; %bb.21:
	s_mul_i32 s28, s19, 0xc0
	v_lshl_add_u32 v1, v0, 4, s28
	s_lshl_b64 s[28:29], s[8:9], 4
	s_lshl_b32 s19, s19, 4
	v_lshlrev_b32_e32 v2, 4, v0
	s_add_u32 s19, s22, s19
	v_add_co_u32_e32 v4, vcc, s28, v2
	s_addc_u32 s28, s23, 0
	s_add_u32 s19, s19, s6
	v_mov_b32_e32 v3, s29
	s_addc_u32 s29, s28, s7
	s_add_u32 s28, s19, s4
	s_addc_u32 s29, s29, s5
	v_addc_co_u32_e32 v5, vcc, 0, v3, vcc
	v_pk_mov_b32 v[2:3], s[28:29], s[28:29] op_sel:[0,1]
	v_mad_u64_u32 v[2:3], s[28:29], v4, s20, v[2:3]
	v_mul_lo_u32 v4, v4, s21
	v_mul_lo_u32 v5, v5, s20
	v_add3_u32 v3, v5, v3, v4
	v_add_co_u32_e32 v2, vcc, 8, v2
	v_add_u32_e32 v1, 0x900, v1
	v_addc_co_u32_e32 v3, vcc, 0, v3, vcc
.LBB211_22:                             ; =>This Inner Loop Header: Depth=1
	global_load_dwordx4 v[4:7], v[2:3], off offset:-8
	v_add_co_u32_e32 v2, vcc, 16, v2
	s_add_i32 s18, s18, -1
	v_addc_co_u32_e32 v3, vcc, 0, v3, vcc
	s_cmp_lg_u32 s18, 0
	s_waitcnt vmcnt(0)
	v_mul_f64 v[10:11], s[14:15], v[6:7]
	v_mul_f64 v[8:9], s[12:13], v[6:7]
	v_fma_f64 v[6:7], s[12:13], v[4:5], -v[10:11]
	v_fmac_f64_e32 v[8:9], s[14:15], v[4:5]
	ds_write_b128 v1, v[6:9]
	v_add_u32_e32 v1, 0xc0, v1
	s_cbranch_scc1 .LBB211_22
.LBB211_23:
	s_or_b64 exec, exec, s[16:17]
	s_cmpk_eq_i32 s24, 0x6f
	s_mov_b64 s[12:13], -1
	s_waitcnt lgkmcnt(0)
	; wave barrier
	s_waitcnt lgkmcnt(0)
	s_cbranch_scc1 .LBB211_44
; %bb.24:
	v_mov_b32_e32 v1, 0x900
	s_lshl_b32 s16, s33, 4
	s_mov_b32 s13, 0
	v_lshl_or_b32 v1, v0, 4, v1
	s_add_i32 s16, s16, -16
	v_mov_b32_e32 v6, 0
	s_mov_b32 s12, s13
	s_mov_b32 s17, s38
	s_branch .LBB211_26
.LBB211_25:                             ;   in Loop: Header=BB211_26 Depth=1
	s_cmp_lt_i32 s17, 0
	s_cselect_b64 s[14:15], -1, 0
	s_add_i32 s12, s12, 1
	s_cmp_eq_u32 s12, 3
	s_cselect_b64 s[18:19], -1, 0
	s_or_b64 s[14:15], s[14:15], s[18:19]
	s_andn2_b64 vcc, exec, s[14:15]
	s_cbranch_vccz .LBB211_43
.LBB211_26:                             ; =>This Loop Header: Depth=1
                                        ;     Child Loop BB211_29 Depth 2
                                        ;       Child Loop BB211_30 Depth 3
                                        ;       Child Loop BB211_32 Depth 3
                                        ;         Child Loop BB211_33 Depth 4
                                        ;       Child Loop BB211_37 Depth 3
                                        ;         Child Loop BB211_39 Depth 4
	s_lshl_b64 s[14:15], s[12:13], 2
	s_getpc_b64 s[18:19]
	s_add_u32 s18, s18, __const._ZL38rocblas_trsm_small_left_device_sharedBILi12ELi12ELb1E19rocblas_complex_numIdES1_PKS1_PS1_Ev13rocblas_fill_18rocblas_operation_17rocblas_diagonal_iiT3_T4_lilT5_lili.step_sizes@rel32@lo+4
	s_addc_u32 s19, s19, __const._ZL38rocblas_trsm_small_left_device_sharedBILi12ELi12ELb1E19rocblas_complex_numIdES1_PKS1_PS1_Ev13rocblas_fill_18rocblas_operation_17rocblas_diagonal_iiT3_T4_lilT5_lili.step_sizes@rel32@hi+12
	s_add_u32 s14, s14, s18
	s_addc_u32 s15, s15, s19
	s_load_dword s18, s[14:15], 0x0
	s_waitcnt lgkmcnt(0)
	s_add_i32 s19, s18, -1
	s_cmp_lt_i32 s17, s19
	s_cbranch_scc1 .LBB211_25
; %bb.27:                               ;   in Loop: Header=BB211_26 Depth=1
	s_mul_i32 s14, s17, 0xc0
	s_max_i32 s24, s18, 1
	v_add_u32_e32 v7, s14, v1
	s_mul_i32 s28, s18, 0xffffff40
	s_add_i32 s29, s16, s14
	s_mul_i32 s30, s17, 0xd0
	s_mul_i32 s31, s18, 0xffffff30
	s_branch .LBB211_29
.LBB211_28:                             ;   in Loop: Header=BB211_29 Depth=2
	s_sub_i32 s17, s17, s18
	s_add_i32 s29, s29, s28
	s_add_i32 s30, s30, s31
	s_cmp_lt_i32 s17, s19
	v_add_u32_e32 v7, s28, v7
	s_cbranch_scc1 .LBB211_25
.LBB211_29:                             ;   Parent Loop BB211_26 Depth=1
                                        ; =>  This Loop Header: Depth=2
                                        ;       Child Loop BB211_30 Depth 3
                                        ;       Child Loop BB211_32 Depth 3
                                        ;         Child Loop BB211_33 Depth 4
                                        ;       Child Loop BB211_37 Depth 3
                                        ;         Child Loop BB211_39 Depth 4
	v_mov_b32_e32 v2, 0
	v_mov_b32_e32 v3, v7
	s_mov_b32 s14, s24
.LBB211_30:                             ;   Parent Loop BB211_26 Depth=1
                                        ;     Parent Loop BB211_29 Depth=2
                                        ; =>    This Inner Loop Header: Depth=3
	ds_read_b128 v[8:11], v3
	s_add_i32 s14, s14, -1
	v_add_u32_e32 v3, 0xffffff40, v3
	s_cmp_eq_u32 s14, 0
	s_waitcnt lgkmcnt(0)
	buffer_store_dword v11, v2, s[0:3], 0 offen offset:12
	buffer_store_dword v10, v2, s[0:3], 0 offen offset:8
	;; [unrolled: 1-line block ×3, first 2 shown]
	buffer_store_dword v8, v2, s[0:3], 0 offen
	v_add_u32_e32 v2, 16, v2
	s_cbranch_scc0 .LBB211_30
; %bb.31:                               ;   in Loop: Header=BB211_29 Depth=2
	s_cmp_le_i32 s38, s17
	s_mov_b32 s14, s29
	s_mov_b32 s15, s38
	s_cbranch_scc1 .LBB211_35
.LBB211_32:                             ;   Parent Loop BB211_26 Depth=1
                                        ;     Parent Loop BB211_29 Depth=2
                                        ; =>    This Loop Header: Depth=3
                                        ;         Child Loop BB211_33 Depth 4
	s_mul_i32 s34, s15, 12
	v_add_lshl_u32 v2, s34, v0, 4
	ds_read_b128 v[2:5], v2 offset:2304
	v_mov_b32_e32 v8, 0
	s_mov_b32 s34, s14
	s_mov_b32 s35, s24
.LBB211_33:                             ;   Parent Loop BB211_26 Depth=1
                                        ;     Parent Loop BB211_29 Depth=2
                                        ;       Parent Loop BB211_32 Depth=3
                                        ; =>      This Inner Loop Header: Depth=4
	buffer_load_dword v14, v8, s[0:3], 0 offen
	buffer_load_dword v15, v8, s[0:3], 0 offen offset:4
	buffer_load_dword v16, v8, s[0:3], 0 offen offset:8
	;; [unrolled: 1-line block ×3, first 2 shown]
	v_mov_b32_e32 v9, s34
	ds_read_b128 v[10:13], v9
	s_add_i32 s35, s35, -1
	s_addk_i32 s34, 0xff40
	s_cmp_eq_u32 s35, 0
	s_waitcnt lgkmcnt(0)
	v_mul_f64 v[18:19], v[4:5], v[12:13]
	v_mul_f64 v[12:13], v[2:3], v[12:13]
	v_fma_f64 v[18:19], v[2:3], v[10:11], -v[18:19]
	v_fmac_f64_e32 v[12:13], v[4:5], v[10:11]
	s_waitcnt vmcnt(2)
	v_add_f64 v[10:11], v[14:15], -v[18:19]
	s_waitcnt vmcnt(0)
	v_add_f64 v[12:13], v[16:17], -v[12:13]
	buffer_store_dword v10, v8, s[0:3], 0 offen
	buffer_store_dword v11, v8, s[0:3], 0 offen offset:4
	buffer_store_dword v12, v8, s[0:3], 0 offen offset:8
	;; [unrolled: 1-line block ×3, first 2 shown]
	v_add_u32_e32 v8, 16, v8
	s_cbranch_scc0 .LBB211_33
; %bb.34:                               ;   in Loop: Header=BB211_32 Depth=3
	s_add_i32 s15, s15, -1
	s_add_i32 s14, s14, -16
	s_cmp_le_i32 s15, s17
	s_cbranch_scc0 .LBB211_32
.LBB211_35:                             ;   in Loop: Header=BB211_29 Depth=2
	s_mul_i32 s34, s17, 12
	s_mov_b32 s35, 0
	s_mov_b32 s36, s30
	s_branch .LBB211_37
.LBB211_36:                             ;   in Loop: Header=BB211_37 Depth=3
	s_mul_i32 s14, s39, 0xd0
	v_mov_b32_e32 v8, s14
	ds_read_b128 v[8:11], v8
	s_lshl_b32 s14, s35, 4
	s_add_i32 s35, s35, 1
	s_addk_i32 s36, 0xff40
	v_add_u32_e32 v16, s14, v6
	s_waitcnt vmcnt(0) lgkmcnt(0)
	v_mul_f64 v[12:13], v[10:11], v[4:5]
	v_mul_f64 v[14:15], v[8:9], v[4:5]
	v_fma_f64 v[12:13], v[8:9], v[2:3], -v[12:13]
	v_fmac_f64_e32 v[14:15], v[10:11], v[2:3]
	v_add_lshl_u32 v2, s37, v0, 4
	s_cmp_eq_u32 s35, s24
	buffer_store_dword v13, v16, s[0:3], 0 offen offset:4
	buffer_store_dword v12, v16, s[0:3], 0 offen
	buffer_store_dword v15, v16, s[0:3], 0 offen offset:12
	buffer_store_dword v14, v16, s[0:3], 0 offen offset:8
	ds_write_b128 v2, v[12:15] offset:2304
	s_cbranch_scc1 .LBB211_28
.LBB211_37:                             ;   Parent Loop BB211_26 Depth=1
                                        ;     Parent Loop BB211_29 Depth=2
                                        ; =>    This Loop Header: Depth=3
                                        ;         Child Loop BB211_39 Depth 4
	s_cmp_lg_u32 s35, 0
	s_cbranch_scc0 .LBB211_41
; %bb.38:                               ;   in Loop: Header=BB211_37 Depth=3
	s_lshl_b32 s14, s35, 4
	v_add_u32_e32 v8, s14, v6
	buffer_load_dword v2, v8, s[0:3], 0 offen
	buffer_load_dword v3, v8, s[0:3], 0 offen offset:4
	buffer_load_dword v4, v8, s[0:3], 0 offen offset:8
	;; [unrolled: 1-line block ×3, first 2 shown]
	s_sub_i32 s39, s17, s35
	s_mul_i32 s37, s39, 12
	v_mov_b32_e32 v9, 0
	s_mov_b32 s14, 0
	s_mov_b32 s15, s36
.LBB211_39:                             ;   Parent Loop BB211_26 Depth=1
                                        ;     Parent Loop BB211_29 Depth=2
                                        ;       Parent Loop BB211_37 Depth=3
                                        ; =>      This Inner Loop Header: Depth=4
	buffer_load_dword v14, v9, s[0:3], 0 offen offset:8
	buffer_load_dword v15, v9, s[0:3], 0 offen offset:12
	buffer_load_dword v16, v9, s[0:3], 0 offen
	buffer_load_dword v17, v9, s[0:3], 0 offen offset:4
	v_mov_b32_e32 v10, s15
	ds_read_b128 v[10:13], v10
	s_add_i32 s14, s14, 1
	s_add_i32 s15, s15, -16
	v_add_u32_e32 v9, 16, v9
	s_cmp_ge_u32 s14, s35
	s_waitcnt vmcnt(2) lgkmcnt(0)
	v_mul_f64 v[18:19], v[12:13], v[14:15]
	v_mul_f64 v[14:15], v[10:11], v[14:15]
	s_waitcnt vmcnt(0)
	v_fma_f64 v[10:11], v[10:11], v[16:17], -v[18:19]
	v_fmac_f64_e32 v[14:15], v[12:13], v[16:17]
	v_add_f64 v[2:3], v[2:3], -v[10:11]
	v_add_f64 v[4:5], v[4:5], -v[14:15]
	buffer_store_dword v2, v8, s[0:3], 0 offen
	buffer_store_dword v3, v8, s[0:3], 0 offen offset:4
	buffer_store_dword v4, v8, s[0:3], 0 offen offset:8
	;; [unrolled: 1-line block ×3, first 2 shown]
	s_cbranch_scc0 .LBB211_39
; %bb.40:                               ;   in Loop: Header=BB211_37 Depth=3
	s_branch .LBB211_36
.LBB211_41:                             ;   in Loop: Header=BB211_37 Depth=3
                                        ; implicit-def: $vgpr2_vgpr3
                                        ; implicit-def: $vgpr4_vgpr5
                                        ; implicit-def: $sgpr39
                                        ; implicit-def: $sgpr37
	s_cbranch_execz .LBB211_36
; %bb.42:                               ;   in Loop: Header=BB211_37 Depth=3
	buffer_load_dword v2, off, s[0:3], 0
	buffer_load_dword v3, off, s[0:3], 0 offset:4
	buffer_load_dword v4, off, s[0:3], 0 offset:8
	;; [unrolled: 1-line block ×3, first 2 shown]
	s_mov_b32 s37, s34
	s_mov_b32 s39, s17
	s_branch .LBB211_36
.LBB211_43:
	s_mov_b64 s[12:13], 0
.LBB211_44:
	s_and_b64 vcc, exec, s[12:13]
	s_cbranch_vccz .LBB211_65
; %bb.45:
	v_mov_b32_e32 v1, 0x900
	s_mov_b32 s13, 0
	v_lshl_or_b32 v1, v0, 4, v1
	v_mov_b32_e32 v6, 0
	s_mov_b32 s12, s13
	s_mov_b32 s16, s13
	s_branch .LBB211_47
.LBB211_46:                             ;   in Loop: Header=BB211_47 Depth=1
	s_cmp_ge_i32 s16, s33
	s_cselect_b64 s[14:15], -1, 0
	s_add_i32 s12, s12, 1
	s_cmp_eq_u32 s12, 3
	s_cselect_b64 s[18:19], -1, 0
	s_or_b64 s[14:15], s[14:15], s[18:19]
	s_and_b64 vcc, exec, s[14:15]
	s_cbranch_vccnz .LBB211_65
.LBB211_47:                             ; =>This Loop Header: Depth=1
                                        ;     Child Loop BB211_50 Depth 2
                                        ;       Child Loop BB211_51 Depth 3
                                        ;       Child Loop BB211_54 Depth 3
                                        ;         Child Loop BB211_55 Depth 4
                                        ;       Child Loop BB211_59 Depth 3
                                        ;         Child Loop BB211_61 Depth 4
	s_lshl_b64 s[14:15], s[12:13], 2
	s_getpc_b64 s[18:19]
	s_add_u32 s18, s18, __const._ZL38rocblas_trsm_small_left_device_sharedBILi12ELi12ELb1E19rocblas_complex_numIdES1_PKS1_PS1_Ev13rocblas_fill_18rocblas_operation_17rocblas_diagonal_iiT3_T4_lilT5_lili.step_sizes@rel32@lo+4
	s_addc_u32 s19, s19, __const._ZL38rocblas_trsm_small_left_device_sharedBILi12ELi12ELb1E19rocblas_complex_numIdES1_PKS1_PS1_Ev13rocblas_fill_18rocblas_operation_17rocblas_diagonal_iiT3_T4_lilT5_lili.step_sizes@rel32@hi+12
	s_add_u32 s14, s14, s18
	s_addc_u32 s15, s15, s19
	s_load_dword s17, s[14:15], 0x0
	s_waitcnt lgkmcnt(0)
	s_add_i32 s18, s17, -1
	s_add_i32 s14, s18, s16
	s_cmp_ge_i32 s14, s33
	s_cbranch_scc1 .LBB211_46
; %bb.48:                               ;   in Loop: Header=BB211_47 Depth=1
	s_mul_i32 s14, s16, 0xc0
	s_max_i32 s19, s17, 1
	v_add_u32_e32 v7, s14, v1
	s_mul_i32 s24, s17, 0xc0
	s_lshl_b32 s28, s16, 4
	s_lshl_b32 s29, s17, 4
	s_mul_i32 s30, s16, 0xd0
	s_mul_i32 s31, s17, 0xd0
	s_branch .LBB211_50
.LBB211_49:                             ;   in Loop: Header=BB211_50 Depth=2
	s_add_i32 s16, s16, s17
	s_add_i32 s14, s18, s16
	;; [unrolled: 1-line block ×4, first 2 shown]
	s_cmp_ge_i32 s14, s33
	v_add_u32_e32 v7, s24, v7
	s_cbranch_scc1 .LBB211_46
.LBB211_50:                             ;   Parent Loop BB211_47 Depth=1
                                        ; =>  This Loop Header: Depth=2
                                        ;       Child Loop BB211_51 Depth 3
                                        ;       Child Loop BB211_54 Depth 3
                                        ;         Child Loop BB211_55 Depth 4
                                        ;       Child Loop BB211_59 Depth 3
                                        ;         Child Loop BB211_61 Depth 4
	v_mov_b32_e32 v2, 0
	v_mov_b32_e32 v3, v7
	s_mov_b32 s14, s19
.LBB211_51:                             ;   Parent Loop BB211_47 Depth=1
                                        ;     Parent Loop BB211_50 Depth=2
                                        ; =>    This Inner Loop Header: Depth=3
	ds_read_b128 v[8:11], v3
	s_add_i32 s14, s14, -1
	v_add_u32_e32 v3, 0xc0, v3
	s_cmp_eq_u32 s14, 0
	s_waitcnt lgkmcnt(0)
	buffer_store_dword v11, v2, s[0:3], 0 offen offset:12
	buffer_store_dword v10, v2, s[0:3], 0 offen offset:8
	;; [unrolled: 1-line block ×3, first 2 shown]
	buffer_store_dword v8, v2, s[0:3], 0 offen
	v_add_u32_e32 v2, 16, v2
	s_cbranch_scc0 .LBB211_51
; %bb.52:                               ;   in Loop: Header=BB211_50 Depth=2
	s_cmp_lt_i32 s16, 1
	s_cbranch_scc1 .LBB211_57
; %bb.53:                               ;   in Loop: Header=BB211_50 Depth=2
	s_mov_b32 s14, 0
	s_mov_b32 s15, s28
.LBB211_54:                             ;   Parent Loop BB211_47 Depth=1
                                        ;     Parent Loop BB211_50 Depth=2
                                        ; =>    This Loop Header: Depth=3
                                        ;         Child Loop BB211_55 Depth 4
	s_mul_i32 s34, s14, 12
	v_add_lshl_u32 v2, s34, v0, 4
	ds_read_b128 v[2:5], v2 offset:2304
	v_mov_b32_e32 v8, 0
	s_mov_b32 s34, s15
	s_mov_b32 s35, s19
.LBB211_55:                             ;   Parent Loop BB211_47 Depth=1
                                        ;     Parent Loop BB211_50 Depth=2
                                        ;       Parent Loop BB211_54 Depth=3
                                        ; =>      This Inner Loop Header: Depth=4
	buffer_load_dword v14, v8, s[0:3], 0 offen
	buffer_load_dword v15, v8, s[0:3], 0 offen offset:4
	buffer_load_dword v16, v8, s[0:3], 0 offen offset:8
	;; [unrolled: 1-line block ×3, first 2 shown]
	v_mov_b32_e32 v9, s34
	ds_read_b128 v[10:13], v9
	s_add_i32 s35, s35, -1
	s_add_i32 s34, s34, 16
	s_cmp_eq_u32 s35, 0
	s_waitcnt lgkmcnt(0)
	v_mul_f64 v[18:19], v[4:5], v[12:13]
	v_mul_f64 v[12:13], v[2:3], v[12:13]
	v_fma_f64 v[18:19], v[2:3], v[10:11], -v[18:19]
	v_fmac_f64_e32 v[12:13], v[4:5], v[10:11]
	s_waitcnt vmcnt(2)
	v_add_f64 v[10:11], v[14:15], -v[18:19]
	s_waitcnt vmcnt(0)
	v_add_f64 v[12:13], v[16:17], -v[12:13]
	buffer_store_dword v10, v8, s[0:3], 0 offen
	buffer_store_dword v11, v8, s[0:3], 0 offen offset:4
	buffer_store_dword v12, v8, s[0:3], 0 offen offset:8
	;; [unrolled: 1-line block ×3, first 2 shown]
	v_add_u32_e32 v8, 16, v8
	s_cbranch_scc0 .LBB211_55
; %bb.56:                               ;   in Loop: Header=BB211_54 Depth=3
	s_add_i32 s14, s14, 1
	s_addk_i32 s15, 0xc0
	s_cmp_ge_i32 s14, s16
	s_cbranch_scc0 .LBB211_54
.LBB211_57:                             ;   in Loop: Header=BB211_50 Depth=2
	s_mov_b32 s34, 0
	s_mov_b32 s35, s30
	s_branch .LBB211_59
.LBB211_58:                             ;   in Loop: Header=BB211_59 Depth=3
	s_mul_i32 s14, s36, 0xd0
	v_mov_b32_e32 v8, s14
	ds_read_b128 v[8:11], v8
	s_mul_i32 s14, s36, 12
	s_lshl_b32 s15, s34, 4
	s_add_i32 s34, s34, 1
	s_add_i32 s35, s35, 16
	s_waitcnt vmcnt(0) lgkmcnt(0)
	v_mul_f64 v[12:13], v[10:11], v[4:5]
	v_mul_f64 v[14:15], v[8:9], v[4:5]
	v_add_u32_e32 v16, s15, v6
	v_fma_f64 v[12:13], v[8:9], v[2:3], -v[12:13]
	v_fmac_f64_e32 v[14:15], v[10:11], v[2:3]
	v_add_lshl_u32 v2, s14, v0, 4
	s_cmp_eq_u32 s34, s19
	buffer_store_dword v13, v16, s[0:3], 0 offen offset:4
	buffer_store_dword v12, v16, s[0:3], 0 offen
	buffer_store_dword v15, v16, s[0:3], 0 offen offset:12
	buffer_store_dword v14, v16, s[0:3], 0 offen offset:8
	ds_write_b128 v2, v[12:15] offset:2304
	s_cbranch_scc1 .LBB211_49
.LBB211_59:                             ;   Parent Loop BB211_47 Depth=1
                                        ;     Parent Loop BB211_50 Depth=2
                                        ; =>    This Loop Header: Depth=3
                                        ;         Child Loop BB211_61 Depth 4
	s_cmp_lg_u32 s34, 0
	s_cbranch_scc0 .LBB211_63
; %bb.60:                               ;   in Loop: Header=BB211_59 Depth=3
	s_lshl_b32 s14, s34, 4
	v_add_u32_e32 v8, s14, v6
	buffer_load_dword v2, v8, s[0:3], 0 offen
	buffer_load_dword v3, v8, s[0:3], 0 offen offset:4
	buffer_load_dword v4, v8, s[0:3], 0 offen offset:8
	;; [unrolled: 1-line block ×3, first 2 shown]
	s_add_i32 s36, s34, s16
	v_mov_b32_e32 v9, 0
	s_mov_b32 s14, 0
	s_mov_b32 s15, s35
.LBB211_61:                             ;   Parent Loop BB211_47 Depth=1
                                        ;     Parent Loop BB211_50 Depth=2
                                        ;       Parent Loop BB211_59 Depth=3
                                        ; =>      This Inner Loop Header: Depth=4
	buffer_load_dword v14, v9, s[0:3], 0 offen offset:8
	buffer_load_dword v15, v9, s[0:3], 0 offen offset:12
	buffer_load_dword v16, v9, s[0:3], 0 offen
	buffer_load_dword v17, v9, s[0:3], 0 offen offset:4
	v_mov_b32_e32 v10, s15
	ds_read_b128 v[10:13], v10
	s_add_i32 s14, s14, 1
	s_addk_i32 s15, 0xc0
	v_add_u32_e32 v9, 16, v9
	s_cmp_ge_u32 s14, s34
	s_waitcnt vmcnt(2) lgkmcnt(0)
	v_mul_f64 v[18:19], v[12:13], v[14:15]
	v_mul_f64 v[14:15], v[10:11], v[14:15]
	s_waitcnt vmcnt(0)
	v_fma_f64 v[10:11], v[10:11], v[16:17], -v[18:19]
	v_fmac_f64_e32 v[14:15], v[12:13], v[16:17]
	v_add_f64 v[2:3], v[2:3], -v[10:11]
	v_add_f64 v[4:5], v[4:5], -v[14:15]
	buffer_store_dword v2, v8, s[0:3], 0 offen
	buffer_store_dword v3, v8, s[0:3], 0 offen offset:4
	buffer_store_dword v4, v8, s[0:3], 0 offen offset:8
	;; [unrolled: 1-line block ×3, first 2 shown]
	s_cbranch_scc0 .LBB211_61
; %bb.62:                               ;   in Loop: Header=BB211_59 Depth=3
	s_branch .LBB211_58
.LBB211_63:                             ;   in Loop: Header=BB211_59 Depth=3
                                        ; implicit-def: $vgpr2_vgpr3
                                        ; implicit-def: $vgpr4_vgpr5
                                        ; implicit-def: $sgpr36
	s_cbranch_execz .LBB211_58
; %bb.64:                               ;   in Loop: Header=BB211_59 Depth=3
	buffer_load_dword v2, off, s[0:3], 0
	buffer_load_dword v3, off, s[0:3], 0 offset:4
	buffer_load_dword v4, off, s[0:3], 0 offset:8
	;; [unrolled: 1-line block ×3, first 2 shown]
	s_mov_b32 s36, s16
	s_branch .LBB211_58
.LBB211_65:
	s_waitcnt lgkmcnt(0)
	; wave barrier
	s_waitcnt lgkmcnt(0)
	s_and_saveexec_b64 s[12:13], s[10:11]
	s_cbranch_execz .LBB211_73
; %bb.66:
	s_cmp_lt_i32 s26, 8
	s_mov_b32 s11, 0
	s_cbranch_scc1 .LBB211_70
; %bb.67:
	v_mad_i64_i32 v[2:3], s[10:11], s20, v0, 0
	v_lshlrev_b64 v[2:3], 4, v[2:3]
	v_mov_b32_e32 v4, s27
	v_add_co_u32_e32 v1, vcc, s25, v2
	v_addc_co_u32_e32 v2, vcc, v4, v3, vcc
	v_mov_b32_e32 v3, 0x900
	s_lshl_b32 s10, s33, 4
	v_lshl_or_b32 v3, v0, 4, v3
	s_and_b32 s12, s10, 0x80
	s_mov_b64 s[10:11], 0
.LBB211_68:                             ; =>This Inner Loop Header: Depth=1
	ds_read2_b64 v[4:7], v3 offset1:1
	ds_read2_b64 v[8:11], v3 offset0:24 offset1:25
	ds_read2_b64 v[12:15], v3 offset0:48 offset1:49
	;; [unrolled: 1-line block ×7, first 2 shown]
	v_add_co_u32_e32 v36, vcc, s10, v1
	s_add_u32 s10, s10, 0x80
	v_mov_b32_e32 v37, s11
	s_addc_u32 s11, s11, 0
	v_add_u32_e32 v3, 0x600, v3
	v_addc_co_u32_e32 v37, vcc, v2, v37, vcc
	s_cmp_lg_u32 s12, s10
	s_waitcnt lgkmcnt(7)
	global_store_dwordx4 v[36:37], v[4:7], off
	s_waitcnt lgkmcnt(6)
	global_store_dwordx4 v[36:37], v[8:11], off offset:16
	s_waitcnt lgkmcnt(5)
	global_store_dwordx4 v[36:37], v[12:15], off offset:32
	s_waitcnt lgkmcnt(4)
	global_store_dwordx4 v[36:37], v[16:19], off offset:48
	s_waitcnt lgkmcnt(3)
	global_store_dwordx4 v[36:37], v[20:23], off offset:64
	s_waitcnt lgkmcnt(2)
	global_store_dwordx4 v[36:37], v[24:27], off offset:80
	s_waitcnt lgkmcnt(1)
	global_store_dwordx4 v[36:37], v[28:31], off offset:96
	s_waitcnt lgkmcnt(0)
	global_store_dwordx4 v[36:37], v[32:35], off offset:112
	s_cbranch_scc1 .LBB211_68
; %bb.69:
	s_mov_b32 s11, 8
.LBB211_70:
	s_and_b32 s10, s33, 7
	s_cmp_eq_u32 s10, 0
	s_cbranch_scc1 .LBB211_73
; %bb.71:
	s_lshl_b64 s[8:9], s[8:9], 4
	v_lshlrev_b32_e32 v1, 4, v0
	v_add_co_u32_e32 v1, vcc, s8, v1
	s_lshl_b32 s8, s11, 4
	s_add_u32 s8, s22, s8
	v_mov_b32_e32 v2, s9
	s_addc_u32 s9, s23, 0
	s_add_u32 s6, s8, s6
	s_addc_u32 s7, s9, s7
	s_add_u32 s4, s6, s4
	s_addc_u32 s5, s7, s5
	v_addc_co_u32_e32 v4, vcc, 0, v2, vcc
	v_pk_mov_b32 v[2:3], s[4:5], s[4:5] op_sel:[0,1]
	v_mad_u64_u32 v[2:3], s[4:5], v1, s20, v[2:3]
	s_mul_i32 s4, s11, 0xc0
	v_mul_lo_u32 v1, v1, s21
	v_mul_lo_u32 v4, v4, s20
	v_lshl_add_u32 v0, v0, 4, s4
	v_add3_u32 v3, v4, v3, v1
	v_add_u32_e32 v0, 0x900, v0
.LBB211_72:                             ; =>This Inner Loop Header: Depth=1
	ds_read2_b64 v[4:7], v0 offset1:1
	s_add_i32 s10, s10, -1
	v_add_u32_e32 v0, 0xc0, v0
	s_cmp_lg_u32 s10, 0
	s_waitcnt lgkmcnt(0)
	global_store_dwordx4 v[2:3], v[4:7], off
	v_add_co_u32_e32 v2, vcc, 16, v2
	v_addc_co_u32_e32 v3, vcc, 0, v3, vcc
	s_cbranch_scc1 .LBB211_72
.LBB211_73:
	s_endpgm
	.section	.rodata,"a",@progbits
	.p2align	6, 0x0
	.amdhsa_kernel _ZL38rocblas_trsm_small_left_device_sharedBILi12ELi12ELb1E19rocblas_complex_numIdES1_PKS1_PS1_Ev13rocblas_fill_18rocblas_operation_17rocblas_diagonal_iiT3_T4_lilT5_lili
		.amdhsa_group_segment_fixed_size 4608
		.amdhsa_private_segment_fixed_size 208
		.amdhsa_kernarg_size 368
		.amdhsa_user_sgpr_count 8
		.amdhsa_user_sgpr_private_segment_buffer 1
		.amdhsa_user_sgpr_dispatch_ptr 0
		.amdhsa_user_sgpr_queue_ptr 0
		.amdhsa_user_sgpr_kernarg_segment_ptr 1
		.amdhsa_user_sgpr_dispatch_id 0
		.amdhsa_user_sgpr_flat_scratch_init 1
		.amdhsa_user_sgpr_kernarg_preload_length 0
		.amdhsa_user_sgpr_kernarg_preload_offset 0
		.amdhsa_user_sgpr_private_segment_size 0
		.amdhsa_uses_dynamic_stack 0
		.amdhsa_system_sgpr_private_segment_wavefront_offset 1
		.amdhsa_system_sgpr_workgroup_id_x 1
		.amdhsa_system_sgpr_workgroup_id_y 0
		.amdhsa_system_sgpr_workgroup_id_z 1
		.amdhsa_system_sgpr_workgroup_info 0
		.amdhsa_system_vgpr_workitem_id 0
		.amdhsa_next_free_vgpr 54
		.amdhsa_next_free_sgpr 43
		.amdhsa_accum_offset 56
		.amdhsa_reserve_vcc 1
		.amdhsa_reserve_flat_scratch 0
		.amdhsa_float_round_mode_32 0
		.amdhsa_float_round_mode_16_64 0
		.amdhsa_float_denorm_mode_32 3
		.amdhsa_float_denorm_mode_16_64 3
		.amdhsa_dx10_clamp 1
		.amdhsa_ieee_mode 1
		.amdhsa_fp16_overflow 0
		.amdhsa_tg_split 0
		.amdhsa_exception_fp_ieee_invalid_op 0
		.amdhsa_exception_fp_denorm_src 0
		.amdhsa_exception_fp_ieee_div_zero 0
		.amdhsa_exception_fp_ieee_overflow 0
		.amdhsa_exception_fp_ieee_underflow 0
		.amdhsa_exception_fp_ieee_inexact 0
		.amdhsa_exception_int_div_zero 0
	.end_amdhsa_kernel
	.section	.text._ZL38rocblas_trsm_small_left_device_sharedBILi12ELi12ELb1E19rocblas_complex_numIdES1_PKS1_PS1_Ev13rocblas_fill_18rocblas_operation_17rocblas_diagonal_iiT3_T4_lilT5_lili,"axG",@progbits,_ZL38rocblas_trsm_small_left_device_sharedBILi12ELi12ELb1E19rocblas_complex_numIdES1_PKS1_PS1_Ev13rocblas_fill_18rocblas_operation_17rocblas_diagonal_iiT3_T4_lilT5_lili,comdat
.Lfunc_end211:
	.size	_ZL38rocblas_trsm_small_left_device_sharedBILi12ELi12ELb1E19rocblas_complex_numIdES1_PKS1_PS1_Ev13rocblas_fill_18rocblas_operation_17rocblas_diagonal_iiT3_T4_lilT5_lili, .Lfunc_end211-_ZL38rocblas_trsm_small_left_device_sharedBILi12ELi12ELb1E19rocblas_complex_numIdES1_PKS1_PS1_Ev13rocblas_fill_18rocblas_operation_17rocblas_diagonal_iiT3_T4_lilT5_lili
                                        ; -- End function
	.section	.AMDGPU.csdata,"",@progbits
; Kernel info:
; codeLenInByte = 4300
; NumSgprs: 47
; NumVgprs: 54
; NumAgprs: 0
; TotalNumVgprs: 54
; ScratchSize: 208
; MemoryBound: 0
; FloatMode: 240
; IeeeMode: 1
; LDSByteSize: 4608 bytes/workgroup (compile time only)
; SGPRBlocks: 5
; VGPRBlocks: 6
; NumSGPRsForWavesPerEU: 47
; NumVGPRsForWavesPerEU: 54
; AccumOffset: 56
; Occupancy: 4
; WaveLimiterHint : 0
; COMPUTE_PGM_RSRC2:SCRATCH_EN: 1
; COMPUTE_PGM_RSRC2:USER_SGPR: 8
; COMPUTE_PGM_RSRC2:TRAP_HANDLER: 0
; COMPUTE_PGM_RSRC2:TGID_X_EN: 1
; COMPUTE_PGM_RSRC2:TGID_Y_EN: 0
; COMPUTE_PGM_RSRC2:TGID_Z_EN: 1
; COMPUTE_PGM_RSRC2:TIDIG_COMP_CNT: 0
; COMPUTE_PGM_RSRC3_GFX90A:ACCUM_OFFSET: 13
; COMPUTE_PGM_RSRC3_GFX90A:TG_SPLIT: 0
	.section	.text._ZL30rocblas_trsm_small_left_deviceILi12ELi12ELb1E19rocblas_complex_numIdES1_PKS1_PS1_Ev13rocblas_fill_18rocblas_operation_17rocblas_diagonal_iiT3_T4_lilT5_lili,"axG",@progbits,_ZL30rocblas_trsm_small_left_deviceILi12ELi12ELb1E19rocblas_complex_numIdES1_PKS1_PS1_Ev13rocblas_fill_18rocblas_operation_17rocblas_diagonal_iiT3_T4_lilT5_lili,comdat
	.globl	_ZL30rocblas_trsm_small_left_deviceILi12ELi12ELb1E19rocblas_complex_numIdES1_PKS1_PS1_Ev13rocblas_fill_18rocblas_operation_17rocblas_diagonal_iiT3_T4_lilT5_lili ; -- Begin function _ZL30rocblas_trsm_small_left_deviceILi12ELi12ELb1E19rocblas_complex_numIdES1_PKS1_PS1_Ev13rocblas_fill_18rocblas_operation_17rocblas_diagonal_iiT3_T4_lilT5_lili
	.p2align	8
	.type	_ZL30rocblas_trsm_small_left_deviceILi12ELi12ELb1E19rocblas_complex_numIdES1_PKS1_PS1_Ev13rocblas_fill_18rocblas_operation_17rocblas_diagonal_iiT3_T4_lilT5_lili,@function
_ZL30rocblas_trsm_small_left_deviceILi12ELi12ELb1E19rocblas_complex_numIdES1_PKS1_PS1_Ev13rocblas_fill_18rocblas_operation_17rocblas_diagonal_iiT3_T4_lilT5_lili: ; @_ZL30rocblas_trsm_small_left_deviceILi12ELi12ELb1E19rocblas_complex_numIdES1_PKS1_PS1_Ev13rocblas_fill_18rocblas_operation_17rocblas_diagonal_iiT3_T4_lilT5_lili
; %bb.0:
	s_add_u32 s0, s0, s10
	s_load_dwordx4 s[24:27], s[4:5], 0x4
	s_load_dwordx8 s[12:19], s[4:5], 0x18
	s_load_dwordx4 s[20:23], s[4:5], 0x40
	s_load_dwordx2 s[10:11], s[4:5], 0x50
	s_load_dword s38, s[4:5], 0x70
	s_addc_u32 s1, s1, 0
	s_waitcnt lgkmcnt(0)
	s_min_i32 s26, s26, 12
	s_mov_b32 s39, 0
	s_add_i32 s33, s26, -1
	v_cmp_gt_i32_e32 vcc, s26, v0
	s_and_saveexec_b64 s[28:29], vcc
	s_cbranch_execz .LBB212_15
; %bb.1:
	s_load_dword s30, s[4:5], 0x38
	v_lshlrev_b32_e32 v1, 4, v0
	s_mul_i32 s40, s21, s9
	s_mul_hi_u32 s41, s20, s9
	s_mul_i32 s20, s20, s9
	s_waitcnt lgkmcnt(0)
	s_ashr_i32 s31, s30, 31
	s_cmpk_eq_i32 s24, 0x71
	s_cselect_b64 vcc, -1, 0
	s_cmp_lt_u32 s33, 3
	s_cbranch_scc1 .LBB212_4
; %bb.2:
	s_add_i32 s21, s41, s40
	s_and_b32 s39, s26, -4
	s_lshl_b64 s[6:7], s[20:21], 4
	s_lshl_b64 s[34:35], s[18:19], 4
	s_add_u32 s6, s6, s34
	s_addc_u32 s7, s7, s35
	s_add_u32 s6, s16, s6
	v_lshlrev_b32_e32 v2, 4, v0
	s_addc_u32 s7, s17, s7
	v_mov_b32_e32 v3, s7
	v_add_co_u32_e64 v2, s[6:7], s6, v2
	v_addc_co_u32_e64 v3, s[6:7], 0, v3, s[6:7]
	v_add_co_u32_e64 v2, s[6:7], 8, v2
	s_lshl_b64 s[34:35], s[30:31], 6
	s_lshl_b64 s[36:37], s[30:31], 4
	v_addc_co_u32_e64 v3, s[6:7], 0, v3, s[6:7]
	s_mov_b32 s21, 0
	v_mov_b32_e32 v4, s37
	v_mov_b32_e32 v5, s35
	;; [unrolled: 1-line block ×3, first 2 shown]
.LBB212_3:                              ; =>This Inner Loop Header: Depth=1
	v_add_co_u32_e64 v20, s[6:7], s36, v2
	v_addc_co_u32_e64 v21, s[6:7], v3, v4, s[6:7]
	v_add_co_u32_e64 v22, s[6:7], s36, v20
	global_load_dwordx4 v[8:11], v[2:3], off offset:-8
	v_addc_co_u32_e64 v23, s[6:7], v21, v4, s[6:7]
	global_load_dwordx4 v[12:15], v[20:21], off offset:-8
	global_load_dwordx4 v[16:19], v[22:23], off offset:-8
	v_add_co_u32_e64 v20, s[6:7], s36, v22
	v_addc_co_u32_e64 v21, s[6:7], v23, v4, s[6:7]
	global_load_dwordx4 v[20:23], v[20:21], off offset:-8
	s_add_i32 s21, s21, 4
	v_add_co_u32_e64 v2, s[6:7], s34, v2
	s_cmp_eq_u32 s39, s21
	v_addc_co_u32_e64 v3, s[6:7], v3, v5, s[6:7]
	s_waitcnt vmcnt(3)
	v_xor_b32_e32 v7, 0x80000000, v11
	v_cndmask_b32_e32 v11, v11, v7, vcc
	s_waitcnt vmcnt(2)
	v_xor_b32_e32 v7, 0x80000000, v15
	v_cndmask_b32_e32 v15, v15, v7, vcc
	;; [unrolled: 3-line block ×3, first 2 shown]
	ds_write_b128 v6, v[8:11]
	ds_write_b128 v6, v[12:15] offset:192
	s_waitcnt vmcnt(0)
	v_xor_b32_e32 v7, 0x80000000, v23
	v_cndmask_b32_e32 v23, v23, v7, vcc
	ds_write_b128 v6, v[16:19] offset:384
	ds_write_b128 v6, v[20:23] offset:576
	v_add_u32_e32 v6, 0x300, v6
	s_cbranch_scc0 .LBB212_3
.LBB212_4:
	s_and_b32 s34, s26, 3
	s_cmp_eq_u32 s34, 0
	s_cbranch_scc1 .LBB212_7
; %bb.5:
	s_mul_i32 s6, s39, 0xc0
	s_add_i32 s21, s41, s40
	v_lshl_add_u32 v4, v0, 4, s6
	s_lshl_b64 s[6:7], s[20:21], 4
	s_mul_i32 s20, s31, s39
	s_mul_hi_u32 s21, s30, s39
	s_add_i32 s21, s21, s20
	s_mul_i32 s20, s30, s39
	s_lshl_b64 s[20:21], s[20:21], 4
	s_add_u32 s20, s6, s20
	s_addc_u32 s21, s7, s21
	s_lshl_b64 s[6:7], s[18:19], 4
	s_add_u32 s6, s20, s6
	s_addc_u32 s7, s21, s7
	s_add_u32 s6, s16, s6
	s_addc_u32 s7, s17, s7
	v_mov_b32_e32 v2, s7
	v_add_co_u32_e64 v1, s[6:7], s6, v1
	v_addc_co_u32_e64 v3, s[6:7], 0, v2, s[6:7]
	v_add_co_u32_e64 v2, s[6:7], 8, v1
	s_lshl_b64 s[16:17], s[30:31], 4
	v_addc_co_u32_e64 v3, s[6:7], 0, v3, s[6:7]
	v_mov_b32_e32 v1, s17
.LBB212_6:                              ; =>This Inner Loop Header: Depth=1
	global_load_dwordx4 v[6:9], v[2:3], off offset:-8
	v_add_co_u32_e64 v2, s[6:7], s16, v2
	s_add_i32 s34, s34, -1
	v_addc_co_u32_e64 v3, s[6:7], v3, v1, s[6:7]
	s_cmp_lg_u32 s34, 0
	s_waitcnt vmcnt(0)
	v_xor_b32_e32 v5, 0x80000000, v9
	v_cndmask_b32_e32 v9, v9, v5, vcc
	ds_write_b128 v4, v[6:9]
	v_add_u32_e32 v4, 0xc0, v4
	s_cbranch_scc1 .LBB212_6
.LBB212_7:
	v_mul_u32_u24_e32 v1, 13, v0
	s_cmpk_lg_i32 s25, 0x84
	v_lshlrev_b32_e32 v1, 4, v1
	s_cbranch_scc0 .LBB212_13
; %bb.8:
	ds_read_b128 v[2:5], v1
	s_waitcnt lgkmcnt(0)
	v_xor_b32_e32 v7, 0x80000000, v3
	v_cmp_gt_f64_e32 vcc, 0, v[2:3]
	v_xor_b32_e32 v8, 0x80000000, v5
	v_cndmask_b32_e32 v7, v3, v7, vcc
	v_cmp_gt_f64_e32 vcc, 0, v[4:5]
	v_mov_b32_e32 v6, v2
	v_cndmask_b32_e32 v9, v5, v8, vcc
	v_mov_b32_e32 v8, v4
	v_cmp_ngt_f64_e32 vcc, v[6:7], v[8:9]
                                        ; implicit-def: $vgpr8_vgpr9
	s_and_saveexec_b64 s[6:7], vcc
	s_xor_b64 s[6:7], exec, s[6:7]
	s_cbranch_execz .LBB212_10
; %bb.9:
	v_div_scale_f64 v[6:7], s[16:17], v[4:5], v[4:5], v[2:3]
	v_rcp_f64_e32 v[8:9], v[6:7]
	v_div_scale_f64 v[10:11], vcc, v[2:3], v[4:5], v[2:3]
	v_fma_f64 v[12:13], -v[6:7], v[8:9], 1.0
	v_fmac_f64_e32 v[8:9], v[8:9], v[12:13]
	v_fma_f64 v[12:13], -v[6:7], v[8:9], 1.0
	v_fmac_f64_e32 v[8:9], v[8:9], v[12:13]
	v_mul_f64 v[12:13], v[10:11], v[8:9]
	v_fma_f64 v[6:7], -v[6:7], v[12:13], v[10:11]
	v_div_fmas_f64 v[6:7], v[6:7], v[8:9], v[12:13]
	v_div_fixup_f64 v[8:9], v[6:7], v[4:5], v[2:3]
	v_fmac_f64_e32 v[4:5], v[2:3], v[8:9]
	v_div_scale_f64 v[2:3], s[16:17], v[4:5], v[4:5], 1.0
	v_rcp_f64_e32 v[6:7], v[2:3]
	v_fma_f64 v[10:11], -v[2:3], v[6:7], 1.0
	v_fmac_f64_e32 v[6:7], v[6:7], v[10:11]
	v_fma_f64 v[10:11], -v[2:3], v[6:7], 1.0
	v_fmac_f64_e32 v[6:7], v[6:7], v[10:11]
	v_div_scale_f64 v[10:11], vcc, 1.0, v[4:5], 1.0
	v_mul_f64 v[12:13], v[10:11], v[6:7]
	v_fma_f64 v[2:3], -v[2:3], v[12:13], v[10:11]
	s_nop 1
	v_div_fmas_f64 v[2:3], v[2:3], v[6:7], v[12:13]
	v_div_fixup_f64 v[2:3], v[2:3], v[4:5], 1.0
	v_add_f64 v[4:5], v[8:9], 0
	v_mul_f64 v[6:7], v[4:5], v[2:3]
	v_fma_f64 v[4:5], v[8:9], 0, -1.0
	v_mul_f64 v[8:9], v[4:5], v[2:3]
                                        ; implicit-def: $vgpr2_vgpr3
.LBB212_10:
	s_andn2_saveexec_b64 s[6:7], s[6:7]
	s_cbranch_execz .LBB212_12
; %bb.11:
	v_div_scale_f64 v[6:7], s[16:17], v[2:3], v[2:3], v[4:5]
	v_rcp_f64_e32 v[8:9], v[6:7]
	v_div_scale_f64 v[10:11], vcc, v[4:5], v[2:3], v[4:5]
	v_fma_f64 v[12:13], -v[6:7], v[8:9], 1.0
	v_fmac_f64_e32 v[8:9], v[8:9], v[12:13]
	v_fma_f64 v[12:13], -v[6:7], v[8:9], 1.0
	v_fmac_f64_e32 v[8:9], v[8:9], v[12:13]
	v_mul_f64 v[12:13], v[10:11], v[8:9]
	v_fma_f64 v[6:7], -v[6:7], v[12:13], v[10:11]
	v_div_fmas_f64 v[6:7], v[6:7], v[8:9], v[12:13]
	v_div_fixup_f64 v[8:9], v[6:7], v[2:3], v[4:5]
	v_fmac_f64_e32 v[2:3], v[4:5], v[8:9]
	v_div_scale_f64 v[4:5], s[16:17], v[2:3], v[2:3], 1.0
	v_rcp_f64_e32 v[6:7], v[4:5]
	v_fma_f64 v[10:11], -v[4:5], v[6:7], 1.0
	v_fmac_f64_e32 v[6:7], v[6:7], v[10:11]
	v_fma_f64 v[10:11], -v[4:5], v[6:7], 1.0
	v_fmac_f64_e32 v[6:7], v[6:7], v[10:11]
	v_div_scale_f64 v[10:11], vcc, 1.0, v[2:3], 1.0
	v_mul_f64 v[12:13], v[10:11], v[6:7]
	v_fma_f64 v[4:5], -v[4:5], v[12:13], v[10:11]
	s_nop 1
	v_div_fmas_f64 v[4:5], v[4:5], v[6:7], v[12:13]
	v_div_fixup_f64 v[2:3], v[4:5], v[2:3], 1.0
	v_fma_f64 v[4:5], v[8:9], 0, 1.0
	v_mul_f64 v[6:7], v[4:5], v[2:3]
	v_add_f64 v[4:5], -v[8:9], 0
	v_mul_f64 v[8:9], v[4:5], v[2:3]
.LBB212_12:
	s_or_b64 exec, exec, s[6:7]
	s_branch .LBB212_14
.LBB212_13:
	v_mov_b32_e32 v6, 0
	v_mov_b32_e32 v7, 0x3ff00000
	v_pk_mov_b32 v[8:9], 0, 0
.LBB212_14:
	ds_write_b128 v1, v[6:9]
.LBB212_15:
	s_or_b64 exec, exec, s[28:29]
	s_mul_i32 s6, s8, -12
	s_add_i32 s38, s38, -1
	s_add_i32 s6, s6, s27
	s_cmp_ge_u32 s8, s38
	s_cselect_b32 s6, s6, 12
	v_cmp_gt_i32_e32 vcc, s6, v0
	s_waitcnt lgkmcnt(0)
	; wave barrier
	s_waitcnt lgkmcnt(0)
	s_and_saveexec_b64 s[6:7], vcc
	s_cbranch_execz .LBB212_58
; %bb.16:
	s_load_dwordx2 s[6:7], s[4:5], 0x60
	s_load_dword s16, s[4:5], 0x58
	s_waitcnt lgkmcnt(0)
	s_mul_i32 s5, s9, s7
	s_mul_hi_u32 s7, s9, s6
	s_mul_i32 s4, s9, s6
	s_add_i32 s5, s7, s5
	s_lshl_b64 s[4:5], s[4:5], 4
	s_add_u32 s9, s22, s4
	s_addc_u32 s17, s23, s5
	s_lshl_b64 s[6:7], s[10:11], 4
	s_add_u32 s10, s9, s6
	v_mad_u64_u32 v[0:1], s[8:9], s8, 12, v[0:1]
	v_mad_i64_i32 v[0:1], s[8:9], s16, v0, 0
	s_addc_u32 s11, s17, s7
	v_lshlrev_b64 v[4:5], 4, v[0:1]
	v_mov_b32_e32 v0, s11
	v_add_co_u32_e32 v6, vcc, s10, v4
	v_addc_co_u32_e32 v7, vcc, v0, v5, vcc
	s_cmpk_eq_i32 s24, 0x6f
	s_mov_b64 s[8:9], -1
	s_cbranch_scc1 .LBB212_37
; %bb.17:
	s_add_u32 s8, s22, s6
	s_addc_u32 s9, s23, s7
	s_add_u32 s8, s8, s4
	s_addc_u32 s9, s9, s5
	v_mov_b32_e32 v0, s9
	v_add_co_u32_e32 v1, vcc, s8, v4
	v_addc_co_u32_e32 v0, vcc, v0, v5, vcc
	v_add_co_u32_e32 v8, vcc, 8, v1
	s_lshl_b32 s24, s26, 4
	s_mov_b32 s9, 0
	v_addc_co_u32_e32 v9, vcc, 0, v0, vcc
	s_add_i32 s24, s24, -16
	v_mov_b32_e32 v10, 0
	s_mov_b32 s8, s9
	s_mov_b32 s10, s33
	s_branch .LBB212_19
.LBB212_18:                             ;   in Loop: Header=BB212_19 Depth=1
	s_cmp_lt_i32 s10, 0
	s_cselect_b64 s[16:17], -1, 0
	s_add_i32 s8, s8, 1
	s_cmp_eq_u32 s8, 3
	s_cselect_b64 s[18:19], -1, 0
	s_or_b64 s[16:17], s[16:17], s[18:19]
	s_andn2_b64 vcc, exec, s[16:17]
	s_cbranch_vccz .LBB212_36
.LBB212_19:                             ; =>This Loop Header: Depth=1
                                        ;     Child Loop BB212_22 Depth 2
                                        ;       Child Loop BB212_23 Depth 3
                                        ;       Child Loop BB212_25 Depth 3
                                        ;         Child Loop BB212_26 Depth 4
                                        ;       Child Loop BB212_30 Depth 3
                                        ;         Child Loop BB212_32 Depth 4
	s_lshl_b64 s[16:17], s[8:9], 2
	s_getpc_b64 s[18:19]
	s_add_u32 s18, s18, __const._ZL30rocblas_trsm_small_left_deviceILi12ELi12ELb1E19rocblas_complex_numIdES1_PKS1_PS1_Ev13rocblas_fill_18rocblas_operation_17rocblas_diagonal_iiT3_T4_lilT5_lili.step_sizes@rel32@lo+4
	s_addc_u32 s19, s19, __const._ZL30rocblas_trsm_small_left_deviceILi12ELi12ELb1E19rocblas_complex_numIdES1_PKS1_PS1_Ev13rocblas_fill_18rocblas_operation_17rocblas_diagonal_iiT3_T4_lilT5_lili.step_sizes@rel32@hi+12
	s_add_u32 s16, s16, s18
	s_addc_u32 s17, s17, s19
	s_load_dword s25, s[16:17], 0x0
	s_waitcnt lgkmcnt(0)
	s_add_i32 s27, s25, -1
	s_cmp_lt_i32 s10, s27
	s_cbranch_scc1 .LBB212_18
; %bb.20:                               ;   in Loop: Header=BB212_19 Depth=1
	s_mul_i32 s11, s10, 0xc0
	s_max_i32 s28, s25, 1
	s_add_i32 s29, s24, s11
	s_mul_i32 s30, s25, 0xffffff40
	s_mul_i32 s31, s10, 0xd0
	;; [unrolled: 1-line block ×3, first 2 shown]
	s_branch .LBB212_22
.LBB212_21:                             ;   in Loop: Header=BB212_22 Depth=2
	s_sub_i32 s10, s10, s25
	s_add_i32 s29, s29, s30
	s_add_i32 s31, s31, s34
	s_cmp_lt_i32 s10, s27
	s_cbranch_scc1 .LBB212_18
.LBB212_22:                             ;   Parent Loop BB212_19 Depth=1
                                        ; =>  This Loop Header: Depth=2
                                        ;       Child Loop BB212_23 Depth 3
                                        ;       Child Loop BB212_25 Depth 3
                                        ;         Child Loop BB212_26 Depth 4
                                        ;       Child Loop BB212_30 Depth 3
                                        ;         Child Loop BB212_32 Depth 4
	s_ashr_i32 s11, s10, 31
	s_lshl_b64 s[16:17], s[10:11], 4
	v_mov_b32_e32 v1, s17
	v_add_co_u32_e32 v0, vcc, s16, v8
	v_addc_co_u32_e32 v1, vcc, v9, v1, vcc
	v_mov_b32_e32 v2, 0
	s_mov_b32 s16, s28
.LBB212_23:                             ;   Parent Loop BB212_19 Depth=1
                                        ;     Parent Loop BB212_22 Depth=2
                                        ; =>    This Inner Loop Header: Depth=3
	global_load_dwordx4 v[12:15], v[0:1], off offset:-8
	s_add_i32 s16, s16, -1
	v_add_co_u32_e32 v0, vcc, -16, v0
	v_addc_co_u32_e32 v1, vcc, -1, v1, vcc
	s_cmp_eq_u32 s16, 0
	s_waitcnt vmcnt(0)
	v_mul_f64 v[16:17], s[14:15], v[14:15]
	v_mul_f64 v[14:15], s[12:13], v[14:15]
	v_fma_f64 v[16:17], s[12:13], v[12:13], -v[16:17]
	v_fmac_f64_e32 v[14:15], s[14:15], v[12:13]
	buffer_store_dword v17, v2, s[0:3], 0 offen offset:4
	buffer_store_dword v16, v2, s[0:3], 0 offen
	buffer_store_dword v15, v2, s[0:3], 0 offen offset:12
	buffer_store_dword v14, v2, s[0:3], 0 offen offset:8
	v_add_u32_e32 v2, 16, v2
	s_cbranch_scc0 .LBB212_23
; %bb.24:                               ;   in Loop: Header=BB212_22 Depth=2
	s_cmp_le_i32 s33, s10
	s_mov_b32 s18, s29
	s_mov_b32 s16, s33
	s_cbranch_scc1 .LBB212_28
.LBB212_25:                             ;   Parent Loop BB212_19 Depth=1
                                        ;     Parent Loop BB212_22 Depth=2
                                        ; =>    This Loop Header: Depth=3
                                        ;         Child Loop BB212_26 Depth 4
	s_ashr_i32 s17, s16, 31
	s_lshl_b64 s[20:21], s[16:17], 4
	v_mov_b32_e32 v1, s21
	v_add_co_u32_e32 v0, vcc, s20, v6
	v_addc_co_u32_e32 v1, vcc, v7, v1, vcc
	global_load_dwordx4 v[0:3], v[0:1], off
	v_mov_b32_e32 v11, 0
	s_mov_b32 s17, s18
	s_mov_b32 s19, s28
.LBB212_26:                             ;   Parent Loop BB212_19 Depth=1
                                        ;     Parent Loop BB212_22 Depth=2
                                        ;       Parent Loop BB212_25 Depth=3
                                        ; =>      This Inner Loop Header: Depth=4
	buffer_load_dword v16, v11, s[0:3], 0 offen
	buffer_load_dword v17, v11, s[0:3], 0 offen offset:4
	buffer_load_dword v18, v11, s[0:3], 0 offen offset:8
	;; [unrolled: 1-line block ×3, first 2 shown]
	v_mov_b32_e32 v12, s17
	ds_read_b128 v[12:15], v12
	s_add_i32 s19, s19, -1
	s_addk_i32 s17, 0xff40
	s_cmp_eq_u32 s19, 0
	s_waitcnt vmcnt(4) lgkmcnt(0)
	v_mul_f64 v[20:21], v[2:3], v[14:15]
	v_mul_f64 v[14:15], v[0:1], v[14:15]
	v_fma_f64 v[20:21], v[0:1], v[12:13], -v[20:21]
	v_fmac_f64_e32 v[14:15], v[2:3], v[12:13]
	s_waitcnt vmcnt(2)
	v_add_f64 v[12:13], v[16:17], -v[20:21]
	s_waitcnt vmcnt(0)
	v_add_f64 v[14:15], v[18:19], -v[14:15]
	buffer_store_dword v12, v11, s[0:3], 0 offen
	buffer_store_dword v13, v11, s[0:3], 0 offen offset:4
	buffer_store_dword v14, v11, s[0:3], 0 offen offset:8
	;; [unrolled: 1-line block ×3, first 2 shown]
	v_add_u32_e32 v11, 16, v11
	s_cbranch_scc0 .LBB212_26
; %bb.27:                               ;   in Loop: Header=BB212_25 Depth=3
	s_add_i32 s16, s16, -1
	s_add_i32 s18, s18, -16
	s_cmp_le_i32 s16, s10
	s_cbranch_scc0 .LBB212_25
.LBB212_28:                             ;   in Loop: Header=BB212_22 Depth=2
	s_mov_b32 s35, 0
	s_mov_b32 s36, s31
	s_branch .LBB212_30
.LBB212_29:                             ;   in Loop: Header=BB212_30 Depth=3
	s_mulk_i32 s18, 0xd0
	v_mov_b32_e32 v11, s18
	ds_read_b128 v[12:15], v11
	s_lshl_b64 s[16:17], s[16:17], 4
	s_lshl_b32 s18, s35, 4
	s_add_i32 s35, s35, 1
	s_addk_i32 s36, 0xff40
	s_waitcnt vmcnt(0) lgkmcnt(0)
	v_mul_f64 v[16:17], v[14:15], v[2:3]
	v_mul_f64 v[18:19], v[12:13], v[2:3]
	v_fma_f64 v[16:17], v[12:13], v[0:1], -v[16:17]
	v_fmac_f64_e32 v[18:19], v[14:15], v[0:1]
	v_mov_b32_e32 v1, s17
	v_add_co_u32_e32 v0, vcc, s16, v6
	v_add_u32_e32 v11, s18, v10
	v_addc_co_u32_e32 v1, vcc, v7, v1, vcc
	s_cmp_eq_u32 s35, s28
	buffer_store_dword v17, v11, s[0:3], 0 offen offset:4
	buffer_store_dword v16, v11, s[0:3], 0 offen
	buffer_store_dword v19, v11, s[0:3], 0 offen offset:12
	buffer_store_dword v18, v11, s[0:3], 0 offen offset:8
	global_store_dwordx4 v[0:1], v[16:19], off
	s_cbranch_scc1 .LBB212_21
.LBB212_30:                             ;   Parent Loop BB212_19 Depth=1
                                        ;     Parent Loop BB212_22 Depth=2
                                        ; =>    This Loop Header: Depth=3
                                        ;         Child Loop BB212_32 Depth 4
	s_cmp_lg_u32 s35, 0
	s_cbranch_scc0 .LBB212_34
; %bb.31:                               ;   in Loop: Header=BB212_30 Depth=3
	s_lshl_b32 s16, s35, 4
	v_add_u32_e32 v11, s16, v10
	buffer_load_dword v0, v11, s[0:3], 0 offen
	buffer_load_dword v1, v11, s[0:3], 0 offen offset:4
	buffer_load_dword v2, v11, s[0:3], 0 offen offset:8
	;; [unrolled: 1-line block ×3, first 2 shown]
	v_mov_b32_e32 v12, 0
	s_mov_b32 s16, 0
	s_mov_b32 s17, s36
.LBB212_32:                             ;   Parent Loop BB212_19 Depth=1
                                        ;     Parent Loop BB212_22 Depth=2
                                        ;       Parent Loop BB212_30 Depth=3
                                        ; =>      This Inner Loop Header: Depth=4
	buffer_load_dword v18, v12, s[0:3], 0 offen offset:8
	buffer_load_dword v19, v12, s[0:3], 0 offen offset:12
	buffer_load_dword v20, v12, s[0:3], 0 offen
	buffer_load_dword v21, v12, s[0:3], 0 offen offset:4
	v_mov_b32_e32 v13, s17
	ds_read_b128 v[14:17], v13
	s_add_i32 s16, s16, 1
	s_add_i32 s17, s17, -16
	v_add_u32_e32 v12, 16, v12
	s_cmp_ge_u32 s16, s35
	s_waitcnt vmcnt(2) lgkmcnt(0)
	v_mul_f64 v[22:23], v[16:17], v[18:19]
	v_mul_f64 v[18:19], v[14:15], v[18:19]
	s_waitcnt vmcnt(0)
	v_fma_f64 v[14:15], v[14:15], v[20:21], -v[22:23]
	v_fmac_f64_e32 v[18:19], v[16:17], v[20:21]
	v_add_f64 v[0:1], v[0:1], -v[14:15]
	v_add_f64 v[2:3], v[2:3], -v[18:19]
	buffer_store_dword v0, v11, s[0:3], 0 offen
	buffer_store_dword v1, v11, s[0:3], 0 offen offset:4
	buffer_store_dword v2, v11, s[0:3], 0 offen offset:8
	;; [unrolled: 1-line block ×3, first 2 shown]
	s_cbranch_scc0 .LBB212_32
; %bb.33:                               ;   in Loop: Header=BB212_30 Depth=3
	s_sub_i32 s18, s10, s35
	s_ashr_i32 s19, s18, 31
	s_mov_b64 s[16:17], s[18:19]
	s_branch .LBB212_29
.LBB212_34:                             ;   in Loop: Header=BB212_30 Depth=3
                                        ; implicit-def: $vgpr0_vgpr1
                                        ; implicit-def: $vgpr2_vgpr3
                                        ; implicit-def: $sgpr18
                                        ; implicit-def: $sgpr16_sgpr17
	s_cbranch_execz .LBB212_29
; %bb.35:                               ;   in Loop: Header=BB212_30 Depth=3
	buffer_load_dword v0, off, s[0:3], 0
	buffer_load_dword v1, off, s[0:3], 0 offset:4
	buffer_load_dword v2, off, s[0:3], 0 offset:8
	;; [unrolled: 1-line block ×3, first 2 shown]
	s_mov_b64 s[16:17], s[10:11]
	s_mov_b32 s18, s10
	s_branch .LBB212_29
.LBB212_36:
	s_mov_b64 s[8:9], 0
.LBB212_37:
	s_and_b64 vcc, exec, s[8:9]
	s_cbranch_vccz .LBB212_58
; %bb.38:
	s_add_u32 s6, s22, s6
	s_addc_u32 s7, s23, s7
	s_add_u32 s4, s6, s4
	s_addc_u32 s5, s7, s5
	v_mov_b32_e32 v0, s5
	v_add_co_u32_e32 v1, vcc, s4, v4
	v_addc_co_u32_e32 v0, vcc, v0, v5, vcc
	v_add_co_u32_e32 v8, vcc, 8, v1
	s_mov_b32 s5, 0
	v_addc_co_u32_e32 v9, vcc, 0, v0, vcc
	v_mov_b32_e32 v10, 0
	s_mov_b32 s6, s5
	s_mov_b32 s8, s5
	s_branch .LBB212_40
.LBB212_39:                             ;   in Loop: Header=BB212_40 Depth=1
	s_cmp_ge_i32 s6, s26
	s_cselect_b64 s[10:11], -1, 0
	s_add_i32 s8, s8, 1
	s_cmp_eq_u32 s8, 3
	s_cselect_b64 s[16:17], -1, 0
	s_or_b64 s[10:11], s[10:11], s[16:17]
	s_and_b64 vcc, exec, s[10:11]
	s_cbranch_vccnz .LBB212_58
.LBB212_40:                             ; =>This Loop Header: Depth=1
                                        ;     Child Loop BB212_43 Depth 2
                                        ;       Child Loop BB212_44 Depth 3
                                        ;       Child Loop BB212_47 Depth 3
                                        ;         Child Loop BB212_48 Depth 4
                                        ;       Child Loop BB212_52 Depth 3
                                        ;         Child Loop BB212_54 Depth 4
	s_mov_b32 s9, s5
	s_lshl_b64 s[10:11], s[8:9], 2
	s_getpc_b64 s[16:17]
	s_add_u32 s16, s16, __const._ZL30rocblas_trsm_small_left_deviceILi12ELi12ELb1E19rocblas_complex_numIdES1_PKS1_PS1_Ev13rocblas_fill_18rocblas_operation_17rocblas_diagonal_iiT3_T4_lilT5_lili.step_sizes@rel32@lo+4
	s_addc_u32 s17, s17, __const._ZL30rocblas_trsm_small_left_deviceILi12ELi12ELb1E19rocblas_complex_numIdES1_PKS1_PS1_Ev13rocblas_fill_18rocblas_operation_17rocblas_diagonal_iiT3_T4_lilT5_lili.step_sizes@rel32@hi+12
	s_add_u32 s10, s10, s16
	s_addc_u32 s11, s11, s17
	s_load_dword s10, s[10:11], 0x0
	s_waitcnt lgkmcnt(0)
	s_add_i32 s9, s10, -1
	s_add_i32 s4, s9, s6
	s_cmp_ge_i32 s4, s26
	s_cbranch_scc1 .LBB212_39
; %bb.41:                               ;   in Loop: Header=BB212_40 Depth=1
	s_ashr_i32 s7, s6, 31
	s_lshl_b64 s[16:17], s[6:7], 4
	v_mov_b32_e32 v0, s17
	v_add_co_u32_e32 v4, vcc, s16, v8
	s_ashr_i32 s11, s10, 31
	s_max_i32 s22, s10, 1
	v_addc_co_u32_e32 v5, vcc, v9, v0, vcc
	s_lshl_b64 s[16:17], s[10:11], 4
	s_lshl_b32 s7, s6, 4
	s_lshl_b32 s11, s10, 4
	s_mul_i32 s23, s6, 0xd0
	s_mul_i32 s24, s10, 0xd0
	s_branch .LBB212_43
.LBB212_42:                             ;   in Loop: Header=BB212_43 Depth=2
	s_add_i32 s6, s6, s10
	s_add_i32 s4, s9, s6
	v_mov_b32_e32 v0, s17
	s_add_i32 s7, s7, s11
	s_add_i32 s23, s23, s24
	v_add_co_u32_e32 v4, vcc, s16, v4
	s_cmp_ge_i32 s4, s26
	v_addc_co_u32_e32 v5, vcc, v5, v0, vcc
	s_cbranch_scc1 .LBB212_39
.LBB212_43:                             ;   Parent Loop BB212_40 Depth=1
                                        ; =>  This Loop Header: Depth=2
                                        ;       Child Loop BB212_44 Depth 3
                                        ;       Child Loop BB212_47 Depth 3
                                        ;         Child Loop BB212_48 Depth 4
                                        ;       Child Loop BB212_52 Depth 3
                                        ;         Child Loop BB212_54 Depth 4
	v_mov_b32_e32 v2, 0
	v_pk_mov_b32 v[0:1], v[4:5], v[4:5] op_sel:[0,1]
	s_mov_b32 s4, s22
.LBB212_44:                             ;   Parent Loop BB212_40 Depth=1
                                        ;     Parent Loop BB212_43 Depth=2
                                        ; =>    This Inner Loop Header: Depth=3
	global_load_dwordx4 v[12:15], v[0:1], off offset:-8
	s_add_i32 s4, s4, -1
	v_add_co_u32_e32 v0, vcc, 16, v0
	v_addc_co_u32_e32 v1, vcc, 0, v1, vcc
	s_cmp_eq_u32 s4, 0
	s_waitcnt vmcnt(0)
	v_mul_f64 v[16:17], s[14:15], v[14:15]
	v_mul_f64 v[14:15], s[12:13], v[14:15]
	v_fma_f64 v[16:17], s[12:13], v[12:13], -v[16:17]
	v_fmac_f64_e32 v[14:15], s[14:15], v[12:13]
	buffer_store_dword v17, v2, s[0:3], 0 offen offset:4
	buffer_store_dword v16, v2, s[0:3], 0 offen
	buffer_store_dword v15, v2, s[0:3], 0 offen offset:12
	buffer_store_dword v14, v2, s[0:3], 0 offen offset:8
	v_add_u32_e32 v2, 16, v2
	s_cbranch_scc0 .LBB212_44
; %bb.45:                               ;   in Loop: Header=BB212_43 Depth=2
	s_cmp_lt_i32 s6, 1
	s_cbranch_scc1 .LBB212_50
; %bb.46:                               ;   in Loop: Header=BB212_43 Depth=2
	s_mov_b32 s4, 0
	s_mov_b32 s18, s7
.LBB212_47:                             ;   Parent Loop BB212_40 Depth=1
                                        ;     Parent Loop BB212_43 Depth=2
                                        ; =>    This Loop Header: Depth=3
                                        ;         Child Loop BB212_48 Depth 4
	s_lshl_b64 s[20:21], s[4:5], 4
	v_mov_b32_e32 v1, s21
	v_add_co_u32_e32 v0, vcc, s20, v6
	v_addc_co_u32_e32 v1, vcc, v7, v1, vcc
	global_load_dwordx4 v[0:3], v[0:1], off
	v_mov_b32_e32 v11, 0
	s_mov_b32 s19, s18
	s_mov_b32 s20, s22
.LBB212_48:                             ;   Parent Loop BB212_40 Depth=1
                                        ;     Parent Loop BB212_43 Depth=2
                                        ;       Parent Loop BB212_47 Depth=3
                                        ; =>      This Inner Loop Header: Depth=4
	buffer_load_dword v16, v11, s[0:3], 0 offen
	buffer_load_dword v17, v11, s[0:3], 0 offen offset:4
	buffer_load_dword v18, v11, s[0:3], 0 offen offset:8
	;; [unrolled: 1-line block ×3, first 2 shown]
	v_mov_b32_e32 v12, s19
	ds_read_b128 v[12:15], v12
	s_add_i32 s20, s20, -1
	s_add_i32 s19, s19, 16
	s_cmp_eq_u32 s20, 0
	s_waitcnt vmcnt(4) lgkmcnt(0)
	v_mul_f64 v[20:21], v[2:3], v[14:15]
	v_mul_f64 v[14:15], v[0:1], v[14:15]
	v_fma_f64 v[20:21], v[0:1], v[12:13], -v[20:21]
	v_fmac_f64_e32 v[14:15], v[2:3], v[12:13]
	s_waitcnt vmcnt(2)
	v_add_f64 v[12:13], v[16:17], -v[20:21]
	s_waitcnt vmcnt(0)
	v_add_f64 v[14:15], v[18:19], -v[14:15]
	buffer_store_dword v12, v11, s[0:3], 0 offen
	buffer_store_dword v13, v11, s[0:3], 0 offen offset:4
	buffer_store_dword v14, v11, s[0:3], 0 offen offset:8
	;; [unrolled: 1-line block ×3, first 2 shown]
	v_add_u32_e32 v11, 16, v11
	s_cbranch_scc0 .LBB212_48
; %bb.49:                               ;   in Loop: Header=BB212_47 Depth=3
	s_add_i32 s4, s4, 1
	s_addk_i32 s18, 0xc0
	s_cmp_ge_i32 s4, s6
	s_cbranch_scc0 .LBB212_47
.LBB212_50:                             ;   in Loop: Header=BB212_43 Depth=2
	s_mov_b32 s4, 0
	s_mov_b32 s25, s23
	s_branch .LBB212_52
.LBB212_51:                             ;   in Loop: Header=BB212_52 Depth=3
	s_mul_i32 s19, s18, 0xd0
	v_mov_b32_e32 v11, s19
	ds_read_b128 v[12:15], v11
	s_lshl_b32 s19, s4, 4
	v_add_u32_e32 v11, s19, v10
	s_ashr_i32 s19, s18, 31
	s_lshl_b64 s[18:19], s[18:19], 4
	s_waitcnt vmcnt(0) lgkmcnt(0)
	v_mul_f64 v[16:17], v[14:15], v[2:3]
	v_mul_f64 v[18:19], v[12:13], v[2:3]
	v_fma_f64 v[16:17], v[12:13], v[0:1], -v[16:17]
	v_fmac_f64_e32 v[18:19], v[14:15], v[0:1]
	v_mov_b32_e32 v1, s19
	v_add_co_u32_e32 v0, vcc, s18, v6
	s_add_i32 s4, s4, 1
	s_add_i32 s25, s25, 16
	v_addc_co_u32_e32 v1, vcc, v7, v1, vcc
	s_cmp_eq_u32 s4, s22
	buffer_store_dword v17, v11, s[0:3], 0 offen offset:4
	buffer_store_dword v16, v11, s[0:3], 0 offen
	buffer_store_dword v19, v11, s[0:3], 0 offen offset:12
	buffer_store_dword v18, v11, s[0:3], 0 offen offset:8
	global_store_dwordx4 v[0:1], v[16:19], off
	s_cbranch_scc1 .LBB212_42
.LBB212_52:                             ;   Parent Loop BB212_40 Depth=1
                                        ;     Parent Loop BB212_43 Depth=2
                                        ; =>    This Loop Header: Depth=3
                                        ;         Child Loop BB212_54 Depth 4
	s_cmp_lg_u32 s4, 0
	s_cbranch_scc0 .LBB212_56
; %bb.53:                               ;   in Loop: Header=BB212_52 Depth=3
	s_lshl_b32 s18, s4, 4
	v_add_u32_e32 v11, s18, v10
	buffer_load_dword v0, v11, s[0:3], 0 offen
	buffer_load_dword v1, v11, s[0:3], 0 offen offset:4
	buffer_load_dword v2, v11, s[0:3], 0 offen offset:8
	;; [unrolled: 1-line block ×3, first 2 shown]
	s_add_i32 s18, s4, s6
	v_mov_b32_e32 v12, 0
	s_mov_b32 s19, 0
	s_mov_b32 s20, s25
.LBB212_54:                             ;   Parent Loop BB212_40 Depth=1
                                        ;     Parent Loop BB212_43 Depth=2
                                        ;       Parent Loop BB212_52 Depth=3
                                        ; =>      This Inner Loop Header: Depth=4
	buffer_load_dword v18, v12, s[0:3], 0 offen offset:8
	buffer_load_dword v19, v12, s[0:3], 0 offen offset:12
	buffer_load_dword v20, v12, s[0:3], 0 offen
	buffer_load_dword v21, v12, s[0:3], 0 offen offset:4
	v_mov_b32_e32 v13, s20
	ds_read_b128 v[14:17], v13
	s_add_i32 s19, s19, 1
	s_addk_i32 s20, 0xc0
	v_add_u32_e32 v12, 16, v12
	s_cmp_ge_u32 s19, s4
	s_waitcnt vmcnt(2) lgkmcnt(0)
	v_mul_f64 v[22:23], v[16:17], v[18:19]
	v_mul_f64 v[18:19], v[14:15], v[18:19]
	s_waitcnt vmcnt(0)
	v_fma_f64 v[14:15], v[14:15], v[20:21], -v[22:23]
	v_fmac_f64_e32 v[18:19], v[16:17], v[20:21]
	v_add_f64 v[0:1], v[0:1], -v[14:15]
	v_add_f64 v[2:3], v[2:3], -v[18:19]
	buffer_store_dword v0, v11, s[0:3], 0 offen
	buffer_store_dword v1, v11, s[0:3], 0 offen offset:4
	buffer_store_dword v2, v11, s[0:3], 0 offen offset:8
	buffer_store_dword v3, v11, s[0:3], 0 offen offset:12
	s_cbranch_scc0 .LBB212_54
; %bb.55:                               ;   in Loop: Header=BB212_52 Depth=3
	s_branch .LBB212_51
.LBB212_56:                             ;   in Loop: Header=BB212_52 Depth=3
                                        ; implicit-def: $vgpr0_vgpr1
                                        ; implicit-def: $vgpr2_vgpr3
                                        ; implicit-def: $sgpr18
	s_cbranch_execz .LBB212_51
; %bb.57:                               ;   in Loop: Header=BB212_52 Depth=3
	buffer_load_dword v0, off, s[0:3], 0
	buffer_load_dword v1, off, s[0:3], 0 offset:4
	buffer_load_dword v2, off, s[0:3], 0 offset:8
	;; [unrolled: 1-line block ×3, first 2 shown]
	s_mov_b32 s18, s6
	s_branch .LBB212_51
.LBB212_58:
	s_endpgm
	.section	.rodata,"a",@progbits
	.p2align	6, 0x0
	.amdhsa_kernel _ZL30rocblas_trsm_small_left_deviceILi12ELi12ELb1E19rocblas_complex_numIdES1_PKS1_PS1_Ev13rocblas_fill_18rocblas_operation_17rocblas_diagonal_iiT3_T4_lilT5_lili
		.amdhsa_group_segment_fixed_size 2304
		.amdhsa_private_segment_fixed_size 208
		.amdhsa_kernarg_size 368
		.amdhsa_user_sgpr_count 8
		.amdhsa_user_sgpr_private_segment_buffer 1
		.amdhsa_user_sgpr_dispatch_ptr 0
		.amdhsa_user_sgpr_queue_ptr 0
		.amdhsa_user_sgpr_kernarg_segment_ptr 1
		.amdhsa_user_sgpr_dispatch_id 0
		.amdhsa_user_sgpr_flat_scratch_init 1
		.amdhsa_user_sgpr_kernarg_preload_length 0
		.amdhsa_user_sgpr_kernarg_preload_offset 0
		.amdhsa_user_sgpr_private_segment_size 0
		.amdhsa_uses_dynamic_stack 0
		.amdhsa_system_sgpr_private_segment_wavefront_offset 1
		.amdhsa_system_sgpr_workgroup_id_x 1
		.amdhsa_system_sgpr_workgroup_id_y 0
		.amdhsa_system_sgpr_workgroup_id_z 1
		.amdhsa_system_sgpr_workgroup_info 0
		.amdhsa_system_vgpr_workitem_id 0
		.amdhsa_next_free_vgpr 24
		.amdhsa_next_free_sgpr 42
		.amdhsa_accum_offset 24
		.amdhsa_reserve_vcc 1
		.amdhsa_reserve_flat_scratch 0
		.amdhsa_float_round_mode_32 0
		.amdhsa_float_round_mode_16_64 0
		.amdhsa_float_denorm_mode_32 3
		.amdhsa_float_denorm_mode_16_64 3
		.amdhsa_dx10_clamp 1
		.amdhsa_ieee_mode 1
		.amdhsa_fp16_overflow 0
		.amdhsa_tg_split 0
		.amdhsa_exception_fp_ieee_invalid_op 0
		.amdhsa_exception_fp_denorm_src 0
		.amdhsa_exception_fp_ieee_div_zero 0
		.amdhsa_exception_fp_ieee_overflow 0
		.amdhsa_exception_fp_ieee_underflow 0
		.amdhsa_exception_fp_ieee_inexact 0
		.amdhsa_exception_int_div_zero 0
	.end_amdhsa_kernel
	.section	.text._ZL30rocblas_trsm_small_left_deviceILi12ELi12ELb1E19rocblas_complex_numIdES1_PKS1_PS1_Ev13rocblas_fill_18rocblas_operation_17rocblas_diagonal_iiT3_T4_lilT5_lili,"axG",@progbits,_ZL30rocblas_trsm_small_left_deviceILi12ELi12ELb1E19rocblas_complex_numIdES1_PKS1_PS1_Ev13rocblas_fill_18rocblas_operation_17rocblas_diagonal_iiT3_T4_lilT5_lili,comdat
.Lfunc_end212:
	.size	_ZL30rocblas_trsm_small_left_deviceILi12ELi12ELb1E19rocblas_complex_numIdES1_PKS1_PS1_Ev13rocblas_fill_18rocblas_operation_17rocblas_diagonal_iiT3_T4_lilT5_lili, .Lfunc_end212-_ZL30rocblas_trsm_small_left_deviceILi12ELi12ELb1E19rocblas_complex_numIdES1_PKS1_PS1_Ev13rocblas_fill_18rocblas_operation_17rocblas_diagonal_iiT3_T4_lilT5_lili
                                        ; -- End function
	.section	.AMDGPU.csdata,"",@progbits
; Kernel info:
; codeLenInByte = 3272
; NumSgprs: 46
; NumVgprs: 24
; NumAgprs: 0
; TotalNumVgprs: 24
; ScratchSize: 208
; MemoryBound: 0
; FloatMode: 240
; IeeeMode: 1
; LDSByteSize: 2304 bytes/workgroup (compile time only)
; SGPRBlocks: 5
; VGPRBlocks: 2
; NumSGPRsForWavesPerEU: 46
; NumVGPRsForWavesPerEU: 24
; AccumOffset: 24
; Occupancy: 7
; WaveLimiterHint : 0
; COMPUTE_PGM_RSRC2:SCRATCH_EN: 1
; COMPUTE_PGM_RSRC2:USER_SGPR: 8
; COMPUTE_PGM_RSRC2:TRAP_HANDLER: 0
; COMPUTE_PGM_RSRC2:TGID_X_EN: 1
; COMPUTE_PGM_RSRC2:TGID_Y_EN: 0
; COMPUTE_PGM_RSRC2:TGID_Z_EN: 1
; COMPUTE_PGM_RSRC2:TIDIG_COMP_CNT: 0
; COMPUTE_PGM_RSRC3_GFX90A:ACCUM_OFFSET: 5
; COMPUTE_PGM_RSRC3_GFX90A:TG_SPLIT: 0
	.section	.text._ZL31rocblas_trsm_small_right_deviceI19rocblas_complex_numIdES1_PKS1_PS1_Li12EEv13rocblas_fill_18rocblas_operation_17rocblas_diagonal_iiT0_T1_lilT2_lili,"axG",@progbits,_ZL31rocblas_trsm_small_right_deviceI19rocblas_complex_numIdES1_PKS1_PS1_Li12EEv13rocblas_fill_18rocblas_operation_17rocblas_diagonal_iiT0_T1_lilT2_lili,comdat
	.globl	_ZL31rocblas_trsm_small_right_deviceI19rocblas_complex_numIdES1_PKS1_PS1_Li12EEv13rocblas_fill_18rocblas_operation_17rocblas_diagonal_iiT0_T1_lilT2_lili ; -- Begin function _ZL31rocblas_trsm_small_right_deviceI19rocblas_complex_numIdES1_PKS1_PS1_Li12EEv13rocblas_fill_18rocblas_operation_17rocblas_diagonal_iiT0_T1_lilT2_lili
	.p2align	8
	.type	_ZL31rocblas_trsm_small_right_deviceI19rocblas_complex_numIdES1_PKS1_PS1_Li12EEv13rocblas_fill_18rocblas_operation_17rocblas_diagonal_iiT0_T1_lilT2_lili,@function
_ZL31rocblas_trsm_small_right_deviceI19rocblas_complex_numIdES1_PKS1_PS1_Li12EEv13rocblas_fill_18rocblas_operation_17rocblas_diagonal_iiT0_T1_lilT2_lili: ; @_ZL31rocblas_trsm_small_right_deviceI19rocblas_complex_numIdES1_PKS1_PS1_Li12EEv13rocblas_fill_18rocblas_operation_17rocblas_diagonal_iiT0_T1_lilT2_lili
; %bb.0:
	s_load_dwordx4 s[16:19], s[4:5], 0x0
	s_load_dword s33, s[4:5], 0x10
	s_load_dwordx8 s[8:15], s[4:5], 0x18
	s_load_dwordx2 s[20:21], s[4:5], 0x50
	s_load_dwordx4 s[0:3], s[4:5], 0x40
	s_mov_b32 s36, 0
	s_waitcnt lgkmcnt(0)
	s_min_i32 s34, s33, 12
	s_add_i32 s35, s34, -1
	v_cmp_gt_i32_e32 vcc, s34, v0
	s_and_saveexec_b64 s[22:23], vcc
	s_cbranch_execz .LBB213_9
; %bb.1:
	s_load_dword s24, s[4:5], 0x38
	s_mul_i32 s37, s1, s7
	s_mul_hi_u32 s38, s0, s7
	s_mul_i32 s26, s0, s7
	s_waitcnt lgkmcnt(0)
	s_ashr_i32 s25, s24, 31
	s_cmpk_eq_i32 s17, 0x71
	s_cselect_b64 vcc, -1, 0
	s_cmp_lt_u32 s35, 3
	s_cbranch_scc1 .LBB213_4
; %bb.2:
	s_add_i32 s27, s38, s37
	s_and_b32 s36, s34, -4
	s_lshl_b64 s[0:1], s[26:27], 4
	s_lshl_b64 s[28:29], s[14:15], 4
	s_add_u32 s0, s0, s28
	s_addc_u32 s1, s1, s29
	s_add_u32 s0, s12, s0
	v_lshlrev_b32_e32 v2, 4, v0
	s_addc_u32 s1, s13, s1
	v_mov_b32_e32 v3, s1
	v_add_co_u32_e64 v2, s[0:1], s0, v2
	v_addc_co_u32_e64 v3, s[0:1], 0, v3, s[0:1]
	v_add_co_u32_e64 v2, s[0:1], 8, v2
	s_lshl_b64 s[28:29], s[24:25], 6
	s_lshl_b64 s[30:31], s[24:25], 4
	v_lshlrev_b32_e32 v1, 4, v0
	v_addc_co_u32_e64 v3, s[0:1], 0, v3, s[0:1]
	s_mov_b32 s27, 0
	v_mov_b32_e32 v4, s31
	v_mov_b32_e32 v5, s29
.LBB213_3:                              ; =>This Inner Loop Header: Depth=1
	v_add_co_u32_e64 v18, s[0:1], s30, v2
	v_addc_co_u32_e64 v19, s[0:1], v3, v4, s[0:1]
	v_add_co_u32_e64 v20, s[0:1], s30, v18
	global_load_dwordx4 v[6:9], v[2:3], off offset:-8
	v_addc_co_u32_e64 v21, s[0:1], v19, v4, s[0:1]
	global_load_dwordx4 v[10:13], v[18:19], off offset:-8
	global_load_dwordx4 v[14:17], v[20:21], off offset:-8
	v_add_co_u32_e64 v18, s[0:1], s30, v20
	v_addc_co_u32_e64 v19, s[0:1], v21, v4, s[0:1]
	global_load_dwordx4 v[18:21], v[18:19], off offset:-8
	s_add_i32 s27, s27, 4
	v_add_co_u32_e64 v2, s[0:1], s28, v2
	s_cmp_eq_u32 s36, s27
	v_addc_co_u32_e64 v3, s[0:1], v3, v5, s[0:1]
	s_waitcnt vmcnt(3)
	v_xor_b32_e32 v22, 0x80000000, v9
	v_cndmask_b32_e32 v9, v9, v22, vcc
	ds_write_b128 v1, v[6:9]
	s_waitcnt vmcnt(1)
	v_xor_b32_e32 v6, 0x80000000, v17
	v_xor_b32_e32 v22, 0x80000000, v13
	v_cndmask_b32_e32 v17, v17, v6, vcc
	v_cndmask_b32_e32 v13, v13, v22, vcc
	ds_write_b128 v1, v[10:13] offset:192
	s_waitcnt vmcnt(0)
	v_xor_b32_e32 v6, 0x80000000, v21
	v_cndmask_b32_e32 v21, v21, v6, vcc
	ds_write_b128 v1, v[14:17] offset:384
	ds_write_b128 v1, v[18:21] offset:576
	v_add_u32_e32 v1, 0x300, v1
	s_cbranch_scc0 .LBB213_3
.LBB213_4:
	s_and_b32 s28, s34, 3
	s_cmp_eq_u32 s28, 0
	s_cbranch_scc1 .LBB213_7
; %bb.5:
	s_mul_i32 s0, s36, 0xc0
	s_add_i32 s27, s38, s37
	v_lshl_add_u32 v1, v0, 4, s0
	s_lshl_b64 s[0:1], s[26:27], 4
	s_mul_i32 s26, s25, s36
	s_mul_hi_u32 s27, s24, s36
	s_add_i32 s27, s27, s26
	s_mul_i32 s26, s24, s36
	s_lshl_b64 s[26:27], s[26:27], 4
	s_add_u32 s26, s0, s26
	s_addc_u32 s27, s1, s27
	s_lshl_b64 s[0:1], s[14:15], 4
	s_add_u32 s0, s26, s0
	s_addc_u32 s1, s27, s1
	s_add_u32 s0, s12, s0
	v_lshlrev_b32_e32 v2, 4, v0
	s_addc_u32 s1, s13, s1
	v_mov_b32_e32 v3, s1
	v_add_co_u32_e64 v2, s[0:1], s0, v2
	v_addc_co_u32_e64 v3, s[0:1], 0, v3, s[0:1]
	v_add_co_u32_e64 v2, s[0:1], 8, v2
	s_lshl_b64 s[12:13], s[24:25], 4
	v_addc_co_u32_e64 v3, s[0:1], 0, v3, s[0:1]
	v_mov_b32_e32 v4, s13
.LBB213_6:                              ; =>This Inner Loop Header: Depth=1
	global_load_dwordx4 v[6:9], v[2:3], off offset:-8
	v_add_co_u32_e64 v2, s[0:1], s12, v2
	s_add_i32 s28, s28, -1
	v_addc_co_u32_e64 v3, s[0:1], v3, v4, s[0:1]
	s_cmp_lg_u32 s28, 0
	s_waitcnt vmcnt(0)
	v_xor_b32_e32 v5, 0x80000000, v9
	v_cndmask_b32_e32 v9, v9, v5, vcc
	ds_write_b128 v1, v[6:9]
	v_add_u32_e32 v1, 0xc0, v1
	s_cbranch_scc1 .LBB213_6
.LBB213_7:
	s_cmpk_eq_i32 s18, 0x84
	s_cbranch_scc0 .LBB213_9
; %bb.8:
	v_mul_u32_u24_e32 v1, 13, v0
	v_mov_b32_e32 v2, 0
	v_lshlrev_b32_e32 v1, 4, v1
	v_mov_b32_e32 v3, 0x3ff00000
	v_mov_b32_e32 v4, v2
	;; [unrolled: 1-line block ×3, first 2 shown]
	ds_write_b128 v1, v[2:5]
.LBB213_9:
	s_or_b64 exec, exec, s[22:23]
	s_load_dword s1, s[4:5], 0x70
	s_load_dwordx2 s[12:13], s[4:5], 0x60
	s_load_dword s0, s[4:5], 0x58
	s_mul_i32 s15, s6, -12
	s_mul_i32 s23, s6, 0xc0
	s_mul_hi_i32 s22, s6, 0xc0
	s_waitcnt lgkmcnt(0)
	s_mul_i32 s5, s7, s13
	s_mul_hi_u32 s13, s7, s12
	s_mul_i32 s4, s7, s12
	s_add_i32 s5, s13, s5
	s_lshl_b64 s[12:13], s[4:5], 4
	s_add_u32 s7, s2, s12
	s_addc_u32 s14, s3, s13
	s_lshl_b64 s[4:5], s[20:21], 4
	s_add_u32 s7, s7, s4
	s_addc_u32 s14, s14, s5
	s_add_i32 s1, s1, -1
	s_add_i32 s15, s15, s19
	s_cmp_ge_u32 s6, s1
	s_cselect_b32 s1, s15, 12
	s_add_u32 s24, s7, s23
	s_addc_u32 s25, s14, s22
	s_cmp_gt_i32 s33, 0
	v_cmp_gt_i32_e32 vcc, s1, v0
	s_cselect_b64 s[6:7], -1, 0
	s_mov_b32 s26, 0
	s_and_b64 s[6:7], vcc, s[6:7]
	s_and_saveexec_b64 s[14:15], s[6:7]
	s_cbranch_execz .LBB213_16
; %bb.10:
	s_ashr_i32 s1, s0, 31
	s_cmp_lt_u32 s33, 4
	s_cbranch_scc1 .LBB213_13
; %bb.11:
	v_lshlrev_b32_e32 v1, 4, v0
	v_mov_b32_e32 v3, s25
	v_add_co_u32_e32 v2, vcc, s24, v1
	v_mov_b32_e32 v1, 0x900
	s_lshl_b64 s[18:19], s[0:1], 6
	s_lshl_b64 s[20:21], s[0:1], 4
	v_addc_co_u32_e32 v3, vcc, 0, v3, vcc
	s_and_b32 s26, s33, 0x7ffffffc
	v_lshl_or_b32 v1, v0, 4, v1
	s_mov_b32 s27, 0
	v_mov_b32_e32 v4, s21
	v_mov_b32_e32 v5, s19
.LBB213_12:                             ; =>This Inner Loop Header: Depth=1
	v_add_co_u32_e32 v14, vcc, s20, v2
	v_addc_co_u32_e32 v15, vcc, v3, v4, vcc
	v_add_co_u32_e32 v18, vcc, s20, v14
	global_load_dwordx4 v[6:9], v[2:3], off
	global_load_dwordx4 v[10:13], v[14:15], off
	v_addc_co_u32_e32 v19, vcc, v15, v4, vcc
	global_load_dwordx4 v[14:17], v[18:19], off
	v_add_co_u32_e32 v18, vcc, s20, v18
	v_addc_co_u32_e32 v19, vcc, v19, v4, vcc
	global_load_dwordx4 v[18:21], v[18:19], off
	s_add_i32 s27, s27, 4
	v_add_co_u32_e32 v2, vcc, s18, v2
	s_cmp_lg_u32 s26, s27
	v_addc_co_u32_e32 v3, vcc, v3, v5, vcc
	s_waitcnt vmcnt(3)
	v_mul_f64 v[22:23], s[10:11], v[8:9]
	v_mul_f64 v[24:25], s[8:9], v[8:9]
	v_fma_f64 v[22:23], s[8:9], v[6:7], -v[22:23]
	v_fmac_f64_e32 v[24:25], s[10:11], v[6:7]
	s_waitcnt vmcnt(2)
	v_mul_f64 v[6:7], s[10:11], v[12:13]
	v_mul_f64 v[8:9], s[8:9], v[12:13]
	v_fma_f64 v[6:7], s[8:9], v[10:11], -v[6:7]
	v_fmac_f64_e32 v[8:9], s[10:11], v[10:11]
	s_waitcnt vmcnt(1)
	v_mul_f64 v[12:13], s[10:11], v[16:17]
	v_mul_f64 v[10:11], s[8:9], v[16:17]
	ds_write_b128 v1, v[6:9] offset:192
	v_fma_f64 v[8:9], s[8:9], v[14:15], -v[12:13]
	v_fmac_f64_e32 v[10:11], s[10:11], v[14:15]
	s_waitcnt vmcnt(0)
	v_mul_f64 v[6:7], s[10:11], v[20:21]
	v_mul_f64 v[12:13], s[8:9], v[20:21]
	ds_write_b128 v1, v[8:11] offset:384
	v_fma_f64 v[10:11], s[8:9], v[18:19], -v[6:7]
	v_fmac_f64_e32 v[12:13], s[10:11], v[18:19]
	ds_write_b128 v1, v[22:25]
	ds_write_b128 v1, v[10:13] offset:576
	v_add_u32_e32 v1, 0x300, v1
	s_cbranch_scc1 .LBB213_12
.LBB213_13:
	s_and_b32 s20, s33, 3
	s_cmp_eq_u32 s20, 0
	s_cbranch_scc1 .LBB213_16
; %bb.14:
	s_mul_i32 s18, s26, 0xc0
	v_lshl_add_u32 v1, v0, 4, s18
	s_mul_hi_i32 s19, s0, s26
	s_mul_i32 s18, s0, s26
	s_lshl_b64 s[18:19], s[18:19], 4
	s_add_u32 s18, s12, s18
	s_addc_u32 s19, s13, s19
	s_add_u32 s18, s18, s23
	s_addc_u32 s19, s19, s22
	;; [unrolled: 2-line block ×3, first 2 shown]
	s_add_u32 s18, s2, s18
	v_lshlrev_b32_e32 v2, 4, v0
	s_addc_u32 s19, s3, s19
	v_mov_b32_e32 v3, s19
	v_add_co_u32_e32 v2, vcc, s18, v2
	v_addc_co_u32_e32 v3, vcc, 0, v3, vcc
	v_add_co_u32_e32 v2, vcc, 8, v2
	s_lshl_b64 s[18:19], s[0:1], 4
	v_add_u32_e32 v1, 0x900, v1
	v_addc_co_u32_e32 v3, vcc, 0, v3, vcc
	v_mov_b32_e32 v4, s19
.LBB213_15:                             ; =>This Inner Loop Header: Depth=1
	global_load_dwordx4 v[6:9], v[2:3], off offset:-8
	s_add_i32 s20, s20, -1
	v_add_co_u32_e32 v2, vcc, s18, v2
	v_addc_co_u32_e32 v3, vcc, v3, v4, vcc
	s_cmp_lg_u32 s20, 0
	s_waitcnt vmcnt(0)
	v_mul_f64 v[12:13], s[10:11], v[8:9]
	v_mul_f64 v[10:11], s[8:9], v[8:9]
	v_fma_f64 v[8:9], s[8:9], v[6:7], -v[12:13]
	v_fmac_f64_e32 v[10:11], s[10:11], v[6:7]
	ds_write_b128 v1, v[8:11]
	v_add_u32_e32 v1, 0xc0, v1
	s_cbranch_scc1 .LBB213_15
.LBB213_16:
	s_or_b64 exec, exec, s[14:15]
	s_cmpk_eq_i32 s17, 0x6f
	s_cselect_b64 s[8:9], -1, 0
	s_cmpk_eq_i32 s16, 0x79
	s_cselect_b64 s[14:15], -1, 0
	s_cmpk_lg_i32 s16, 0x79
	s_cselect_b64 s[10:11], -1, 0
	s_and_b64 s[14:15], s[14:15], s[8:9]
	s_andn2_b64 vcc, exec, s[14:15]
	s_mov_b64 s[14:15], -1
	s_waitcnt lgkmcnt(0)
	; wave barrier
	s_waitcnt lgkmcnt(0)
	s_cbranch_vccz .LBB213_124
; %bb.17:
	s_cmpk_lg_i32 s16, 0x7a
	s_cselect_b64 s[16:17], -1, 0
	s_xor_b64 s[8:9], s[8:9], -1
	s_or_b64 s[16:17], s[16:17], s[8:9]
	s_cmp_gt_i32 s33, 3
	s_cselect_b64 s[8:9], -1, 0
	s_and_b64 vcc, exec, s[16:17]
	s_cbranch_vccz .LBB213_91
; %bb.18:
	s_andn2_b64 vcc, exec, s[10:11]
	s_mov_b64 s[10:11], -1
	s_cbranch_vccnz .LBB213_58
; %bb.19:
	s_andn2_b64 vcc, exec, s[8:9]
	s_mov_b32 s15, 0
	s_cbranch_vccnz .LBB213_42
; %bb.20:
	v_mov_b32_e32 v1, 0x900
	v_lshl_or_b32 v1, v0, 4, v1
	s_mov_b32 s1, 0
	s_mov_b32 s14, 0
.LBB213_21:                             ; =>This Loop Header: Depth=1
                                        ;     Child Loop BB213_23 Depth 2
	s_mul_i32 s15, s14, 12
	v_add_lshl_u32 v14, s15, v0, 4
	s_add_i32 s16, s15, 12
	s_add_i32 s15, s15, 24
	v_add_lshl_u32 v16, s15, v0, 4
	v_add_lshl_u32 v15, s16, v0, 4
	ds_read_b128 v[18:21], v14 offset:2304
	ds_read_b128 v[10:13], v15 offset:2304
	;; [unrolled: 1-line block ×4, first 2 shown]
	s_cmp_eq_u32 s14, 0
	s_cbranch_scc1 .LBB213_24
; %bb.22:                               ;   in Loop: Header=BB213_21 Depth=1
	s_mov_b32 s10, 0
	v_mov_b32_e32 v17, v1
	s_mov_b32 s11, s1
.LBB213_23:                             ;   Parent Loop BB213_21 Depth=1
                                        ; =>  This Inner Loop Header: Depth=2
	v_mov_b32_e32 v58, s11
	ds_read_b128 v[22:25], v17
	ds_read_b128 v[26:29], v17 offset:192
	ds_read_b128 v[30:33], v58
	ds_read_b128 v[34:37], v58 offset:16
	ds_read_b128 v[38:41], v58 offset:32
	ds_read_b128 v[42:45], v58 offset:48
	ds_read_b128 v[46:49], v58 offset:192
	ds_read_b128 v[50:53], v58 offset:208
	ds_read_b128 v[54:57], v58 offset:224
	ds_read_b128 v[58:61], v58 offset:240
	s_add_i32 s10, s10, 2
	s_addk_i32 s11, 0x180
	s_waitcnt lgkmcnt(7)
	v_mul_f64 v[62:63], v[24:25], v[32:33]
	v_mul_f64 v[32:33], v[22:23], v[32:33]
	s_waitcnt lgkmcnt(6)
	v_mul_f64 v[64:65], v[24:25], v[36:37]
	v_mul_f64 v[36:37], v[22:23], v[36:37]
	;; [unrolled: 3-line block ×8, first 2 shown]
	v_fma_f64 v[62:63], v[22:23], v[30:31], -v[62:63]
	v_fmac_f64_e32 v[32:33], v[24:25], v[30:31]
	v_fma_f64 v[30:31], v[22:23], v[34:35], -v[64:65]
	v_fmac_f64_e32 v[36:37], v[24:25], v[34:35]
	;; [unrolled: 2-line block ×8, first 2 shown]
	v_add_f64 v[18:19], v[18:19], -v[62:63]
	v_add_f64 v[20:21], v[20:21], -v[32:33]
	;; [unrolled: 1-line block ×8, first 2 shown]
	v_add_u32_e32 v17, 0x180, v17
	s_cmp_ge_u32 s10, s14
	v_add_f64 v[18:19], v[18:19], -v[24:25]
	v_add_f64 v[20:21], v[20:21], -v[48:49]
	;; [unrolled: 1-line block ×8, first 2 shown]
	s_cbranch_scc0 .LBB213_23
.LBB213_24:                             ;   in Loop: Header=BB213_21 Depth=1
	s_mul_i32 s17, s14, 0xd0
	v_add_u32_e32 v28, 0x900, v14
	v_mov_b32_e32 v14, s17
	ds_read_b128 v[22:25], v14
	v_add_u32_e32 v27, 0x900, v15
	v_add_u32_e32 v26, 0x900, v16
	s_waitcnt lgkmcnt(0)
	v_xor_b32_e32 v15, 0x80000000, v23
	v_cmp_gt_f64_e32 vcc, 0, v[22:23]
	v_xor_b32_e32 v16, 0x80000000, v25
	v_cndmask_b32_e32 v15, v23, v15, vcc
	v_cmp_gt_f64_e32 vcc, 0, v[24:25]
	v_mov_b32_e32 v14, v22
	v_cndmask_b32_e32 v17, v25, v16, vcc
	v_mov_b32_e32 v16, v24
	v_cmp_ngt_f64_e32 vcc, v[14:15], v[16:17]
	s_cbranch_vccz .LBB213_26
; %bb.25:                               ;   in Loop: Header=BB213_21 Depth=1
	v_div_scale_f64 v[14:15], s[10:11], v[24:25], v[24:25], v[22:23]
	v_rcp_f64_e32 v[16:17], v[14:15]
	v_div_scale_f64 v[30:31], vcc, v[22:23], v[24:25], v[22:23]
	v_fma_f64 v[32:33], -v[14:15], v[16:17], 1.0
	v_fmac_f64_e32 v[16:17], v[16:17], v[32:33]
	v_fma_f64 v[32:33], -v[14:15], v[16:17], 1.0
	v_fmac_f64_e32 v[16:17], v[16:17], v[32:33]
	v_mul_f64 v[32:33], v[30:31], v[16:17]
	v_fma_f64 v[14:15], -v[14:15], v[32:33], v[30:31]
	v_div_fmas_f64 v[14:15], v[14:15], v[16:17], v[32:33]
	v_div_fixup_f64 v[16:17], v[14:15], v[24:25], v[22:23]
	v_fma_f64 v[14:15], v[22:23], v[16:17], v[24:25]
	v_div_scale_f64 v[30:31], s[10:11], v[14:15], v[14:15], 1.0
	v_rcp_f64_e32 v[32:33], v[30:31]
	v_fma_f64 v[34:35], -v[30:31], v[32:33], 1.0
	v_fmac_f64_e32 v[32:33], v[32:33], v[34:35]
	v_fma_f64 v[34:35], -v[30:31], v[32:33], 1.0
	v_fmac_f64_e32 v[32:33], v[32:33], v[34:35]
	v_div_scale_f64 v[34:35], vcc, 1.0, v[14:15], 1.0
	v_mul_f64 v[36:37], v[34:35], v[32:33]
	v_fma_f64 v[30:31], -v[30:31], v[36:37], v[34:35]
	s_nop 1
	v_div_fmas_f64 v[30:31], v[30:31], v[32:33], v[36:37]
	v_div_fixup_f64 v[30:31], v[30:31], v[14:15], 1.0
	v_fma_f64 v[14:15], v[18:19], v[16:17], v[20:21]
	v_fma_f64 v[16:17], v[20:21], v[16:17], -v[18:19]
	v_mul_f64 v[14:15], v[14:15], v[30:31]
	v_mul_f64 v[16:17], v[16:17], v[30:31]
	s_cbranch_execz .LBB213_27
	s_branch .LBB213_28
.LBB213_26:                             ;   in Loop: Header=BB213_21 Depth=1
                                        ; implicit-def: $vgpr16_vgpr17
.LBB213_27:                             ;   in Loop: Header=BB213_21 Depth=1
	v_div_scale_f64 v[14:15], s[10:11], v[22:23], v[22:23], v[24:25]
	v_rcp_f64_e32 v[16:17], v[14:15]
	v_div_scale_f64 v[30:31], vcc, v[24:25], v[22:23], v[24:25]
	v_fma_f64 v[32:33], -v[14:15], v[16:17], 1.0
	v_fmac_f64_e32 v[16:17], v[16:17], v[32:33]
	v_fma_f64 v[32:33], -v[14:15], v[16:17], 1.0
	v_fmac_f64_e32 v[16:17], v[16:17], v[32:33]
	v_mul_f64 v[32:33], v[30:31], v[16:17]
	v_fma_f64 v[14:15], -v[14:15], v[32:33], v[30:31]
	v_div_fmas_f64 v[14:15], v[14:15], v[16:17], v[32:33]
	v_div_fixup_f64 v[16:17], v[14:15], v[22:23], v[24:25]
	v_fmac_f64_e32 v[22:23], v[24:25], v[16:17]
	v_div_scale_f64 v[14:15], s[10:11], v[22:23], v[22:23], 1.0
	v_rcp_f64_e32 v[24:25], v[14:15]
	v_fma_f64 v[30:31], -v[14:15], v[24:25], 1.0
	v_fmac_f64_e32 v[24:25], v[24:25], v[30:31]
	v_fma_f64 v[30:31], -v[14:15], v[24:25], 1.0
	v_fmac_f64_e32 v[24:25], v[24:25], v[30:31]
	v_div_scale_f64 v[30:31], vcc, 1.0, v[22:23], 1.0
	v_mul_f64 v[32:33], v[30:31], v[24:25]
	v_fma_f64 v[14:15], -v[14:15], v[32:33], v[30:31]
	s_nop 1
	v_div_fmas_f64 v[14:15], v[14:15], v[24:25], v[32:33]
	v_div_fixup_f64 v[22:23], v[14:15], v[22:23], 1.0
	v_fma_f64 v[14:15], v[20:21], v[16:17], v[18:19]
	v_fma_f64 v[16:17], -v[18:19], v[16:17], v[20:21]
	v_mul_f64 v[14:15], v[14:15], v[22:23]
	v_mul_f64 v[16:17], v[16:17], v[22:23]
.LBB213_28:                             ;   in Loop: Header=BB213_21 Depth=1
	v_mov_b32_e32 v18, s17
	ds_read_b128 v[22:25], v18 offset:16
	ds_read_b128 v[18:21], v18 offset:208
	ds_write_b128 v28, v[14:17]
	s_waitcnt lgkmcnt(2)
	v_mul_f64 v[28:29], v[16:17], v[24:25]
	v_mul_f64 v[24:25], v[14:15], v[24:25]
	v_fma_f64 v[28:29], v[14:15], v[22:23], -v[28:29]
	v_fmac_f64_e32 v[24:25], v[16:17], v[22:23]
	v_add_f64 v[22:23], v[10:11], -v[28:29]
	s_waitcnt lgkmcnt(1)
	v_xor_b32_e32 v10, 0x80000000, v19
	v_cmp_gt_f64_e32 vcc, 0, v[18:19]
	v_add_f64 v[24:25], v[12:13], -v[24:25]
	v_cndmask_b32_e32 v11, v19, v10, vcc
	v_xor_b32_e32 v12, 0x80000000, v21
	v_cmp_gt_f64_e32 vcc, 0, v[20:21]
	v_mov_b32_e32 v10, v18
	v_cndmask_b32_e32 v13, v21, v12, vcc
	v_mov_b32_e32 v12, v20
	v_cmp_ngt_f64_e32 vcc, v[10:11], v[12:13]
	s_cbranch_vccz .LBB213_30
; %bb.29:                               ;   in Loop: Header=BB213_21 Depth=1
	v_div_scale_f64 v[10:11], s[10:11], v[20:21], v[20:21], v[18:19]
	v_rcp_f64_e32 v[12:13], v[10:11]
	v_div_scale_f64 v[28:29], vcc, v[18:19], v[20:21], v[18:19]
	v_fma_f64 v[30:31], -v[10:11], v[12:13], 1.0
	v_fmac_f64_e32 v[12:13], v[12:13], v[30:31]
	v_fma_f64 v[30:31], -v[10:11], v[12:13], 1.0
	v_fmac_f64_e32 v[12:13], v[12:13], v[30:31]
	v_mul_f64 v[30:31], v[28:29], v[12:13]
	v_fma_f64 v[10:11], -v[10:11], v[30:31], v[28:29]
	v_div_fmas_f64 v[10:11], v[10:11], v[12:13], v[30:31]
	v_div_fixup_f64 v[12:13], v[10:11], v[20:21], v[18:19]
	v_fma_f64 v[10:11], v[18:19], v[12:13], v[20:21]
	v_div_scale_f64 v[28:29], s[10:11], v[10:11], v[10:11], 1.0
	v_rcp_f64_e32 v[30:31], v[28:29]
	v_fma_f64 v[32:33], -v[28:29], v[30:31], 1.0
	v_fmac_f64_e32 v[30:31], v[30:31], v[32:33]
	v_fma_f64 v[32:33], -v[28:29], v[30:31], 1.0
	v_fmac_f64_e32 v[30:31], v[30:31], v[32:33]
	v_div_scale_f64 v[32:33], vcc, 1.0, v[10:11], 1.0
	v_mul_f64 v[34:35], v[32:33], v[30:31]
	v_fma_f64 v[28:29], -v[28:29], v[34:35], v[32:33]
	s_nop 1
	v_div_fmas_f64 v[28:29], v[28:29], v[30:31], v[34:35]
	v_div_fixup_f64 v[28:29], v[28:29], v[10:11], 1.0
	v_fma_f64 v[10:11], v[12:13], v[22:23], v[24:25]
	v_fma_f64 v[12:13], v[12:13], v[24:25], -v[22:23]
	v_mul_f64 v[10:11], v[10:11], v[28:29]
	v_mul_f64 v[12:13], v[12:13], v[28:29]
	s_cbranch_execz .LBB213_31
	s_branch .LBB213_32
.LBB213_30:                             ;   in Loop: Header=BB213_21 Depth=1
                                        ; implicit-def: $vgpr12_vgpr13
.LBB213_31:                             ;   in Loop: Header=BB213_21 Depth=1
	v_div_scale_f64 v[10:11], s[10:11], v[18:19], v[18:19], v[20:21]
	v_rcp_f64_e32 v[12:13], v[10:11]
	v_div_scale_f64 v[28:29], vcc, v[20:21], v[18:19], v[20:21]
	v_fma_f64 v[30:31], -v[10:11], v[12:13], 1.0
	v_fmac_f64_e32 v[12:13], v[12:13], v[30:31]
	v_fma_f64 v[30:31], -v[10:11], v[12:13], 1.0
	v_fmac_f64_e32 v[12:13], v[12:13], v[30:31]
	v_mul_f64 v[30:31], v[28:29], v[12:13]
	v_fma_f64 v[10:11], -v[10:11], v[30:31], v[28:29]
	v_div_fmas_f64 v[10:11], v[10:11], v[12:13], v[30:31]
	v_div_fixup_f64 v[12:13], v[10:11], v[18:19], v[20:21]
	v_fmac_f64_e32 v[18:19], v[20:21], v[12:13]
	v_div_scale_f64 v[10:11], s[10:11], v[18:19], v[18:19], 1.0
	v_rcp_f64_e32 v[20:21], v[10:11]
	v_fma_f64 v[28:29], -v[10:11], v[20:21], 1.0
	v_fmac_f64_e32 v[20:21], v[20:21], v[28:29]
	v_fma_f64 v[28:29], -v[10:11], v[20:21], 1.0
	v_fmac_f64_e32 v[20:21], v[20:21], v[28:29]
	v_div_scale_f64 v[28:29], vcc, 1.0, v[18:19], 1.0
	v_mul_f64 v[30:31], v[28:29], v[20:21]
	v_fma_f64 v[10:11], -v[10:11], v[30:31], v[28:29]
	s_nop 1
	v_div_fmas_f64 v[10:11], v[10:11], v[20:21], v[30:31]
	v_div_fixup_f64 v[18:19], v[10:11], v[18:19], 1.0
	v_fma_f64 v[10:11], v[12:13], v[24:25], v[22:23]
	v_fma_f64 v[12:13], -v[12:13], v[22:23], v[24:25]
	v_mul_f64 v[10:11], v[10:11], v[18:19]
	v_mul_f64 v[12:13], v[12:13], v[18:19]
.LBB213_32:                             ;   in Loop: Header=BB213_21 Depth=1
	v_mov_b32_e32 v18, s17
	ds_read_b128 v[22:25], v18 offset:32
	s_add_i32 s16, s16, s14
	s_lshl_b32 s16, s16, 4
	ds_write_b128 v27, v[10:13]
	v_mov_b32_e32 v27, s16
	s_waitcnt lgkmcnt(1)
	v_mul_f64 v[28:29], v[16:17], v[24:25]
	ds_read_b128 v[18:21], v18 offset:416
	v_fma_f64 v[32:33], v[14:15], v[22:23], -v[28:29]
	ds_read_b128 v[28:31], v27 offset:32
	v_mul_f64 v[24:25], v[14:15], v[24:25]
	v_fmac_f64_e32 v[24:25], v[16:17], v[22:23]
	v_add_f64 v[6:7], v[6:7], -v[32:33]
	v_add_f64 v[8:9], v[8:9], -v[24:25]
	s_waitcnt lgkmcnt(0)
	v_mul_f64 v[22:23], v[12:13], v[30:31]
	v_fma_f64 v[22:23], v[10:11], v[28:29], -v[22:23]
	v_mul_f64 v[24:25], v[10:11], v[30:31]
	v_fmac_f64_e32 v[24:25], v[12:13], v[28:29]
	v_add_f64 v[6:7], v[6:7], -v[22:23]
	v_xor_b32_e32 v22, 0x80000000, v19
	v_cmp_gt_f64_e32 vcc, 0, v[18:19]
	v_add_f64 v[8:9], v[8:9], -v[24:25]
	v_cndmask_b32_e32 v23, v19, v22, vcc
	v_xor_b32_e32 v24, 0x80000000, v21
	v_cmp_gt_f64_e32 vcc, 0, v[20:21]
	v_mov_b32_e32 v22, v18
	v_cndmask_b32_e32 v25, v21, v24, vcc
	v_mov_b32_e32 v24, v20
	v_cmp_ngt_f64_e32 vcc, v[22:23], v[24:25]
	s_cbranch_vccz .LBB213_34
; %bb.33:                               ;   in Loop: Header=BB213_21 Depth=1
	v_div_scale_f64 v[22:23], s[10:11], v[20:21], v[20:21], v[18:19]
	v_rcp_f64_e32 v[24:25], v[22:23]
	v_div_scale_f64 v[28:29], vcc, v[18:19], v[20:21], v[18:19]
	v_fma_f64 v[30:31], -v[22:23], v[24:25], 1.0
	v_fmac_f64_e32 v[24:25], v[24:25], v[30:31]
	v_fma_f64 v[30:31], -v[22:23], v[24:25], 1.0
	v_fmac_f64_e32 v[24:25], v[24:25], v[30:31]
	v_mul_f64 v[30:31], v[28:29], v[24:25]
	v_fma_f64 v[22:23], -v[22:23], v[30:31], v[28:29]
	v_div_fmas_f64 v[22:23], v[22:23], v[24:25], v[30:31]
	v_div_fixup_f64 v[24:25], v[22:23], v[20:21], v[18:19]
	v_fma_f64 v[22:23], v[18:19], v[24:25], v[20:21]
	v_div_scale_f64 v[28:29], s[10:11], v[22:23], v[22:23], 1.0
	v_rcp_f64_e32 v[30:31], v[28:29]
	v_fma_f64 v[32:33], -v[28:29], v[30:31], 1.0
	v_fmac_f64_e32 v[30:31], v[30:31], v[32:33]
	v_fma_f64 v[32:33], -v[28:29], v[30:31], 1.0
	v_fmac_f64_e32 v[30:31], v[30:31], v[32:33]
	v_div_scale_f64 v[32:33], vcc, 1.0, v[22:23], 1.0
	v_mul_f64 v[34:35], v[32:33], v[30:31]
	v_fma_f64 v[28:29], -v[28:29], v[34:35], v[32:33]
	s_nop 1
	v_div_fmas_f64 v[28:29], v[28:29], v[30:31], v[34:35]
	v_div_fixup_f64 v[28:29], v[28:29], v[22:23], 1.0
	v_fma_f64 v[22:23], v[24:25], v[6:7], v[8:9]
	v_fma_f64 v[24:25], v[24:25], v[8:9], -v[6:7]
	v_mul_f64 v[22:23], v[22:23], v[28:29]
	v_mul_f64 v[24:25], v[24:25], v[28:29]
	s_cbranch_execz .LBB213_35
	s_branch .LBB213_36
.LBB213_34:                             ;   in Loop: Header=BB213_21 Depth=1
                                        ; implicit-def: $vgpr24_vgpr25
.LBB213_35:                             ;   in Loop: Header=BB213_21 Depth=1
	v_div_scale_f64 v[22:23], s[10:11], v[18:19], v[18:19], v[20:21]
	v_rcp_f64_e32 v[24:25], v[22:23]
	v_div_scale_f64 v[28:29], vcc, v[20:21], v[18:19], v[20:21]
	v_fma_f64 v[30:31], -v[22:23], v[24:25], 1.0
	v_fmac_f64_e32 v[24:25], v[24:25], v[30:31]
	v_fma_f64 v[30:31], -v[22:23], v[24:25], 1.0
	v_fmac_f64_e32 v[24:25], v[24:25], v[30:31]
	v_mul_f64 v[30:31], v[28:29], v[24:25]
	v_fma_f64 v[22:23], -v[22:23], v[30:31], v[28:29]
	v_div_fmas_f64 v[22:23], v[22:23], v[24:25], v[30:31]
	v_div_fixup_f64 v[24:25], v[22:23], v[18:19], v[20:21]
	v_fmac_f64_e32 v[18:19], v[20:21], v[24:25]
	v_div_scale_f64 v[20:21], s[10:11], v[18:19], v[18:19], 1.0
	v_rcp_f64_e32 v[22:23], v[20:21]
	v_fma_f64 v[28:29], -v[20:21], v[22:23], 1.0
	v_fmac_f64_e32 v[22:23], v[22:23], v[28:29]
	v_fma_f64 v[28:29], -v[20:21], v[22:23], 1.0
	v_fmac_f64_e32 v[22:23], v[22:23], v[28:29]
	v_div_scale_f64 v[28:29], vcc, 1.0, v[18:19], 1.0
	v_mul_f64 v[30:31], v[28:29], v[22:23]
	v_fma_f64 v[20:21], -v[20:21], v[30:31], v[28:29]
	s_nop 1
	v_div_fmas_f64 v[20:21], v[20:21], v[22:23], v[30:31]
	v_div_fixup_f64 v[18:19], v[20:21], v[18:19], 1.0
	v_fma_f64 v[20:21], v[24:25], v[8:9], v[6:7]
	v_fma_f64 v[6:7], -v[24:25], v[6:7], v[8:9]
	v_mul_f64 v[22:23], v[20:21], v[18:19]
	v_mul_f64 v[24:25], v[6:7], v[18:19]
.LBB213_36:                             ;   in Loop: Header=BB213_21 Depth=1
	v_mov_b32_e32 v6, s17
	ds_read_b128 v[18:21], v6 offset:48
	s_add_i32 s15, s15, s14
	s_lshl_b32 s10, s15, 4
	ds_read_b128 v[6:9], v6 offset:624
	ds_write_b128 v26, v[22:25]
	s_waitcnt lgkmcnt(2)
	v_mul_f64 v[28:29], v[16:17], v[20:21]
	v_mul_f64 v[20:21], v[14:15], v[20:21]
	v_fma_f64 v[14:15], v[14:15], v[18:19], -v[28:29]
	v_fmac_f64_e32 v[20:21], v[16:17], v[18:19]
	v_add_f64 v[18:19], v[2:3], -v[14:15]
	v_mov_b32_e32 v2, s16
	v_add_f64 v[20:21], v[4:5], -v[20:21]
	ds_read_b128 v[2:5], v2 offset:48
	v_mov_b32_e32 v14, s10
	ds_read_b128 v[14:17], v14 offset:48
	s_waitcnt lgkmcnt(3)
	v_cmp_gt_f64_e32 vcc, 0, v[6:7]
	s_waitcnt lgkmcnt(1)
	v_mul_f64 v[28:29], v[12:13], v[4:5]
	v_fma_f64 v[28:29], v[10:11], v[2:3], -v[28:29]
	v_mul_f64 v[4:5], v[10:11], v[4:5]
	s_waitcnt lgkmcnt(0)
	v_mul_f64 v[10:11], v[24:25], v[16:17]
	v_fmac_f64_e32 v[4:5], v[12:13], v[2:3]
	v_add_f64 v[2:3], v[18:19], -v[28:29]
	v_fma_f64 v[10:11], v[22:23], v[14:15], -v[10:11]
	v_mul_f64 v[12:13], v[22:23], v[16:17]
	v_add_f64 v[4:5], v[20:21], -v[4:5]
	v_fmac_f64_e32 v[12:13], v[24:25], v[14:15]
	v_add_f64 v[10:11], v[2:3], -v[10:11]
	v_xor_b32_e32 v2, 0x80000000, v7
	v_add_f64 v[12:13], v[4:5], -v[12:13]
	v_cndmask_b32_e32 v3, v7, v2, vcc
	v_xor_b32_e32 v4, 0x80000000, v9
	v_cmp_gt_f64_e32 vcc, 0, v[8:9]
	v_mov_b32_e32 v2, v6
	v_cndmask_b32_e32 v5, v9, v4, vcc
	v_mov_b32_e32 v4, v8
	v_cmp_ngt_f64_e32 vcc, v[2:3], v[4:5]
	s_cbranch_vccz .LBB213_38
; %bb.37:                               ;   in Loop: Header=BB213_21 Depth=1
	v_div_scale_f64 v[2:3], s[10:11], v[8:9], v[8:9], v[6:7]
	v_rcp_f64_e32 v[4:5], v[2:3]
	v_div_scale_f64 v[14:15], vcc, v[6:7], v[8:9], v[6:7]
	v_fma_f64 v[16:17], -v[2:3], v[4:5], 1.0
	v_fmac_f64_e32 v[4:5], v[4:5], v[16:17]
	v_fma_f64 v[16:17], -v[2:3], v[4:5], 1.0
	v_fmac_f64_e32 v[4:5], v[4:5], v[16:17]
	v_mul_f64 v[16:17], v[14:15], v[4:5]
	v_fma_f64 v[2:3], -v[2:3], v[16:17], v[14:15]
	v_div_fmas_f64 v[2:3], v[2:3], v[4:5], v[16:17]
	v_div_fixup_f64 v[4:5], v[2:3], v[8:9], v[6:7]
	v_fma_f64 v[2:3], v[6:7], v[4:5], v[8:9]
	v_div_scale_f64 v[14:15], s[10:11], v[2:3], v[2:3], 1.0
	v_rcp_f64_e32 v[16:17], v[14:15]
	v_fma_f64 v[18:19], -v[14:15], v[16:17], 1.0
	v_fmac_f64_e32 v[16:17], v[16:17], v[18:19]
	v_fma_f64 v[18:19], -v[14:15], v[16:17], 1.0
	v_fmac_f64_e32 v[16:17], v[16:17], v[18:19]
	v_div_scale_f64 v[18:19], vcc, 1.0, v[2:3], 1.0
	v_mul_f64 v[20:21], v[18:19], v[16:17]
	v_fma_f64 v[14:15], -v[14:15], v[20:21], v[18:19]
	s_nop 1
	v_div_fmas_f64 v[14:15], v[14:15], v[16:17], v[20:21]
	v_div_fixup_f64 v[14:15], v[14:15], v[2:3], 1.0
	v_fma_f64 v[2:3], v[4:5], v[10:11], v[12:13]
	v_fma_f64 v[4:5], v[4:5], v[12:13], -v[10:11]
	v_mul_f64 v[2:3], v[2:3], v[14:15]
	v_mul_f64 v[4:5], v[4:5], v[14:15]
	s_cbranch_execz .LBB213_39
	s_branch .LBB213_40
.LBB213_38:                             ;   in Loop: Header=BB213_21 Depth=1
                                        ; implicit-def: $vgpr4_vgpr5
.LBB213_39:                             ;   in Loop: Header=BB213_21 Depth=1
	v_div_scale_f64 v[2:3], s[10:11], v[6:7], v[6:7], v[8:9]
	v_rcp_f64_e32 v[4:5], v[2:3]
	v_div_scale_f64 v[14:15], vcc, v[8:9], v[6:7], v[8:9]
	v_fma_f64 v[16:17], -v[2:3], v[4:5], 1.0
	v_fmac_f64_e32 v[4:5], v[4:5], v[16:17]
	v_fma_f64 v[16:17], -v[2:3], v[4:5], 1.0
	v_fmac_f64_e32 v[4:5], v[4:5], v[16:17]
	v_mul_f64 v[16:17], v[14:15], v[4:5]
	v_fma_f64 v[2:3], -v[2:3], v[16:17], v[14:15]
	v_div_fmas_f64 v[2:3], v[2:3], v[4:5], v[16:17]
	v_div_fixup_f64 v[4:5], v[2:3], v[6:7], v[8:9]
	v_fmac_f64_e32 v[6:7], v[8:9], v[4:5]
	v_div_scale_f64 v[2:3], s[10:11], v[6:7], v[6:7], 1.0
	v_rcp_f64_e32 v[8:9], v[2:3]
	v_fma_f64 v[14:15], -v[2:3], v[8:9], 1.0
	v_fmac_f64_e32 v[8:9], v[8:9], v[14:15]
	v_fma_f64 v[14:15], -v[2:3], v[8:9], 1.0
	v_fmac_f64_e32 v[8:9], v[8:9], v[14:15]
	v_div_scale_f64 v[14:15], vcc, 1.0, v[6:7], 1.0
	v_mul_f64 v[16:17], v[14:15], v[8:9]
	v_fma_f64 v[2:3], -v[2:3], v[16:17], v[14:15]
	s_nop 1
	v_div_fmas_f64 v[2:3], v[2:3], v[8:9], v[16:17]
	v_div_fixup_f64 v[6:7], v[2:3], v[6:7], 1.0
	v_fma_f64 v[2:3], v[4:5], v[12:13], v[10:11]
	v_fma_f64 v[4:5], -v[4:5], v[10:11], v[12:13]
	v_mul_f64 v[2:3], v[2:3], v[6:7]
	v_mul_f64 v[4:5], v[4:5], v[6:7]
.LBB213_40:                             ;   in Loop: Header=BB213_21 Depth=1
	s_add_i32 s15, s14, 4
	s_add_i32 s10, s14, 7
	;; [unrolled: 1-line block ×3, first 2 shown]
	s_cmp_ge_i32 s10, s34
	ds_write_b128 v26, v[2:5] offset:192
	s_cbranch_scc1 .LBB213_42
; %bb.41:                               ;   in Loop: Header=BB213_21 Depth=1
	s_mov_b32 s14, s15
	s_branch .LBB213_21
.LBB213_42:
	s_cmp_ge_i32 s15, s34
	s_cbranch_scc1 .LBB213_57
; %bb.43:
	v_mov_b32_e32 v1, 0x900
	s_add_i32 s1, s15, -1
	s_lshl_b32 s14, s15, 4
	v_lshl_or_b32 v1, v0, 4, v1
	s_mov_b32 s16, 0
	s_mov_b32 s17, s15
	s_branch .LBB213_45
.LBB213_44:                             ;   in Loop: Header=BB213_45 Depth=1
	s_add_i32 s15, s15, 1
	s_add_i32 s16, s16, 1
	;; [unrolled: 1-line block ×3, first 2 shown]
	v_add_u16_e64 v2, s17, 1
	s_cmp_ge_i32 s15, s34
	v_readfirstlane_b32 s17, v2
	ds_write_b128 v14, v[10:13]
	s_cbranch_scc1 .LBB213_57
.LBB213_45:                             ; =>This Loop Header: Depth=1
                                        ;     Child Loop BB213_48 Depth 2
                                        ;     Child Loop BB213_52 Depth 2
	s_mul_i32 s10, s15, 12
	v_add_lshl_u32 v6, s10, v0, 4
	ds_read_b128 v[2:5], v6 offset:2304
	s_cmp_eq_u32 s15, 0
	s_cbranch_scc1 .LBB213_53
; %bb.46:                               ;   in Loop: Header=BB213_45 Depth=1
	s_add_i32 s10, s1, s16
	s_cmp_lt_u32 s10, 7
	s_cbranch_scc1 .LBB213_50
; %bb.47:                               ;   in Loop: Header=BB213_45 Depth=1
	s_and_b32 s10, s15, -8
	s_mov_b32 s11, 0
	v_mov_b32_e32 v7, v1
	s_mov_b32 s18, s14
.LBB213_48:                             ;   Parent Loop BB213_45 Depth=1
                                        ; =>  This Inner Loop Header: Depth=2
	v_mov_b32_e32 v68, s18
	ds_read_b128 v[8:11], v7
	ds_read_b128 v[12:15], v7 offset:192
	ds_read_b128 v[16:19], v7 offset:384
	;; [unrolled: 1-line block ×7, first 2 shown]
	ds_read_b128 v[40:43], v68
	ds_read_b128 v[44:47], v68 offset:192
	ds_read_b128 v[48:51], v68 offset:384
	ds_read_b128 v[52:55], v68 offset:576
	ds_read_b128 v[56:59], v68 offset:768
	ds_read_b128 v[60:63], v68 offset:960
	ds_read_b128 v[64:67], v68 offset:1152
	ds_read_b128 v[68:71], v68 offset:1344
	s_waitcnt lgkmcnt(7)
	v_mul_f64 v[72:73], v[42:43], v[10:11]
	v_mul_f64 v[10:11], v[40:41], v[10:11]
	s_waitcnt lgkmcnt(6)
	v_mul_f64 v[74:75], v[46:47], v[14:15]
	v_mul_f64 v[14:15], v[44:45], v[14:15]
	v_fma_f64 v[40:41], v[40:41], v[8:9], -v[72:73]
	v_fmac_f64_e32 v[10:11], v[42:43], v[8:9]
	s_waitcnt lgkmcnt(5)
	v_mul_f64 v[76:77], v[50:51], v[18:19]
	v_mul_f64 v[18:19], v[48:49], v[18:19]
	v_fma_f64 v[8:9], v[44:45], v[12:13], -v[74:75]
	v_fmac_f64_e32 v[14:15], v[46:47], v[12:13]
	v_add_f64 v[2:3], v[2:3], -v[40:41]
	v_add_f64 v[4:5], v[4:5], -v[10:11]
	s_waitcnt lgkmcnt(4)
	v_mul_f64 v[78:79], v[54:55], v[22:23]
	v_mul_f64 v[22:23], v[52:53], v[22:23]
	v_fma_f64 v[12:13], v[48:49], v[16:17], -v[76:77]
	v_fmac_f64_e32 v[18:19], v[50:51], v[16:17]
	v_add_f64 v[2:3], v[2:3], -v[8:9]
	v_add_f64 v[4:5], v[4:5], -v[14:15]
	s_waitcnt lgkmcnt(3)
	v_mul_f64 v[80:81], v[58:59], v[26:27]
	v_mul_f64 v[26:27], v[56:57], v[26:27]
	v_fma_f64 v[16:17], v[52:53], v[20:21], -v[78:79]
	v_fmac_f64_e32 v[22:23], v[54:55], v[20:21]
	v_add_f64 v[2:3], v[2:3], -v[12:13]
	v_add_f64 v[4:5], v[4:5], -v[18:19]
	s_waitcnt lgkmcnt(2)
	v_mul_f64 v[82:83], v[62:63], v[30:31]
	v_mul_f64 v[30:31], v[60:61], v[30:31]
	v_fma_f64 v[20:21], v[56:57], v[24:25], -v[80:81]
	v_fmac_f64_e32 v[26:27], v[58:59], v[24:25]
	v_add_f64 v[2:3], v[2:3], -v[16:17]
	v_add_f64 v[4:5], v[4:5], -v[22:23]
	s_waitcnt lgkmcnt(1)
	v_mul_f64 v[84:85], v[66:67], v[34:35]
	v_mul_f64 v[34:35], v[64:65], v[34:35]
	v_fma_f64 v[24:25], v[60:61], v[28:29], -v[82:83]
	v_fmac_f64_e32 v[30:31], v[62:63], v[28:29]
	v_add_f64 v[2:3], v[2:3], -v[20:21]
	v_add_f64 v[4:5], v[4:5], -v[26:27]
	s_waitcnt lgkmcnt(0)
	v_mul_f64 v[86:87], v[70:71], v[38:39]
	v_mul_f64 v[38:39], v[68:69], v[38:39]
	v_fma_f64 v[28:29], v[64:65], v[32:33], -v[84:85]
	v_fmac_f64_e32 v[34:35], v[66:67], v[32:33]
	v_add_f64 v[2:3], v[2:3], -v[24:25]
	v_add_f64 v[4:5], v[4:5], -v[30:31]
	s_add_i32 s11, s11, 8
	s_addk_i32 s18, 0x600
	v_fma_f64 v[32:33], v[68:69], v[36:37], -v[86:87]
	v_fmac_f64_e32 v[38:39], v[70:71], v[36:37]
	v_add_f64 v[2:3], v[2:3], -v[28:29]
	v_add_f64 v[4:5], v[4:5], -v[34:35]
	v_add_u32_e32 v7, 0x600, v7
	s_cmp_eq_u32 s10, s11
	v_add_f64 v[2:3], v[2:3], -v[32:33]
	v_add_f64 v[4:5], v[4:5], -v[38:39]
	s_cbranch_scc0 .LBB213_48
; %bb.49:                               ;   in Loop: Header=BB213_45 Depth=1
	s_and_b32 s11, s15, 7
	s_cmp_eq_u32 s11, 0
	s_cbranch_scc0 .LBB213_51
	s_branch .LBB213_53
.LBB213_50:                             ;   in Loop: Header=BB213_45 Depth=1
	s_mov_b32 s10, 0
	s_and_b32 s11, s15, 7
	s_cmp_eq_u32 s11, 0
	s_cbranch_scc1 .LBB213_53
.LBB213_51:                             ;   in Loop: Header=BB213_45 Depth=1
	s_and_b32 s11, s17, 7
	s_mulk_i32 s10, 0xc0
.LBB213_52:                             ;   Parent Loop BB213_45 Depth=1
                                        ; =>  This Inner Loop Header: Depth=2
	s_add_i32 s18, s14, s10
	v_add_u32_e32 v7, s10, v1
	v_mov_b32_e32 v12, s18
	ds_read_b128 v[8:11], v7
	ds_read_b128 v[12:15], v12
	s_add_i32 s11, s11, -1
	s_addk_i32 s10, 0xc0
	s_cmp_lg_u32 s11, 0
	s_waitcnt lgkmcnt(0)
	v_mul_f64 v[16:17], v[14:15], v[10:11]
	v_mul_f64 v[10:11], v[12:13], v[10:11]
	v_fma_f64 v[12:13], v[12:13], v[8:9], -v[16:17]
	v_fmac_f64_e32 v[10:11], v[14:15], v[8:9]
	v_add_f64 v[2:3], v[2:3], -v[12:13]
	v_add_f64 v[4:5], v[4:5], -v[10:11]
	s_cbranch_scc1 .LBB213_52
.LBB213_53:                             ;   in Loop: Header=BB213_45 Depth=1
	s_mul_i32 s10, s15, 0xd0
	v_add_u32_e32 v14, 0x900, v6
	v_mov_b32_e32 v6, s10
	ds_read_b128 v[6:9], v6
	s_waitcnt lgkmcnt(0)
	v_xor_b32_e32 v11, 0x80000000, v7
	v_cmp_gt_f64_e32 vcc, 0, v[6:7]
	v_xor_b32_e32 v12, 0x80000000, v9
	v_cndmask_b32_e32 v11, v7, v11, vcc
	v_cmp_gt_f64_e32 vcc, 0, v[8:9]
	v_mov_b32_e32 v10, v6
	v_cndmask_b32_e32 v13, v9, v12, vcc
	v_mov_b32_e32 v12, v8
	v_cmp_ngt_f64_e32 vcc, v[10:11], v[12:13]
	s_cbranch_vccz .LBB213_55
; %bb.54:                               ;   in Loop: Header=BB213_45 Depth=1
	v_div_scale_f64 v[10:11], s[10:11], v[8:9], v[8:9], v[6:7]
	v_rcp_f64_e32 v[12:13], v[10:11]
	v_div_scale_f64 v[16:17], vcc, v[6:7], v[8:9], v[6:7]
	v_fma_f64 v[18:19], -v[10:11], v[12:13], 1.0
	v_fmac_f64_e32 v[12:13], v[12:13], v[18:19]
	v_fma_f64 v[18:19], -v[10:11], v[12:13], 1.0
	v_fmac_f64_e32 v[12:13], v[12:13], v[18:19]
	v_mul_f64 v[18:19], v[16:17], v[12:13]
	v_fma_f64 v[10:11], -v[10:11], v[18:19], v[16:17]
	v_div_fmas_f64 v[10:11], v[10:11], v[12:13], v[18:19]
	v_div_fixup_f64 v[12:13], v[10:11], v[8:9], v[6:7]
	v_fma_f64 v[10:11], v[6:7], v[12:13], v[8:9]
	v_div_scale_f64 v[16:17], s[10:11], v[10:11], v[10:11], 1.0
	v_rcp_f64_e32 v[18:19], v[16:17]
	v_fma_f64 v[20:21], -v[16:17], v[18:19], 1.0
	v_fmac_f64_e32 v[18:19], v[18:19], v[20:21]
	v_fma_f64 v[20:21], -v[16:17], v[18:19], 1.0
	v_fmac_f64_e32 v[18:19], v[18:19], v[20:21]
	v_div_scale_f64 v[20:21], vcc, 1.0, v[10:11], 1.0
	v_mul_f64 v[22:23], v[20:21], v[18:19]
	v_fma_f64 v[16:17], -v[16:17], v[22:23], v[20:21]
	s_nop 1
	v_div_fmas_f64 v[16:17], v[16:17], v[18:19], v[22:23]
	v_div_fixup_f64 v[16:17], v[16:17], v[10:11], 1.0
	v_fma_f64 v[10:11], v[2:3], v[12:13], v[4:5]
	v_fma_f64 v[12:13], v[4:5], v[12:13], -v[2:3]
	v_mul_f64 v[10:11], v[10:11], v[16:17]
	v_mul_f64 v[12:13], v[12:13], v[16:17]
	s_cbranch_execnz .LBB213_44
	s_branch .LBB213_56
.LBB213_55:                             ;   in Loop: Header=BB213_45 Depth=1
                                        ; implicit-def: $vgpr10_vgpr11
.LBB213_56:                             ;   in Loop: Header=BB213_45 Depth=1
	v_div_scale_f64 v[10:11], s[10:11], v[6:7], v[6:7], v[8:9]
	v_rcp_f64_e32 v[12:13], v[10:11]
	v_div_scale_f64 v[16:17], vcc, v[8:9], v[6:7], v[8:9]
	v_fma_f64 v[18:19], -v[10:11], v[12:13], 1.0
	v_fmac_f64_e32 v[12:13], v[12:13], v[18:19]
	v_fma_f64 v[18:19], -v[10:11], v[12:13], 1.0
	v_fmac_f64_e32 v[12:13], v[12:13], v[18:19]
	v_mul_f64 v[18:19], v[16:17], v[12:13]
	v_fma_f64 v[10:11], -v[10:11], v[18:19], v[16:17]
	v_div_fmas_f64 v[10:11], v[10:11], v[12:13], v[18:19]
	v_div_fixup_f64 v[12:13], v[10:11], v[6:7], v[8:9]
	v_fmac_f64_e32 v[6:7], v[8:9], v[12:13]
	v_div_scale_f64 v[8:9], s[10:11], v[6:7], v[6:7], 1.0
	v_rcp_f64_e32 v[10:11], v[8:9]
	v_fma_f64 v[16:17], -v[8:9], v[10:11], 1.0
	v_fmac_f64_e32 v[10:11], v[10:11], v[16:17]
	v_fma_f64 v[16:17], -v[8:9], v[10:11], 1.0
	v_fmac_f64_e32 v[10:11], v[10:11], v[16:17]
	v_div_scale_f64 v[16:17], vcc, 1.0, v[6:7], 1.0
	v_mul_f64 v[18:19], v[16:17], v[10:11]
	v_fma_f64 v[8:9], -v[8:9], v[18:19], v[16:17]
	s_nop 1
	v_div_fmas_f64 v[8:9], v[8:9], v[10:11], v[18:19]
	v_div_fixup_f64 v[6:7], v[8:9], v[6:7], 1.0
	v_fma_f64 v[8:9], v[4:5], v[12:13], v[2:3]
	v_fma_f64 v[2:3], -v[2:3], v[12:13], v[4:5]
	v_mul_f64 v[10:11], v[8:9], v[6:7]
	v_mul_f64 v[12:13], v[2:3], v[6:7]
	s_branch .LBB213_44
.LBB213_57:
	s_mov_b64 s[10:11], 0
.LBB213_58:
	s_and_b64 vcc, exec, s[10:11]
	s_cbranch_vccz .LBB213_90
; %bb.59:
	s_andn2_b64 vcc, exec, s[8:9]
	s_mov_b32 s15, s35
	s_cbranch_vccnz .LBB213_81
; %bb.60:
	s_mul_i32 s1, s34, 0xc0
	v_lshl_add_u32 v1, v0, 4, s1
	s_mul_i32 s1, s34, 0xd0
	v_add_u32_e32 v1, 0x780, v1
	s_addk_i32 s1, 0xfe40
	s_mov_b32 s14, s35
.LBB213_61:                             ; =>This Loop Header: Depth=1
                                        ;     Child Loop BB213_62 Depth 2
	s_mul_i32 s17, s14, 12
	s_sub_i32 s15, s17, 24
	v_add_lshl_u32 v18, s17, v0, 4
	s_add_i32 s16, s17, -12
	v_add_lshl_u32 v20, s15, v0, 4
	v_add_lshl_u32 v19, s16, v0, 4
	ds_read_b128 v[14:17], v18 offset:2304
	ds_read_b128 v[10:13], v19 offset:2304
	;; [unrolled: 1-line block ×4, first 2 shown]
	s_cmp_le_i32 s35, s14
	s_mov_b32 s10, s1
	v_mov_b32_e32 v21, v1
	s_mov_b32 s11, s35
	s_cbranch_scc1 .LBB213_63
.LBB213_62:                             ;   Parent Loop BB213_61 Depth=1
                                        ; =>  This Inner Loop Header: Depth=2
	v_mov_b32_e32 v58, s10
	ds_read_b128 v[22:25], v21 offset:192
	ds_read_b128 v[26:29], v21
	ds_read_b128 v[30:33], v58 offset:240
	ds_read_b128 v[34:37], v58 offset:224
	;; [unrolled: 1-line block ×4, first 2 shown]
	ds_read_b128 v[46:49], v58
	ds_read_b128 v[50:53], v58 offset:16
	ds_read_b128 v[54:57], v58 offset:32
	;; [unrolled: 1-line block ×3, first 2 shown]
	s_add_i32 s11, s11, -2
	s_addk_i32 s10, 0xfe80
	s_waitcnt lgkmcnt(7)
	v_mul_f64 v[62:63], v[24:25], v[32:33]
	v_mul_f64 v[32:33], v[22:23], v[32:33]
	s_waitcnt lgkmcnt(6)
	v_mul_f64 v[64:65], v[24:25], v[36:37]
	v_mul_f64 v[36:37], v[22:23], v[36:37]
	;; [unrolled: 3-line block ×5, first 2 shown]
	v_mul_f64 v[72:73], v[28:29], v[56:57]
	v_mul_f64 v[56:57], v[26:27], v[56:57]
	;; [unrolled: 1-line block ×6, first 2 shown]
	v_fma_f64 v[62:63], v[22:23], v[30:31], -v[62:63]
	v_fmac_f64_e32 v[32:33], v[24:25], v[30:31]
	v_fma_f64 v[30:31], v[22:23], v[34:35], -v[64:65]
	v_fmac_f64_e32 v[36:37], v[24:25], v[34:35]
	;; [unrolled: 2-line block ×8, first 2 shown]
	v_add_f64 v[14:15], v[14:15], -v[62:63]
	v_add_f64 v[16:17], v[16:17], -v[32:33]
	;; [unrolled: 1-line block ×8, first 2 shown]
	v_add_u32_e32 v21, 0xfffffe80, v21
	s_cmp_le_i32 s11, s14
	v_add_f64 v[14:15], v[14:15], -v[24:25]
	v_add_f64 v[16:17], v[16:17], -v[60:61]
	;; [unrolled: 1-line block ×8, first 2 shown]
	s_cbranch_scc0 .LBB213_62
.LBB213_63:                             ;   in Loop: Header=BB213_61 Depth=1
	s_mul_i32 s18, s14, 0xd0
	v_add_u32_e32 v29, 0x900, v18
	v_mov_b32_e32 v18, s18
	ds_read_b128 v[22:25], v18
	v_add_u32_e32 v28, 0x900, v19
	v_add_u32_e32 v27, 0x900, v20
	v_add_u32_e32 v26, 0x840, v20
	s_waitcnt lgkmcnt(0)
	v_xor_b32_e32 v19, 0x80000000, v23
	v_cmp_gt_f64_e32 vcc, 0, v[22:23]
	v_xor_b32_e32 v20, 0x80000000, v25
	v_cndmask_b32_e32 v19, v23, v19, vcc
	v_cmp_gt_f64_e32 vcc, 0, v[24:25]
	v_mov_b32_e32 v18, v22
	v_cndmask_b32_e32 v21, v25, v20, vcc
	v_mov_b32_e32 v20, v24
	v_cmp_ngt_f64_e32 vcc, v[18:19], v[20:21]
	s_cbranch_vccz .LBB213_65
; %bb.64:                               ;   in Loop: Header=BB213_61 Depth=1
	v_div_scale_f64 v[18:19], s[10:11], v[24:25], v[24:25], v[22:23]
	v_rcp_f64_e32 v[20:21], v[18:19]
	v_div_scale_f64 v[30:31], vcc, v[22:23], v[24:25], v[22:23]
	v_fma_f64 v[32:33], -v[18:19], v[20:21], 1.0
	v_fmac_f64_e32 v[20:21], v[20:21], v[32:33]
	v_fma_f64 v[32:33], -v[18:19], v[20:21], 1.0
	v_fmac_f64_e32 v[20:21], v[20:21], v[32:33]
	v_mul_f64 v[32:33], v[30:31], v[20:21]
	v_fma_f64 v[18:19], -v[18:19], v[32:33], v[30:31]
	v_div_fmas_f64 v[18:19], v[18:19], v[20:21], v[32:33]
	v_div_fixup_f64 v[20:21], v[18:19], v[24:25], v[22:23]
	v_fma_f64 v[18:19], v[22:23], v[20:21], v[24:25]
	v_div_scale_f64 v[30:31], s[10:11], v[18:19], v[18:19], 1.0
	v_rcp_f64_e32 v[32:33], v[30:31]
	v_fma_f64 v[34:35], -v[30:31], v[32:33], 1.0
	v_fmac_f64_e32 v[32:33], v[32:33], v[34:35]
	v_fma_f64 v[34:35], -v[30:31], v[32:33], 1.0
	v_fmac_f64_e32 v[32:33], v[32:33], v[34:35]
	v_div_scale_f64 v[34:35], vcc, 1.0, v[18:19], 1.0
	v_mul_f64 v[36:37], v[34:35], v[32:33]
	v_fma_f64 v[30:31], -v[30:31], v[36:37], v[34:35]
	s_nop 1
	v_div_fmas_f64 v[30:31], v[30:31], v[32:33], v[36:37]
	v_div_fixup_f64 v[30:31], v[30:31], v[18:19], 1.0
	v_fma_f64 v[18:19], v[14:15], v[20:21], v[16:17]
	v_fma_f64 v[20:21], v[16:17], v[20:21], -v[14:15]
	v_mul_f64 v[18:19], v[18:19], v[30:31]
	v_mul_f64 v[20:21], v[20:21], v[30:31]
	s_cbranch_execz .LBB213_66
	s_branch .LBB213_67
.LBB213_65:                             ;   in Loop: Header=BB213_61 Depth=1
                                        ; implicit-def: $vgpr20_vgpr21
.LBB213_66:                             ;   in Loop: Header=BB213_61 Depth=1
	v_div_scale_f64 v[18:19], s[10:11], v[22:23], v[22:23], v[24:25]
	v_rcp_f64_e32 v[20:21], v[18:19]
	v_div_scale_f64 v[30:31], vcc, v[24:25], v[22:23], v[24:25]
	v_fma_f64 v[32:33], -v[18:19], v[20:21], 1.0
	v_fmac_f64_e32 v[20:21], v[20:21], v[32:33]
	v_fma_f64 v[32:33], -v[18:19], v[20:21], 1.0
	v_fmac_f64_e32 v[20:21], v[20:21], v[32:33]
	v_mul_f64 v[32:33], v[30:31], v[20:21]
	v_fma_f64 v[18:19], -v[18:19], v[32:33], v[30:31]
	v_div_fmas_f64 v[18:19], v[18:19], v[20:21], v[32:33]
	v_div_fixup_f64 v[20:21], v[18:19], v[22:23], v[24:25]
	v_fmac_f64_e32 v[22:23], v[24:25], v[20:21]
	v_div_scale_f64 v[18:19], s[10:11], v[22:23], v[22:23], 1.0
	v_rcp_f64_e32 v[24:25], v[18:19]
	v_fma_f64 v[30:31], -v[18:19], v[24:25], 1.0
	v_fmac_f64_e32 v[24:25], v[24:25], v[30:31]
	v_fma_f64 v[30:31], -v[18:19], v[24:25], 1.0
	v_fmac_f64_e32 v[24:25], v[24:25], v[30:31]
	v_div_scale_f64 v[30:31], vcc, 1.0, v[22:23], 1.0
	v_mul_f64 v[32:33], v[30:31], v[24:25]
	v_fma_f64 v[18:19], -v[18:19], v[32:33], v[30:31]
	s_nop 1
	v_div_fmas_f64 v[18:19], v[18:19], v[24:25], v[32:33]
	v_div_fixup_f64 v[22:23], v[18:19], v[22:23], 1.0
	v_fma_f64 v[18:19], v[16:17], v[20:21], v[14:15]
	v_fma_f64 v[14:15], -v[14:15], v[20:21], v[16:17]
	v_mul_f64 v[18:19], v[18:19], v[22:23]
	v_mul_f64 v[20:21], v[14:15], v[22:23]
.LBB213_67:                             ;   in Loop: Header=BB213_61 Depth=1
	s_add_i32 s10, s14, s17
	s_lshl_b32 s10, s10, 4
	s_add_i32 s10, s10, -16
	v_mov_b32_e32 v14, s10
	ds_read_b128 v[22:25], v14
	s_addk_i32 s18, 0xff30
	v_mov_b32_e32 v14, s18
	ds_read_b128 v[14:17], v14
	ds_write_b128 v29, v[18:21]
	s_waitcnt lgkmcnt(2)
	v_mul_f64 v[30:31], v[20:21], v[24:25]
	v_fma_f64 v[30:31], v[18:19], v[22:23], -v[30:31]
	v_mul_f64 v[24:25], v[18:19], v[24:25]
	v_fmac_f64_e32 v[24:25], v[20:21], v[22:23]
	v_add_f64 v[22:23], v[10:11], -v[30:31]
	s_waitcnt lgkmcnt(1)
	v_xor_b32_e32 v10, 0x80000000, v15
	v_cmp_gt_f64_e32 vcc, 0, v[14:15]
	v_add_f64 v[24:25], v[12:13], -v[24:25]
	v_cndmask_b32_e32 v11, v15, v10, vcc
	v_xor_b32_e32 v12, 0x80000000, v17
	v_cmp_gt_f64_e32 vcc, 0, v[16:17]
	v_mov_b32_e32 v10, v14
	v_cndmask_b32_e32 v13, v17, v12, vcc
	v_mov_b32_e32 v12, v16
	v_cmp_ngt_f64_e32 vcc, v[10:11], v[12:13]
	s_cbranch_vccz .LBB213_69
; %bb.68:                               ;   in Loop: Header=BB213_61 Depth=1
	v_div_scale_f64 v[10:11], s[10:11], v[16:17], v[16:17], v[14:15]
	v_rcp_f64_e32 v[12:13], v[10:11]
	v_div_scale_f64 v[30:31], vcc, v[14:15], v[16:17], v[14:15]
	v_fma_f64 v[32:33], -v[10:11], v[12:13], 1.0
	v_fmac_f64_e32 v[12:13], v[12:13], v[32:33]
	v_fma_f64 v[32:33], -v[10:11], v[12:13], 1.0
	v_fmac_f64_e32 v[12:13], v[12:13], v[32:33]
	v_mul_f64 v[32:33], v[30:31], v[12:13]
	v_fma_f64 v[10:11], -v[10:11], v[32:33], v[30:31]
	v_div_fmas_f64 v[10:11], v[10:11], v[12:13], v[32:33]
	v_div_fixup_f64 v[12:13], v[10:11], v[16:17], v[14:15]
	v_fma_f64 v[10:11], v[14:15], v[12:13], v[16:17]
	v_div_scale_f64 v[30:31], s[10:11], v[10:11], v[10:11], 1.0
	v_rcp_f64_e32 v[32:33], v[30:31]
	v_fma_f64 v[34:35], -v[30:31], v[32:33], 1.0
	v_fmac_f64_e32 v[32:33], v[32:33], v[34:35]
	v_fma_f64 v[34:35], -v[30:31], v[32:33], 1.0
	v_fmac_f64_e32 v[32:33], v[32:33], v[34:35]
	v_div_scale_f64 v[34:35], vcc, 1.0, v[10:11], 1.0
	v_mul_f64 v[36:37], v[34:35], v[32:33]
	v_fma_f64 v[30:31], -v[30:31], v[36:37], v[34:35]
	s_nop 1
	v_div_fmas_f64 v[30:31], v[30:31], v[32:33], v[36:37]
	v_div_fixup_f64 v[30:31], v[30:31], v[10:11], 1.0
	v_fma_f64 v[10:11], v[12:13], v[22:23], v[24:25]
	v_fma_f64 v[12:13], v[12:13], v[24:25], -v[22:23]
	v_mul_f64 v[10:11], v[10:11], v[30:31]
	v_mul_f64 v[12:13], v[12:13], v[30:31]
	s_cbranch_execz .LBB213_70
	s_branch .LBB213_71
.LBB213_69:                             ;   in Loop: Header=BB213_61 Depth=1
                                        ; implicit-def: $vgpr12_vgpr13
.LBB213_70:                             ;   in Loop: Header=BB213_61 Depth=1
	v_div_scale_f64 v[10:11], s[10:11], v[14:15], v[14:15], v[16:17]
	v_rcp_f64_e32 v[12:13], v[10:11]
	v_div_scale_f64 v[30:31], vcc, v[16:17], v[14:15], v[16:17]
	v_fma_f64 v[32:33], -v[10:11], v[12:13], 1.0
	v_fmac_f64_e32 v[12:13], v[12:13], v[32:33]
	v_fma_f64 v[32:33], -v[10:11], v[12:13], 1.0
	v_fmac_f64_e32 v[12:13], v[12:13], v[32:33]
	v_mul_f64 v[32:33], v[30:31], v[12:13]
	v_fma_f64 v[10:11], -v[10:11], v[32:33], v[30:31]
	v_div_fmas_f64 v[10:11], v[10:11], v[12:13], v[32:33]
	v_div_fixup_f64 v[12:13], v[10:11], v[14:15], v[16:17]
	v_fmac_f64_e32 v[14:15], v[16:17], v[12:13]
	v_div_scale_f64 v[10:11], s[10:11], v[14:15], v[14:15], 1.0
	v_rcp_f64_e32 v[16:17], v[10:11]
	v_fma_f64 v[30:31], -v[10:11], v[16:17], 1.0
	v_fmac_f64_e32 v[16:17], v[16:17], v[30:31]
	v_fma_f64 v[30:31], -v[10:11], v[16:17], 1.0
	v_fmac_f64_e32 v[16:17], v[16:17], v[30:31]
	v_div_scale_f64 v[30:31], vcc, 1.0, v[14:15], 1.0
	v_mul_f64 v[32:33], v[30:31], v[16:17]
	v_fma_f64 v[10:11], -v[10:11], v[32:33], v[30:31]
	s_nop 1
	v_div_fmas_f64 v[10:11], v[10:11], v[16:17], v[32:33]
	v_div_fixup_f64 v[14:15], v[10:11], v[14:15], 1.0
	v_fma_f64 v[10:11], v[12:13], v[24:25], v[22:23]
	v_fma_f64 v[12:13], -v[12:13], v[22:23], v[24:25]
	v_mul_f64 v[10:11], v[10:11], v[14:15]
	v_mul_f64 v[12:13], v[12:13], v[14:15]
.LBB213_71:                             ;   in Loop: Header=BB213_61 Depth=1
	s_add_i32 s10, s14, -2
	s_add_i32 s11, s17, s10
	s_lshl_b32 s11, s11, 4
	v_mov_b32_e32 v14, s11
	s_add_i32 s10, s16, s10
	ds_read_b128 v[14:17], v14
	s_lshl_b32 s10, s10, 4
	v_mov_b32_e32 v22, s10
	ds_read_b128 v[22:25], v22
	ds_write_b128 v28, v[10:13]
	s_waitcnt lgkmcnt(2)
	v_mul_f64 v[28:29], v[20:21], v[16:17]
	v_fma_f64 v[28:29], v[18:19], v[14:15], -v[28:29]
	v_mul_f64 v[16:17], v[18:19], v[16:17]
	v_fmac_f64_e32 v[16:17], v[20:21], v[14:15]
	v_add_f64 v[14:15], v[6:7], -v[28:29]
	s_waitcnt lgkmcnt(1)
	v_mul_f64 v[6:7], v[12:13], v[24:25]
	s_addk_i32 s18, 0xff30
	v_fma_f64 v[28:29], v[10:11], v[22:23], -v[6:7]
	v_mov_b32_e32 v6, s18
	v_add_f64 v[16:17], v[8:9], -v[16:17]
	ds_read_b128 v[6:9], v6
	v_mul_f64 v[24:25], v[10:11], v[24:25]
	v_fmac_f64_e32 v[24:25], v[12:13], v[22:23]
	v_add_f64 v[22:23], v[14:15], -v[28:29]
	v_add_f64 v[24:25], v[16:17], -v[24:25]
	s_waitcnt lgkmcnt(0)
	v_xor_b32_e32 v14, 0x80000000, v7
	v_cmp_gt_f64_e32 vcc, 0, v[6:7]
	v_cndmask_b32_e32 v15, v7, v14, vcc
	v_xor_b32_e32 v16, 0x80000000, v9
	v_cmp_gt_f64_e32 vcc, 0, v[8:9]
	v_mov_b32_e32 v14, v6
	v_cndmask_b32_e32 v17, v9, v16, vcc
	v_mov_b32_e32 v16, v8
	v_cmp_ngt_f64_e32 vcc, v[14:15], v[16:17]
	s_cbranch_vccz .LBB213_73
; %bb.72:                               ;   in Loop: Header=BB213_61 Depth=1
	v_div_scale_f64 v[14:15], s[10:11], v[8:9], v[8:9], v[6:7]
	v_rcp_f64_e32 v[16:17], v[14:15]
	v_div_scale_f64 v[28:29], vcc, v[6:7], v[8:9], v[6:7]
	v_fma_f64 v[30:31], -v[14:15], v[16:17], 1.0
	v_fmac_f64_e32 v[16:17], v[16:17], v[30:31]
	v_fma_f64 v[30:31], -v[14:15], v[16:17], 1.0
	v_fmac_f64_e32 v[16:17], v[16:17], v[30:31]
	v_mul_f64 v[30:31], v[28:29], v[16:17]
	v_fma_f64 v[14:15], -v[14:15], v[30:31], v[28:29]
	v_div_fmas_f64 v[14:15], v[14:15], v[16:17], v[30:31]
	v_div_fixup_f64 v[16:17], v[14:15], v[8:9], v[6:7]
	v_fma_f64 v[14:15], v[6:7], v[16:17], v[8:9]
	v_div_scale_f64 v[28:29], s[10:11], v[14:15], v[14:15], 1.0
	v_rcp_f64_e32 v[30:31], v[28:29]
	v_fma_f64 v[32:33], -v[28:29], v[30:31], 1.0
	v_fmac_f64_e32 v[30:31], v[30:31], v[32:33]
	v_fma_f64 v[32:33], -v[28:29], v[30:31], 1.0
	v_fmac_f64_e32 v[30:31], v[30:31], v[32:33]
	v_div_scale_f64 v[32:33], vcc, 1.0, v[14:15], 1.0
	v_mul_f64 v[34:35], v[32:33], v[30:31]
	v_fma_f64 v[28:29], -v[28:29], v[34:35], v[32:33]
	s_nop 1
	v_div_fmas_f64 v[28:29], v[28:29], v[30:31], v[34:35]
	v_div_fixup_f64 v[28:29], v[28:29], v[14:15], 1.0
	v_fma_f64 v[14:15], v[16:17], v[22:23], v[24:25]
	v_fma_f64 v[16:17], v[16:17], v[24:25], -v[22:23]
	v_mul_f64 v[14:15], v[14:15], v[28:29]
	v_mul_f64 v[16:17], v[16:17], v[28:29]
	s_cbranch_execz .LBB213_74
	s_branch .LBB213_75
.LBB213_73:                             ;   in Loop: Header=BB213_61 Depth=1
                                        ; implicit-def: $vgpr16_vgpr17
.LBB213_74:                             ;   in Loop: Header=BB213_61 Depth=1
	v_div_scale_f64 v[14:15], s[10:11], v[6:7], v[6:7], v[8:9]
	v_rcp_f64_e32 v[16:17], v[14:15]
	v_div_scale_f64 v[28:29], vcc, v[8:9], v[6:7], v[8:9]
	v_fma_f64 v[30:31], -v[14:15], v[16:17], 1.0
	v_fmac_f64_e32 v[16:17], v[16:17], v[30:31]
	v_fma_f64 v[30:31], -v[14:15], v[16:17], 1.0
	v_fmac_f64_e32 v[16:17], v[16:17], v[30:31]
	v_mul_f64 v[30:31], v[28:29], v[16:17]
	v_fma_f64 v[14:15], -v[14:15], v[30:31], v[28:29]
	v_div_fmas_f64 v[14:15], v[14:15], v[16:17], v[30:31]
	v_div_fixup_f64 v[16:17], v[14:15], v[6:7], v[8:9]
	v_fmac_f64_e32 v[6:7], v[8:9], v[16:17]
	v_div_scale_f64 v[8:9], s[10:11], v[6:7], v[6:7], 1.0
	v_rcp_f64_e32 v[14:15], v[8:9]
	v_fma_f64 v[28:29], -v[8:9], v[14:15], 1.0
	v_fmac_f64_e32 v[14:15], v[14:15], v[28:29]
	v_fma_f64 v[28:29], -v[8:9], v[14:15], 1.0
	v_fmac_f64_e32 v[14:15], v[14:15], v[28:29]
	v_div_scale_f64 v[28:29], vcc, 1.0, v[6:7], 1.0
	v_mul_f64 v[30:31], v[28:29], v[14:15]
	v_fma_f64 v[8:9], -v[8:9], v[30:31], v[28:29]
	s_nop 1
	v_div_fmas_f64 v[8:9], v[8:9], v[14:15], v[30:31]
	v_div_fixup_f64 v[6:7], v[8:9], v[6:7], 1.0
	v_fma_f64 v[8:9], v[16:17], v[24:25], v[22:23]
	v_mul_f64 v[14:15], v[8:9], v[6:7]
	v_fma_f64 v[8:9], -v[16:17], v[22:23], v[24:25]
	v_mul_f64 v[16:17], v[8:9], v[6:7]
.LBB213_75:                             ;   in Loop: Header=BB213_61 Depth=1
	s_add_i32 s10, s14, -3
	s_add_i32 s17, s17, s10
	s_lshl_b32 s11, s17, 4
	s_add_i32 s16, s16, s10
	v_mov_b32_e32 v6, s11
	s_lshl_b32 s11, s16, 4
	ds_read_b128 v[6:9], v6
	v_mov_b32_e32 v22, s11
	ds_read_b128 v[22:25], v22
	s_add_i32 s15, s15, s10
	s_lshl_b32 s10, s15, 4
	s_waitcnt lgkmcnt(1)
	v_mul_f64 v[28:29], v[20:21], v[8:9]
	v_mul_f64 v[8:9], v[18:19], v[8:9]
	v_fma_f64 v[28:29], v[18:19], v[6:7], -v[28:29]
	v_fmac_f64_e32 v[8:9], v[20:21], v[6:7]
	s_waitcnt lgkmcnt(0)
	v_mul_f64 v[6:7], v[12:13], v[24:25]
	v_add_f64 v[2:3], v[2:3], -v[28:29]
	v_fma_f64 v[6:7], v[10:11], v[22:23], -v[6:7]
	v_mul_f64 v[10:11], v[10:11], v[24:25]
	v_fmac_f64_e32 v[10:11], v[12:13], v[22:23]
	v_add_f64 v[12:13], v[2:3], -v[6:7]
	v_mov_b32_e32 v2, s10
	s_add_i32 s10, s18, 0xffffff30
	v_add_f64 v[4:5], v[4:5], -v[8:9]
	ds_read_b128 v[6:9], v2
	v_mov_b32_e32 v2, s10
	v_add_f64 v[18:19], v[4:5], -v[10:11]
	ds_read_b128 v[2:5], v2
	ds_write_b128 v27, v[14:17]
	s_waitcnt lgkmcnt(2)
	v_mul_f64 v[10:11], v[16:17], v[8:9]
	v_mul_f64 v[8:9], v[14:15], v[8:9]
	v_fma_f64 v[10:11], v[14:15], v[6:7], -v[10:11]
	v_fmac_f64_e32 v[8:9], v[16:17], v[6:7]
	s_waitcnt lgkmcnt(1)
	v_xor_b32_e32 v6, 0x80000000, v3
	v_cmp_gt_f64_e32 vcc, 0, v[2:3]
	v_add_f64 v[10:11], v[12:13], -v[10:11]
	v_add_f64 v[12:13], v[18:19], -v[8:9]
	v_cndmask_b32_e32 v7, v3, v6, vcc
	v_xor_b32_e32 v8, 0x80000000, v5
	v_cmp_gt_f64_e32 vcc, 0, v[4:5]
	v_mov_b32_e32 v6, v2
	v_cndmask_b32_e32 v9, v5, v8, vcc
	v_mov_b32_e32 v8, v4
	v_cmp_ngt_f64_e32 vcc, v[6:7], v[8:9]
	s_cbranch_vccz .LBB213_77
; %bb.76:                               ;   in Loop: Header=BB213_61 Depth=1
	v_div_scale_f64 v[6:7], s[10:11], v[4:5], v[4:5], v[2:3]
	v_rcp_f64_e32 v[8:9], v[6:7]
	v_div_scale_f64 v[14:15], vcc, v[2:3], v[4:5], v[2:3]
	v_fma_f64 v[16:17], -v[6:7], v[8:9], 1.0
	v_fmac_f64_e32 v[8:9], v[8:9], v[16:17]
	v_fma_f64 v[16:17], -v[6:7], v[8:9], 1.0
	v_fmac_f64_e32 v[8:9], v[8:9], v[16:17]
	v_mul_f64 v[16:17], v[14:15], v[8:9]
	v_fma_f64 v[6:7], -v[6:7], v[16:17], v[14:15]
	v_div_fmas_f64 v[6:7], v[6:7], v[8:9], v[16:17]
	v_div_fixup_f64 v[8:9], v[6:7], v[4:5], v[2:3]
	v_fma_f64 v[6:7], v[2:3], v[8:9], v[4:5]
	v_div_scale_f64 v[14:15], s[10:11], v[6:7], v[6:7], 1.0
	v_rcp_f64_e32 v[16:17], v[14:15]
	v_fma_f64 v[18:19], -v[14:15], v[16:17], 1.0
	v_fmac_f64_e32 v[16:17], v[16:17], v[18:19]
	v_fma_f64 v[18:19], -v[14:15], v[16:17], 1.0
	v_fmac_f64_e32 v[16:17], v[16:17], v[18:19]
	v_div_scale_f64 v[18:19], vcc, 1.0, v[6:7], 1.0
	v_mul_f64 v[20:21], v[18:19], v[16:17]
	v_fma_f64 v[14:15], -v[14:15], v[20:21], v[18:19]
	s_nop 1
	v_div_fmas_f64 v[14:15], v[14:15], v[16:17], v[20:21]
	v_div_fixup_f64 v[14:15], v[14:15], v[6:7], 1.0
	v_fma_f64 v[6:7], v[8:9], v[10:11], v[12:13]
	v_fma_f64 v[8:9], v[8:9], v[12:13], -v[10:11]
	v_mul_f64 v[6:7], v[6:7], v[14:15]
	v_mul_f64 v[8:9], v[8:9], v[14:15]
	s_cbranch_execz .LBB213_78
	s_branch .LBB213_79
.LBB213_77:                             ;   in Loop: Header=BB213_61 Depth=1
                                        ; implicit-def: $vgpr8_vgpr9
.LBB213_78:                             ;   in Loop: Header=BB213_61 Depth=1
	v_div_scale_f64 v[6:7], s[10:11], v[2:3], v[2:3], v[4:5]
	v_rcp_f64_e32 v[8:9], v[6:7]
	v_div_scale_f64 v[14:15], vcc, v[4:5], v[2:3], v[4:5]
	v_fma_f64 v[16:17], -v[6:7], v[8:9], 1.0
	v_fmac_f64_e32 v[8:9], v[8:9], v[16:17]
	v_fma_f64 v[16:17], -v[6:7], v[8:9], 1.0
	v_fmac_f64_e32 v[8:9], v[8:9], v[16:17]
	v_mul_f64 v[16:17], v[14:15], v[8:9]
	v_fma_f64 v[6:7], -v[6:7], v[16:17], v[14:15]
	v_div_fmas_f64 v[6:7], v[6:7], v[8:9], v[16:17]
	v_div_fixup_f64 v[8:9], v[6:7], v[2:3], v[4:5]
	v_fmac_f64_e32 v[2:3], v[4:5], v[8:9]
	v_div_scale_f64 v[4:5], s[10:11], v[2:3], v[2:3], 1.0
	v_rcp_f64_e32 v[6:7], v[4:5]
	v_fma_f64 v[14:15], -v[4:5], v[6:7], 1.0
	v_fmac_f64_e32 v[6:7], v[6:7], v[14:15]
	v_fma_f64 v[14:15], -v[4:5], v[6:7], 1.0
	v_fmac_f64_e32 v[6:7], v[6:7], v[14:15]
	v_div_scale_f64 v[14:15], vcc, 1.0, v[2:3], 1.0
	v_mul_f64 v[16:17], v[14:15], v[6:7]
	v_fma_f64 v[4:5], -v[4:5], v[16:17], v[14:15]
	s_nop 1
	v_div_fmas_f64 v[4:5], v[4:5], v[6:7], v[16:17]
	v_div_fixup_f64 v[2:3], v[4:5], v[2:3], 1.0
	v_fma_f64 v[4:5], v[8:9], v[12:13], v[10:11]
	v_mul_f64 v[6:7], v[4:5], v[2:3]
	v_fma_f64 v[4:5], -v[8:9], v[10:11], v[12:13]
	v_mul_f64 v[8:9], v[4:5], v[2:3]
.LBB213_79:                             ;   in Loop: Header=BB213_61 Depth=1
	s_add_i32 s15, s14, -4
	s_sub_i32 s1, s1, 64
	s_cmp_lt_i32 s14, 7
	ds_write_b128 v26, v[6:9]
	s_cbranch_scc1 .LBB213_81
; %bb.80:                               ;   in Loop: Header=BB213_61 Depth=1
	s_mov_b32 s14, s15
	s_branch .LBB213_61
.LBB213_81:
	s_cmp_lt_i32 s15, 0
	s_cbranch_scc1 .LBB213_90
; %bb.82:
	s_mul_i32 s10, s34, 0xc0
	s_lshl_b32 s1, s15, 4
	s_add_i32 s1, s10, s1
	v_lshl_add_u32 v1, v0, 4, s10
	s_addk_i32 s1, 0xff40
	v_add_u32_e32 v1, 0x840, v1
	s_branch .LBB213_84
.LBB213_83:                             ;   in Loop: Header=BB213_84 Depth=1
	s_add_i32 s10, s15, -1
	s_add_i32 s1, s1, -16
	s_cmp_lt_i32 s15, 1
	s_mov_b32 s15, s10
	ds_write_b128 v14, v[10:13]
	s_cbranch_scc1 .LBB213_90
.LBB213_84:                             ; =>This Loop Header: Depth=1
                                        ;     Child Loop BB213_85 Depth 2
	s_mul_i32 s10, s15, 12
	v_add_lshl_u32 v6, s10, v0, 4
	ds_read_b128 v[2:5], v6 offset:2304
	s_cmp_le_i32 s35, s15
	v_mov_b32_e32 v7, v1
	s_mov_b32 s10, s1
	s_mov_b32 s11, s35
	s_cbranch_scc1 .LBB213_86
.LBB213_85:                             ;   Parent Loop BB213_84 Depth=1
                                        ; =>  This Inner Loop Header: Depth=2
	v_mov_b32_e32 v12, s10
	ds_read_b128 v[8:11], v7
	ds_read_b128 v[12:15], v12
	s_add_i32 s11, s11, -1
	s_addk_i32 s10, 0xff40
	v_add_u32_e32 v7, 0xffffff40, v7
	s_cmp_le_i32 s11, s15
	s_waitcnt lgkmcnt(0)
	v_mul_f64 v[16:17], v[14:15], v[10:11]
	v_mul_f64 v[10:11], v[12:13], v[10:11]
	v_fma_f64 v[12:13], v[12:13], v[8:9], -v[16:17]
	v_fmac_f64_e32 v[10:11], v[14:15], v[8:9]
	v_add_f64 v[2:3], v[2:3], -v[12:13]
	v_add_f64 v[4:5], v[4:5], -v[10:11]
	s_cbranch_scc0 .LBB213_85
.LBB213_86:                             ;   in Loop: Header=BB213_84 Depth=1
	s_mul_i32 s10, s15, 0xd0
	v_add_u32_e32 v14, 0x900, v6
	v_mov_b32_e32 v6, s10
	ds_read_b128 v[6:9], v6
	s_waitcnt lgkmcnt(0)
	v_xor_b32_e32 v11, 0x80000000, v7
	v_cmp_gt_f64_e32 vcc, 0, v[6:7]
	v_xor_b32_e32 v12, 0x80000000, v9
	v_cndmask_b32_e32 v11, v7, v11, vcc
	v_cmp_gt_f64_e32 vcc, 0, v[8:9]
	v_mov_b32_e32 v10, v6
	v_cndmask_b32_e32 v13, v9, v12, vcc
	v_mov_b32_e32 v12, v8
	v_cmp_ngt_f64_e32 vcc, v[10:11], v[12:13]
	s_cbranch_vccz .LBB213_88
; %bb.87:                               ;   in Loop: Header=BB213_84 Depth=1
	v_div_scale_f64 v[10:11], s[10:11], v[8:9], v[8:9], v[6:7]
	v_rcp_f64_e32 v[12:13], v[10:11]
	v_div_scale_f64 v[16:17], vcc, v[6:7], v[8:9], v[6:7]
	v_fma_f64 v[18:19], -v[10:11], v[12:13], 1.0
	v_fmac_f64_e32 v[12:13], v[12:13], v[18:19]
	v_fma_f64 v[18:19], -v[10:11], v[12:13], 1.0
	v_fmac_f64_e32 v[12:13], v[12:13], v[18:19]
	v_mul_f64 v[18:19], v[16:17], v[12:13]
	v_fma_f64 v[10:11], -v[10:11], v[18:19], v[16:17]
	v_div_fmas_f64 v[10:11], v[10:11], v[12:13], v[18:19]
	v_div_fixup_f64 v[12:13], v[10:11], v[8:9], v[6:7]
	v_fma_f64 v[10:11], v[6:7], v[12:13], v[8:9]
	v_div_scale_f64 v[16:17], s[10:11], v[10:11], v[10:11], 1.0
	v_rcp_f64_e32 v[18:19], v[16:17]
	v_fma_f64 v[20:21], -v[16:17], v[18:19], 1.0
	v_fmac_f64_e32 v[18:19], v[18:19], v[20:21]
	v_fma_f64 v[20:21], -v[16:17], v[18:19], 1.0
	v_fmac_f64_e32 v[18:19], v[18:19], v[20:21]
	v_div_scale_f64 v[20:21], vcc, 1.0, v[10:11], 1.0
	v_mul_f64 v[22:23], v[20:21], v[18:19]
	v_fma_f64 v[16:17], -v[16:17], v[22:23], v[20:21]
	s_nop 1
	v_div_fmas_f64 v[16:17], v[16:17], v[18:19], v[22:23]
	v_div_fixup_f64 v[16:17], v[16:17], v[10:11], 1.0
	v_fma_f64 v[10:11], v[2:3], v[12:13], v[4:5]
	v_fma_f64 v[12:13], v[4:5], v[12:13], -v[2:3]
	v_mul_f64 v[10:11], v[10:11], v[16:17]
	v_mul_f64 v[12:13], v[12:13], v[16:17]
	s_cbranch_execnz .LBB213_83
	s_branch .LBB213_89
.LBB213_88:                             ;   in Loop: Header=BB213_84 Depth=1
                                        ; implicit-def: $vgpr10_vgpr11
.LBB213_89:                             ;   in Loop: Header=BB213_84 Depth=1
	v_div_scale_f64 v[10:11], s[10:11], v[6:7], v[6:7], v[8:9]
	v_rcp_f64_e32 v[12:13], v[10:11]
	v_div_scale_f64 v[16:17], vcc, v[8:9], v[6:7], v[8:9]
	v_fma_f64 v[18:19], -v[10:11], v[12:13], 1.0
	v_fmac_f64_e32 v[12:13], v[12:13], v[18:19]
	v_fma_f64 v[18:19], -v[10:11], v[12:13], 1.0
	v_fmac_f64_e32 v[12:13], v[12:13], v[18:19]
	v_mul_f64 v[18:19], v[16:17], v[12:13]
	v_fma_f64 v[10:11], -v[10:11], v[18:19], v[16:17]
	v_div_fmas_f64 v[10:11], v[10:11], v[12:13], v[18:19]
	v_div_fixup_f64 v[12:13], v[10:11], v[6:7], v[8:9]
	v_fmac_f64_e32 v[6:7], v[8:9], v[12:13]
	v_div_scale_f64 v[8:9], s[10:11], v[6:7], v[6:7], 1.0
	v_rcp_f64_e32 v[10:11], v[8:9]
	v_fma_f64 v[16:17], -v[8:9], v[10:11], 1.0
	v_fmac_f64_e32 v[10:11], v[10:11], v[16:17]
	v_fma_f64 v[16:17], -v[8:9], v[10:11], 1.0
	v_fmac_f64_e32 v[10:11], v[10:11], v[16:17]
	v_div_scale_f64 v[16:17], vcc, 1.0, v[6:7], 1.0
	v_mul_f64 v[18:19], v[16:17], v[10:11]
	v_fma_f64 v[8:9], -v[8:9], v[18:19], v[16:17]
	s_nop 1
	v_div_fmas_f64 v[8:9], v[8:9], v[10:11], v[18:19]
	v_div_fixup_f64 v[6:7], v[8:9], v[6:7], 1.0
	v_fma_f64 v[8:9], v[4:5], v[12:13], v[2:3]
	v_fma_f64 v[2:3], -v[2:3], v[12:13], v[4:5]
	v_mul_f64 v[10:11], v[8:9], v[6:7]
	v_mul_f64 v[12:13], v[2:3], v[6:7]
	s_branch .LBB213_83
.LBB213_90:
	s_mov_b64 s[14:15], 0
.LBB213_91:
	s_andn2_b64 vcc, exec, s[14:15]
	s_cbranch_vccnz .LBB213_123
; %bb.92:
	s_andn2_b64 vcc, exec, s[8:9]
	s_mul_i32 s1, s34, 0xc0
	s_mov_b32 s14, s35
	s_cbranch_vccnz .LBB213_114
; %bb.93:
	v_lshl_add_u32 v1, v0, 4, s1
	s_mul_i32 s8, s34, 0xd0
	v_add_u32_e32 v1, 0x780, v1
	s_add_i32 s10, s8, 0xfffffce0
	s_mov_b32 s11, s35
.LBB213_94:                             ; =>This Loop Header: Depth=1
                                        ;     Child Loop BB213_95 Depth 2
	s_mul_i32 s8, s11, 12
	s_sub_i32 s15, s8, 24
	v_add_lshl_u32 v18, s8, v0, 4
	s_add_i32 s16, s8, -12
	v_add_lshl_u32 v20, s15, v0, 4
	s_sub_i32 s14, s8, 36
	v_add_lshl_u32 v19, s16, v0, 4
	ds_read_b128 v[14:17], v18 offset:2304
	ds_read_b128 v[10:13], v19 offset:2304
	v_add_lshl_u32 v21, s14, v0, 4
	ds_read_b128 v[6:9], v20 offset:2304
	ds_read_b128 v[2:5], v21 offset:2304
	s_cmp_le_i32 s35, s11
	s_mov_b32 s8, s10
	v_mov_b32_e32 v22, v1
	s_mov_b32 s9, s35
	s_cbranch_scc1 .LBB213_96
.LBB213_95:                             ;   Parent Loop BB213_94 Depth=1
                                        ; =>  This Inner Loop Header: Depth=2
	v_mov_b32_e32 v23, s8
	ds_read_b128 v[24:27], v22 offset:192
	ds_read_b128 v[28:31], v22
	ds_read_b128 v[32:35], v23
	ds_read_b128 v[36:39], v23 offset:16
	ds_read_b128 v[40:43], v23 offset:592
	;; [unrolled: 1-line block ×7, first 2 shown]
	s_add_i32 s9, s9, -2
	s_sub_i32 s8, s8, 32
	s_waitcnt lgkmcnt(5)
	v_mul_f64 v[64:65], v[26:27], v[42:43]
	v_mul_f64 v[42:43], v[24:25], v[42:43]
	s_waitcnt lgkmcnt(3)
	v_mul_f64 v[66:67], v[26:27], v[50:51]
	v_mul_f64 v[50:51], v[24:25], v[50:51]
	s_waitcnt lgkmcnt(1)
	v_mul_f64 v[68:69], v[26:27], v[58:59]
	v_mul_f64 v[58:59], v[24:25], v[58:59]
	v_mul_f64 v[70:71], v[26:27], v[38:39]
	v_mul_f64 v[38:39], v[24:25], v[38:39]
	;; [unrolled: 1-line block ×6, first 2 shown]
	s_waitcnt lgkmcnt(0)
	v_mul_f64 v[76:77], v[30:31], v[62:63]
	v_mul_f64 v[62:63], v[28:29], v[62:63]
	;; [unrolled: 1-line block ×4, first 2 shown]
	v_fma_f64 v[64:65], v[24:25], v[40:41], -v[64:65]
	v_fmac_f64_e32 v[42:43], v[26:27], v[40:41]
	v_fma_f64 v[40:41], v[24:25], v[48:49], -v[66:67]
	v_fmac_f64_e32 v[50:51], v[26:27], v[48:49]
	;; [unrolled: 2-line block ×8, first 2 shown]
	v_add_f64 v[14:15], v[14:15], -v[64:65]
	v_add_f64 v[16:17], v[16:17], -v[42:43]
	;; [unrolled: 1-line block ×8, first 2 shown]
	v_add_u32_e32 v22, 0xfffffe80, v22
	s_cmp_le_i32 s9, s11
	v_add_f64 v[14:15], v[14:15], -v[26:27]
	v_add_f64 v[16:17], v[16:17], -v[46:47]
	;; [unrolled: 1-line block ×8, first 2 shown]
	s_cbranch_scc0 .LBB213_95
.LBB213_96:                             ;   in Loop: Header=BB213_94 Depth=1
	s_mul_i32 s17, s11, 0xd0
	v_add_u32_e32 v29, 0x900, v18
	v_mov_b32_e32 v18, s17
	ds_read_b128 v[22:25], v18
	v_add_u32_e32 v28, 0x900, v19
	v_add_u32_e32 v27, 0x900, v20
	;; [unrolled: 1-line block ×3, first 2 shown]
	s_waitcnt lgkmcnt(0)
	v_xor_b32_e32 v19, 0x80000000, v23
	v_cmp_gt_f64_e32 vcc, 0, v[22:23]
	v_xor_b32_e32 v20, 0x80000000, v25
	v_cndmask_b32_e32 v19, v23, v19, vcc
	v_cmp_gt_f64_e32 vcc, 0, v[24:25]
	v_mov_b32_e32 v18, v22
	v_cndmask_b32_e32 v21, v25, v20, vcc
	v_mov_b32_e32 v20, v24
	v_cmp_ngt_f64_e32 vcc, v[18:19], v[20:21]
	s_cbranch_vccz .LBB213_98
; %bb.97:                               ;   in Loop: Header=BB213_94 Depth=1
	v_div_scale_f64 v[18:19], s[8:9], v[24:25], v[24:25], v[22:23]
	v_rcp_f64_e32 v[20:21], v[18:19]
	v_div_scale_f64 v[30:31], vcc, v[22:23], v[24:25], v[22:23]
	v_fma_f64 v[32:33], -v[18:19], v[20:21], 1.0
	v_fmac_f64_e32 v[20:21], v[20:21], v[32:33]
	v_fma_f64 v[32:33], -v[18:19], v[20:21], 1.0
	v_fmac_f64_e32 v[20:21], v[20:21], v[32:33]
	v_mul_f64 v[32:33], v[30:31], v[20:21]
	v_fma_f64 v[18:19], -v[18:19], v[32:33], v[30:31]
	v_div_fmas_f64 v[18:19], v[18:19], v[20:21], v[32:33]
	v_div_fixup_f64 v[20:21], v[18:19], v[24:25], v[22:23]
	v_fma_f64 v[18:19], v[22:23], v[20:21], v[24:25]
	v_div_scale_f64 v[30:31], s[8:9], v[18:19], v[18:19], 1.0
	v_rcp_f64_e32 v[32:33], v[30:31]
	v_fma_f64 v[34:35], -v[30:31], v[32:33], 1.0
	v_fmac_f64_e32 v[32:33], v[32:33], v[34:35]
	v_fma_f64 v[34:35], -v[30:31], v[32:33], 1.0
	v_fmac_f64_e32 v[32:33], v[32:33], v[34:35]
	v_div_scale_f64 v[34:35], vcc, 1.0, v[18:19], 1.0
	v_mul_f64 v[36:37], v[34:35], v[32:33]
	v_fma_f64 v[30:31], -v[30:31], v[36:37], v[34:35]
	s_nop 1
	v_div_fmas_f64 v[30:31], v[30:31], v[32:33], v[36:37]
	v_div_fixup_f64 v[30:31], v[30:31], v[18:19], 1.0
	v_fma_f64 v[18:19], v[14:15], v[20:21], v[16:17]
	v_fma_f64 v[20:21], v[16:17], v[20:21], -v[14:15]
	v_mul_f64 v[18:19], v[18:19], v[30:31]
	v_mul_f64 v[20:21], v[20:21], v[30:31]
	s_cbranch_execz .LBB213_99
	s_branch .LBB213_100
.LBB213_98:                             ;   in Loop: Header=BB213_94 Depth=1
                                        ; implicit-def: $vgpr20_vgpr21
.LBB213_99:                             ;   in Loop: Header=BB213_94 Depth=1
	v_div_scale_f64 v[18:19], s[8:9], v[22:23], v[22:23], v[24:25]
	v_rcp_f64_e32 v[20:21], v[18:19]
	v_div_scale_f64 v[30:31], vcc, v[24:25], v[22:23], v[24:25]
	v_fma_f64 v[32:33], -v[18:19], v[20:21], 1.0
	v_fmac_f64_e32 v[20:21], v[20:21], v[32:33]
	v_fma_f64 v[32:33], -v[18:19], v[20:21], 1.0
	v_fmac_f64_e32 v[20:21], v[20:21], v[32:33]
	v_mul_f64 v[32:33], v[30:31], v[20:21]
	v_fma_f64 v[18:19], -v[18:19], v[32:33], v[30:31]
	v_div_fmas_f64 v[18:19], v[18:19], v[20:21], v[32:33]
	v_div_fixup_f64 v[20:21], v[18:19], v[22:23], v[24:25]
	v_fmac_f64_e32 v[22:23], v[24:25], v[20:21]
	v_div_scale_f64 v[18:19], s[8:9], v[22:23], v[22:23], 1.0
	v_rcp_f64_e32 v[24:25], v[18:19]
	v_fma_f64 v[30:31], -v[18:19], v[24:25], 1.0
	v_fmac_f64_e32 v[24:25], v[24:25], v[30:31]
	v_fma_f64 v[30:31], -v[18:19], v[24:25], 1.0
	v_fmac_f64_e32 v[24:25], v[24:25], v[30:31]
	v_div_scale_f64 v[30:31], vcc, 1.0, v[22:23], 1.0
	v_mul_f64 v[32:33], v[30:31], v[24:25]
	v_fma_f64 v[18:19], -v[18:19], v[32:33], v[30:31]
	s_nop 1
	v_div_fmas_f64 v[18:19], v[18:19], v[24:25], v[32:33]
	v_div_fixup_f64 v[22:23], v[18:19], v[22:23], 1.0
	v_fma_f64 v[18:19], v[16:17], v[20:21], v[14:15]
	v_fma_f64 v[14:15], -v[14:15], v[20:21], v[16:17]
	v_mul_f64 v[18:19], v[18:19], v[22:23]
	v_mul_f64 v[20:21], v[14:15], v[22:23]
.LBB213_100:                            ;   in Loop: Header=BB213_94 Depth=1
	s_add_i32 s16, s16, s11
	s_lshl_b32 s8, s16, 4
	v_mov_b32_e32 v14, s8
	ds_read_b128 v[22:25], v14
	s_addk_i32 s17, 0xff30
	v_mov_b32_e32 v14, s17
	ds_read_b128 v[14:17], v14
	ds_write_b128 v29, v[18:21]
	s_waitcnt lgkmcnt(2)
	v_mul_f64 v[30:31], v[20:21], v[24:25]
	v_fma_f64 v[30:31], v[18:19], v[22:23], -v[30:31]
	v_mul_f64 v[24:25], v[18:19], v[24:25]
	v_fmac_f64_e32 v[24:25], v[20:21], v[22:23]
	v_add_f64 v[22:23], v[10:11], -v[30:31]
	s_waitcnt lgkmcnt(1)
	v_xor_b32_e32 v10, 0x80000000, v15
	v_cmp_gt_f64_e32 vcc, 0, v[14:15]
	v_add_f64 v[24:25], v[12:13], -v[24:25]
	v_cndmask_b32_e32 v11, v15, v10, vcc
	v_xor_b32_e32 v12, 0x80000000, v17
	v_cmp_gt_f64_e32 vcc, 0, v[16:17]
	v_mov_b32_e32 v10, v14
	v_cndmask_b32_e32 v13, v17, v12, vcc
	v_mov_b32_e32 v12, v16
	v_cmp_ngt_f64_e32 vcc, v[10:11], v[12:13]
	s_cbranch_vccz .LBB213_102
; %bb.101:                              ;   in Loop: Header=BB213_94 Depth=1
	v_div_scale_f64 v[10:11], s[8:9], v[16:17], v[16:17], v[14:15]
	v_rcp_f64_e32 v[12:13], v[10:11]
	v_div_scale_f64 v[30:31], vcc, v[14:15], v[16:17], v[14:15]
	v_fma_f64 v[32:33], -v[10:11], v[12:13], 1.0
	v_fmac_f64_e32 v[12:13], v[12:13], v[32:33]
	v_fma_f64 v[32:33], -v[10:11], v[12:13], 1.0
	v_fmac_f64_e32 v[12:13], v[12:13], v[32:33]
	v_mul_f64 v[32:33], v[30:31], v[12:13]
	v_fma_f64 v[10:11], -v[10:11], v[32:33], v[30:31]
	v_div_fmas_f64 v[10:11], v[10:11], v[12:13], v[32:33]
	v_div_fixup_f64 v[12:13], v[10:11], v[16:17], v[14:15]
	v_fma_f64 v[10:11], v[14:15], v[12:13], v[16:17]
	v_div_scale_f64 v[30:31], s[8:9], v[10:11], v[10:11], 1.0
	v_rcp_f64_e32 v[32:33], v[30:31]
	v_fma_f64 v[34:35], -v[30:31], v[32:33], 1.0
	v_fmac_f64_e32 v[32:33], v[32:33], v[34:35]
	v_fma_f64 v[34:35], -v[30:31], v[32:33], 1.0
	v_fmac_f64_e32 v[32:33], v[32:33], v[34:35]
	v_div_scale_f64 v[34:35], vcc, 1.0, v[10:11], 1.0
	v_mul_f64 v[36:37], v[34:35], v[32:33]
	v_fma_f64 v[30:31], -v[30:31], v[36:37], v[34:35]
	s_nop 1
	v_div_fmas_f64 v[30:31], v[30:31], v[32:33], v[36:37]
	v_div_fixup_f64 v[30:31], v[30:31], v[10:11], 1.0
	v_fma_f64 v[10:11], v[12:13], v[22:23], v[24:25]
	v_fma_f64 v[12:13], v[12:13], v[24:25], -v[22:23]
	v_mul_f64 v[10:11], v[10:11], v[30:31]
	v_mul_f64 v[12:13], v[12:13], v[30:31]
	s_cbranch_execz .LBB213_103
	s_branch .LBB213_104
.LBB213_102:                            ;   in Loop: Header=BB213_94 Depth=1
                                        ; implicit-def: $vgpr12_vgpr13
.LBB213_103:                            ;   in Loop: Header=BB213_94 Depth=1
	v_div_scale_f64 v[10:11], s[8:9], v[14:15], v[14:15], v[16:17]
	v_rcp_f64_e32 v[12:13], v[10:11]
	v_div_scale_f64 v[30:31], vcc, v[16:17], v[14:15], v[16:17]
	v_fma_f64 v[32:33], -v[10:11], v[12:13], 1.0
	v_fmac_f64_e32 v[12:13], v[12:13], v[32:33]
	v_fma_f64 v[32:33], -v[10:11], v[12:13], 1.0
	v_fmac_f64_e32 v[12:13], v[12:13], v[32:33]
	v_mul_f64 v[32:33], v[30:31], v[12:13]
	v_fma_f64 v[10:11], -v[10:11], v[32:33], v[30:31]
	v_div_fmas_f64 v[10:11], v[10:11], v[12:13], v[32:33]
	v_div_fixup_f64 v[12:13], v[10:11], v[14:15], v[16:17]
	v_fmac_f64_e32 v[14:15], v[16:17], v[12:13]
	v_div_scale_f64 v[10:11], s[8:9], v[14:15], v[14:15], 1.0
	v_rcp_f64_e32 v[16:17], v[10:11]
	v_fma_f64 v[30:31], -v[10:11], v[16:17], 1.0
	v_fmac_f64_e32 v[16:17], v[16:17], v[30:31]
	v_fma_f64 v[30:31], -v[10:11], v[16:17], 1.0
	v_fmac_f64_e32 v[16:17], v[16:17], v[30:31]
	v_div_scale_f64 v[30:31], vcc, 1.0, v[14:15], 1.0
	v_mul_f64 v[32:33], v[30:31], v[16:17]
	v_fma_f64 v[10:11], -v[10:11], v[32:33], v[30:31]
	s_nop 1
	v_div_fmas_f64 v[10:11], v[10:11], v[16:17], v[32:33]
	v_div_fixup_f64 v[14:15], v[10:11], v[14:15], 1.0
	v_fma_f64 v[10:11], v[12:13], v[24:25], v[22:23]
	v_fma_f64 v[12:13], -v[12:13], v[22:23], v[24:25]
	v_mul_f64 v[10:11], v[10:11], v[14:15]
	v_mul_f64 v[12:13], v[12:13], v[14:15]
.LBB213_104:                            ;   in Loop: Header=BB213_94 Depth=1
	s_add_i32 s8, s15, s11
	s_add_i32 s16, s11, -1
	s_lshl_b32 s8, s8, 4
	v_mov_b32_e32 v14, s8
	s_add_i32 s15, s15, s16
	ds_read_b128 v[14:17], v14
	s_lshl_b32 s8, s15, 4
	v_mov_b32_e32 v22, s8
	ds_read_b128 v[22:25], v22
	ds_write_b128 v28, v[10:13]
	s_waitcnt lgkmcnt(2)
	v_mul_f64 v[28:29], v[20:21], v[16:17]
	v_fma_f64 v[28:29], v[18:19], v[14:15], -v[28:29]
	v_mul_f64 v[16:17], v[18:19], v[16:17]
	v_fmac_f64_e32 v[16:17], v[20:21], v[14:15]
	v_add_f64 v[14:15], v[6:7], -v[28:29]
	s_waitcnt lgkmcnt(1)
	v_mul_f64 v[6:7], v[12:13], v[24:25]
	s_add_i32 s15, s17, 0xffffff30
	v_fma_f64 v[28:29], v[10:11], v[22:23], -v[6:7]
	v_mov_b32_e32 v6, s15
	v_add_f64 v[16:17], v[8:9], -v[16:17]
	ds_read_b128 v[6:9], v6
	v_mul_f64 v[24:25], v[10:11], v[24:25]
	v_fmac_f64_e32 v[24:25], v[12:13], v[22:23]
	v_add_f64 v[22:23], v[14:15], -v[28:29]
	v_add_f64 v[24:25], v[16:17], -v[24:25]
	s_waitcnt lgkmcnt(0)
	v_xor_b32_e32 v14, 0x80000000, v7
	v_cmp_gt_f64_e32 vcc, 0, v[6:7]
	v_cndmask_b32_e32 v15, v7, v14, vcc
	v_xor_b32_e32 v16, 0x80000000, v9
	v_cmp_gt_f64_e32 vcc, 0, v[8:9]
	v_mov_b32_e32 v14, v6
	v_cndmask_b32_e32 v17, v9, v16, vcc
	v_mov_b32_e32 v16, v8
	v_cmp_ngt_f64_e32 vcc, v[14:15], v[16:17]
	s_cbranch_vccz .LBB213_106
; %bb.105:                              ;   in Loop: Header=BB213_94 Depth=1
	v_div_scale_f64 v[14:15], s[8:9], v[8:9], v[8:9], v[6:7]
	v_rcp_f64_e32 v[16:17], v[14:15]
	v_div_scale_f64 v[28:29], vcc, v[6:7], v[8:9], v[6:7]
	v_fma_f64 v[30:31], -v[14:15], v[16:17], 1.0
	v_fmac_f64_e32 v[16:17], v[16:17], v[30:31]
	v_fma_f64 v[30:31], -v[14:15], v[16:17], 1.0
	v_fmac_f64_e32 v[16:17], v[16:17], v[30:31]
	v_mul_f64 v[30:31], v[28:29], v[16:17]
	v_fma_f64 v[14:15], -v[14:15], v[30:31], v[28:29]
	v_div_fmas_f64 v[14:15], v[14:15], v[16:17], v[30:31]
	v_div_fixup_f64 v[16:17], v[14:15], v[8:9], v[6:7]
	v_fma_f64 v[14:15], v[6:7], v[16:17], v[8:9]
	v_div_scale_f64 v[28:29], s[8:9], v[14:15], v[14:15], 1.0
	v_rcp_f64_e32 v[30:31], v[28:29]
	v_fma_f64 v[32:33], -v[28:29], v[30:31], 1.0
	v_fmac_f64_e32 v[30:31], v[30:31], v[32:33]
	v_fma_f64 v[32:33], -v[28:29], v[30:31], 1.0
	v_fmac_f64_e32 v[30:31], v[30:31], v[32:33]
	v_div_scale_f64 v[32:33], vcc, 1.0, v[14:15], 1.0
	v_mul_f64 v[34:35], v[32:33], v[30:31]
	v_fma_f64 v[28:29], -v[28:29], v[34:35], v[32:33]
	s_nop 1
	v_div_fmas_f64 v[28:29], v[28:29], v[30:31], v[34:35]
	v_div_fixup_f64 v[28:29], v[28:29], v[14:15], 1.0
	v_fma_f64 v[14:15], v[16:17], v[22:23], v[24:25]
	v_fma_f64 v[16:17], v[16:17], v[24:25], -v[22:23]
	v_mul_f64 v[14:15], v[14:15], v[28:29]
	v_mul_f64 v[16:17], v[16:17], v[28:29]
	s_cbranch_execz .LBB213_107
	s_branch .LBB213_108
.LBB213_106:                            ;   in Loop: Header=BB213_94 Depth=1
                                        ; implicit-def: $vgpr16_vgpr17
.LBB213_107:                            ;   in Loop: Header=BB213_94 Depth=1
	v_div_scale_f64 v[14:15], s[8:9], v[6:7], v[6:7], v[8:9]
	v_rcp_f64_e32 v[16:17], v[14:15]
	v_div_scale_f64 v[28:29], vcc, v[8:9], v[6:7], v[8:9]
	v_fma_f64 v[30:31], -v[14:15], v[16:17], 1.0
	v_fmac_f64_e32 v[16:17], v[16:17], v[30:31]
	v_fma_f64 v[30:31], -v[14:15], v[16:17], 1.0
	v_fmac_f64_e32 v[16:17], v[16:17], v[30:31]
	v_mul_f64 v[30:31], v[28:29], v[16:17]
	v_fma_f64 v[14:15], -v[14:15], v[30:31], v[28:29]
	v_div_fmas_f64 v[14:15], v[14:15], v[16:17], v[30:31]
	v_div_fixup_f64 v[16:17], v[14:15], v[6:7], v[8:9]
	v_fmac_f64_e32 v[6:7], v[8:9], v[16:17]
	v_div_scale_f64 v[8:9], s[8:9], v[6:7], v[6:7], 1.0
	v_rcp_f64_e32 v[14:15], v[8:9]
	v_fma_f64 v[28:29], -v[8:9], v[14:15], 1.0
	v_fmac_f64_e32 v[14:15], v[14:15], v[28:29]
	v_fma_f64 v[28:29], -v[8:9], v[14:15], 1.0
	v_fmac_f64_e32 v[14:15], v[14:15], v[28:29]
	v_div_scale_f64 v[28:29], vcc, 1.0, v[6:7], 1.0
	v_mul_f64 v[30:31], v[28:29], v[14:15]
	v_fma_f64 v[8:9], -v[8:9], v[30:31], v[28:29]
	s_nop 1
	v_div_fmas_f64 v[8:9], v[8:9], v[14:15], v[30:31]
	v_div_fixup_f64 v[6:7], v[8:9], v[6:7], 1.0
	v_fma_f64 v[8:9], v[16:17], v[24:25], v[22:23]
	v_mul_f64 v[14:15], v[8:9], v[6:7]
	v_fma_f64 v[8:9], -v[16:17], v[22:23], v[24:25]
	v_mul_f64 v[16:17], v[8:9], v[6:7]
.LBB213_108:                            ;   in Loop: Header=BB213_94 Depth=1
	s_add_i32 s8, s14, s11
	s_lshl_b32 s8, s8, 4
	s_add_i32 s14, s14, s16
	v_mov_b32_e32 v6, s8
	s_lshl_b32 s9, s14, 4
	ds_read_b128 v[6:9], v6
	v_mov_b32_e32 v22, s9
	ds_read_b128 v[22:25], v22
	s_sub_i32 s8, s8, 32
	ds_write_b128 v27, v[14:17]
	s_waitcnt lgkmcnt(2)
	v_mul_f64 v[28:29], v[20:21], v[8:9]
	v_mul_f64 v[8:9], v[18:19], v[8:9]
	v_fma_f64 v[28:29], v[18:19], v[6:7], -v[28:29]
	v_fmac_f64_e32 v[8:9], v[20:21], v[6:7]
	s_waitcnt lgkmcnt(1)
	v_mul_f64 v[6:7], v[12:13], v[24:25]
	v_add_f64 v[2:3], v[2:3], -v[28:29]
	v_fma_f64 v[6:7], v[10:11], v[22:23], -v[6:7]
	v_mul_f64 v[10:11], v[10:11], v[24:25]
	v_fmac_f64_e32 v[10:11], v[12:13], v[22:23]
	v_add_f64 v[12:13], v[2:3], -v[6:7]
	v_mov_b32_e32 v2, s8
	s_add_i32 s8, s15, 0xffffff30
	v_add_f64 v[4:5], v[4:5], -v[8:9]
	ds_read_b128 v[6:9], v2
	v_mov_b32_e32 v2, s8
	v_add_f64 v[18:19], v[4:5], -v[10:11]
	ds_read_b128 v[2:5], v2
	s_waitcnt lgkmcnt(1)
	v_mul_f64 v[10:11], v[16:17], v[8:9]
	v_mul_f64 v[8:9], v[14:15], v[8:9]
	v_fma_f64 v[10:11], v[14:15], v[6:7], -v[10:11]
	v_fmac_f64_e32 v[8:9], v[16:17], v[6:7]
	s_waitcnt lgkmcnt(0)
	v_xor_b32_e32 v6, 0x80000000, v3
	v_cmp_gt_f64_e32 vcc, 0, v[2:3]
	v_add_f64 v[10:11], v[12:13], -v[10:11]
	v_add_f64 v[12:13], v[18:19], -v[8:9]
	v_cndmask_b32_e32 v7, v3, v6, vcc
	v_xor_b32_e32 v8, 0x80000000, v5
	v_cmp_gt_f64_e32 vcc, 0, v[4:5]
	v_mov_b32_e32 v6, v2
	v_cndmask_b32_e32 v9, v5, v8, vcc
	v_mov_b32_e32 v8, v4
	v_cmp_ngt_f64_e32 vcc, v[6:7], v[8:9]
	s_cbranch_vccz .LBB213_110
; %bb.109:                              ;   in Loop: Header=BB213_94 Depth=1
	v_div_scale_f64 v[6:7], s[8:9], v[4:5], v[4:5], v[2:3]
	v_rcp_f64_e32 v[8:9], v[6:7]
	v_div_scale_f64 v[14:15], vcc, v[2:3], v[4:5], v[2:3]
	v_fma_f64 v[16:17], -v[6:7], v[8:9], 1.0
	v_fmac_f64_e32 v[8:9], v[8:9], v[16:17]
	v_fma_f64 v[16:17], -v[6:7], v[8:9], 1.0
	v_fmac_f64_e32 v[8:9], v[8:9], v[16:17]
	v_mul_f64 v[16:17], v[14:15], v[8:9]
	v_fma_f64 v[6:7], -v[6:7], v[16:17], v[14:15]
	v_div_fmas_f64 v[6:7], v[6:7], v[8:9], v[16:17]
	v_div_fixup_f64 v[8:9], v[6:7], v[4:5], v[2:3]
	v_fma_f64 v[6:7], v[2:3], v[8:9], v[4:5]
	v_div_scale_f64 v[14:15], s[8:9], v[6:7], v[6:7], 1.0
	v_rcp_f64_e32 v[16:17], v[14:15]
	v_fma_f64 v[18:19], -v[14:15], v[16:17], 1.0
	v_fmac_f64_e32 v[16:17], v[16:17], v[18:19]
	v_fma_f64 v[18:19], -v[14:15], v[16:17], 1.0
	v_fmac_f64_e32 v[16:17], v[16:17], v[18:19]
	v_div_scale_f64 v[18:19], vcc, 1.0, v[6:7], 1.0
	v_mul_f64 v[20:21], v[18:19], v[16:17]
	v_fma_f64 v[14:15], -v[14:15], v[20:21], v[18:19]
	s_nop 1
	v_div_fmas_f64 v[14:15], v[14:15], v[16:17], v[20:21]
	v_div_fixup_f64 v[14:15], v[14:15], v[6:7], 1.0
	v_fma_f64 v[6:7], v[8:9], v[10:11], v[12:13]
	v_fma_f64 v[8:9], v[8:9], v[12:13], -v[10:11]
	v_mul_f64 v[6:7], v[6:7], v[14:15]
	v_mul_f64 v[8:9], v[8:9], v[14:15]
	s_cbranch_execz .LBB213_111
	s_branch .LBB213_112
.LBB213_110:                            ;   in Loop: Header=BB213_94 Depth=1
                                        ; implicit-def: $vgpr8_vgpr9
.LBB213_111:                            ;   in Loop: Header=BB213_94 Depth=1
	v_div_scale_f64 v[6:7], s[8:9], v[2:3], v[2:3], v[4:5]
	v_rcp_f64_e32 v[8:9], v[6:7]
	v_div_scale_f64 v[14:15], vcc, v[4:5], v[2:3], v[4:5]
	v_fma_f64 v[16:17], -v[6:7], v[8:9], 1.0
	v_fmac_f64_e32 v[8:9], v[8:9], v[16:17]
	v_fma_f64 v[16:17], -v[6:7], v[8:9], 1.0
	v_fmac_f64_e32 v[8:9], v[8:9], v[16:17]
	v_mul_f64 v[16:17], v[14:15], v[8:9]
	v_fma_f64 v[6:7], -v[6:7], v[16:17], v[14:15]
	v_div_fmas_f64 v[6:7], v[6:7], v[8:9], v[16:17]
	v_div_fixup_f64 v[8:9], v[6:7], v[2:3], v[4:5]
	v_fmac_f64_e32 v[2:3], v[4:5], v[8:9]
	v_div_scale_f64 v[4:5], s[8:9], v[2:3], v[2:3], 1.0
	v_rcp_f64_e32 v[6:7], v[4:5]
	v_fma_f64 v[14:15], -v[4:5], v[6:7], 1.0
	v_fmac_f64_e32 v[6:7], v[6:7], v[14:15]
	v_fma_f64 v[14:15], -v[4:5], v[6:7], 1.0
	v_fmac_f64_e32 v[6:7], v[6:7], v[14:15]
	v_div_scale_f64 v[14:15], vcc, 1.0, v[2:3], 1.0
	v_mul_f64 v[16:17], v[14:15], v[6:7]
	v_fma_f64 v[4:5], -v[4:5], v[16:17], v[14:15]
	s_nop 1
	v_div_fmas_f64 v[4:5], v[4:5], v[6:7], v[16:17]
	v_div_fixup_f64 v[2:3], v[4:5], v[2:3], 1.0
	v_fma_f64 v[4:5], v[8:9], v[12:13], v[10:11]
	v_mul_f64 v[6:7], v[4:5], v[2:3]
	v_fma_f64 v[4:5], -v[8:9], v[10:11], v[12:13]
	v_mul_f64 v[8:9], v[4:5], v[2:3]
.LBB213_112:                            ;   in Loop: Header=BB213_94 Depth=1
	s_add_i32 s14, s11, -4
	s_addk_i32 s10, 0xfd00
	s_cmp_lt_i32 s11, 7
	ds_write_b128 v26, v[6:9]
	s_cbranch_scc1 .LBB213_114
; %bb.113:                              ;   in Loop: Header=BB213_94 Depth=1
	s_mov_b32 s11, s14
	s_branch .LBB213_94
.LBB213_114:
	s_cmp_lt_i32 s14, 0
	s_cbranch_scc1 .LBB213_123
; %bb.115:
	s_mul_i32 s8, s14, 0xc0
	s_lshl_b32 s9, s34, 4
	s_add_i32 s8, s8, s9
	v_lshl_add_u32 v1, v0, 4, s1
	s_add_i32 s10, s8, -16
	v_add_u32_e32 v1, 0x840, v1
	s_branch .LBB213_117
.LBB213_116:                            ;   in Loop: Header=BB213_117 Depth=1
	s_add_i32 s1, s14, -1
	s_addk_i32 s10, 0xff40
	s_cmp_lt_i32 s14, 1
	s_mov_b32 s14, s1
	ds_write_b128 v14, v[10:13]
	s_cbranch_scc1 .LBB213_123
.LBB213_117:                            ; =>This Loop Header: Depth=1
                                        ;     Child Loop BB213_118 Depth 2
	s_mul_i32 s1, s14, 12
	v_add_lshl_u32 v6, s1, v0, 4
	ds_read_b128 v[2:5], v6 offset:2304
	s_cmp_le_i32 s35, s14
	v_mov_b32_e32 v7, v1
	s_mov_b32 s1, s10
	s_mov_b32 s8, s35
	s_cbranch_scc1 .LBB213_119
.LBB213_118:                            ;   Parent Loop BB213_117 Depth=1
                                        ; =>  This Inner Loop Header: Depth=2
	v_mov_b32_e32 v12, s1
	ds_read_b128 v[8:11], v7
	ds_read_b128 v[12:15], v12
	s_add_i32 s8, s8, -1
	s_add_i32 s1, s1, -16
	v_add_u32_e32 v7, 0xffffff40, v7
	s_cmp_le_i32 s8, s14
	s_waitcnt lgkmcnt(0)
	v_mul_f64 v[16:17], v[14:15], v[10:11]
	v_mul_f64 v[10:11], v[12:13], v[10:11]
	v_fma_f64 v[12:13], v[12:13], v[8:9], -v[16:17]
	v_fmac_f64_e32 v[10:11], v[14:15], v[8:9]
	v_add_f64 v[2:3], v[2:3], -v[12:13]
	v_add_f64 v[4:5], v[4:5], -v[10:11]
	s_cbranch_scc0 .LBB213_118
.LBB213_119:                            ;   in Loop: Header=BB213_117 Depth=1
	s_mul_i32 s1, s14, 0xd0
	v_add_u32_e32 v14, 0x900, v6
	v_mov_b32_e32 v6, s1
	ds_read_b128 v[6:9], v6
	s_waitcnt lgkmcnt(0)
	v_xor_b32_e32 v11, 0x80000000, v7
	v_cmp_gt_f64_e32 vcc, 0, v[6:7]
	v_xor_b32_e32 v12, 0x80000000, v9
	v_cndmask_b32_e32 v11, v7, v11, vcc
	v_cmp_gt_f64_e32 vcc, 0, v[8:9]
	v_mov_b32_e32 v10, v6
	v_cndmask_b32_e32 v13, v9, v12, vcc
	v_mov_b32_e32 v12, v8
	v_cmp_ngt_f64_e32 vcc, v[10:11], v[12:13]
	s_cbranch_vccz .LBB213_121
; %bb.120:                              ;   in Loop: Header=BB213_117 Depth=1
	v_div_scale_f64 v[10:11], s[8:9], v[8:9], v[8:9], v[6:7]
	v_rcp_f64_e32 v[12:13], v[10:11]
	v_div_scale_f64 v[16:17], vcc, v[6:7], v[8:9], v[6:7]
	v_fma_f64 v[18:19], -v[10:11], v[12:13], 1.0
	v_fmac_f64_e32 v[12:13], v[12:13], v[18:19]
	v_fma_f64 v[18:19], -v[10:11], v[12:13], 1.0
	v_fmac_f64_e32 v[12:13], v[12:13], v[18:19]
	v_mul_f64 v[18:19], v[16:17], v[12:13]
	v_fma_f64 v[10:11], -v[10:11], v[18:19], v[16:17]
	v_div_fmas_f64 v[10:11], v[10:11], v[12:13], v[18:19]
	v_div_fixup_f64 v[12:13], v[10:11], v[8:9], v[6:7]
	v_fma_f64 v[10:11], v[6:7], v[12:13], v[8:9]
	v_div_scale_f64 v[16:17], s[8:9], v[10:11], v[10:11], 1.0
	v_rcp_f64_e32 v[18:19], v[16:17]
	v_fma_f64 v[20:21], -v[16:17], v[18:19], 1.0
	v_fmac_f64_e32 v[18:19], v[18:19], v[20:21]
	v_fma_f64 v[20:21], -v[16:17], v[18:19], 1.0
	v_fmac_f64_e32 v[18:19], v[18:19], v[20:21]
	v_div_scale_f64 v[20:21], vcc, 1.0, v[10:11], 1.0
	v_mul_f64 v[22:23], v[20:21], v[18:19]
	v_fma_f64 v[16:17], -v[16:17], v[22:23], v[20:21]
	s_nop 1
	v_div_fmas_f64 v[16:17], v[16:17], v[18:19], v[22:23]
	v_div_fixup_f64 v[16:17], v[16:17], v[10:11], 1.0
	v_fma_f64 v[10:11], v[2:3], v[12:13], v[4:5]
	v_fma_f64 v[12:13], v[4:5], v[12:13], -v[2:3]
	v_mul_f64 v[10:11], v[10:11], v[16:17]
	v_mul_f64 v[12:13], v[12:13], v[16:17]
	s_cbranch_execnz .LBB213_116
	s_branch .LBB213_122
.LBB213_121:                            ;   in Loop: Header=BB213_117 Depth=1
                                        ; implicit-def: $vgpr10_vgpr11
.LBB213_122:                            ;   in Loop: Header=BB213_117 Depth=1
	v_div_scale_f64 v[10:11], s[8:9], v[6:7], v[6:7], v[8:9]
	v_rcp_f64_e32 v[12:13], v[10:11]
	v_div_scale_f64 v[16:17], vcc, v[8:9], v[6:7], v[8:9]
	v_fma_f64 v[18:19], -v[10:11], v[12:13], 1.0
	v_fmac_f64_e32 v[12:13], v[12:13], v[18:19]
	v_fma_f64 v[18:19], -v[10:11], v[12:13], 1.0
	v_fmac_f64_e32 v[12:13], v[12:13], v[18:19]
	v_mul_f64 v[18:19], v[16:17], v[12:13]
	v_fma_f64 v[10:11], -v[10:11], v[18:19], v[16:17]
	v_div_fmas_f64 v[10:11], v[10:11], v[12:13], v[18:19]
	v_div_fixup_f64 v[12:13], v[10:11], v[6:7], v[8:9]
	v_fmac_f64_e32 v[6:7], v[8:9], v[12:13]
	v_div_scale_f64 v[8:9], s[8:9], v[6:7], v[6:7], 1.0
	v_rcp_f64_e32 v[10:11], v[8:9]
	v_fma_f64 v[16:17], -v[8:9], v[10:11], 1.0
	v_fmac_f64_e32 v[10:11], v[10:11], v[16:17]
	v_fma_f64 v[16:17], -v[8:9], v[10:11], 1.0
	v_fmac_f64_e32 v[10:11], v[10:11], v[16:17]
	v_div_scale_f64 v[16:17], vcc, 1.0, v[6:7], 1.0
	v_mul_f64 v[18:19], v[16:17], v[10:11]
	v_fma_f64 v[8:9], -v[8:9], v[18:19], v[16:17]
	s_nop 1
	v_div_fmas_f64 v[8:9], v[8:9], v[10:11], v[18:19]
	v_div_fixup_f64 v[6:7], v[8:9], v[6:7], 1.0
	v_fma_f64 v[8:9], v[4:5], v[12:13], v[2:3]
	v_fma_f64 v[2:3], -v[2:3], v[12:13], v[4:5]
	v_mul_f64 v[10:11], v[8:9], v[6:7]
	v_mul_f64 v[12:13], v[2:3], v[6:7]
	s_branch .LBB213_116
.LBB213_123:
	s_mov_b64 s[14:15], 0
.LBB213_124:
	s_andn2_b64 vcc, exec, s[14:15]
	s_cbranch_vccnz .LBB213_163
; %bb.125:
	s_cmp_lt_i32 s33, 4
	s_mov_b32 s11, 0
	s_cbranch_scc1 .LBB213_148
; %bb.126:
	v_mov_b32_e32 v1, 0x900
	v_lshl_or_b32 v1, v0, 4, v1
	s_mov_b32 s1, 0
	s_mov_b32 s10, 0
.LBB213_127:                            ; =>This Loop Header: Depth=1
                                        ;     Child Loop BB213_129 Depth 2
	s_mul_i32 s11, s10, 12
	s_add_i32 s14, s11, 24
	v_add_lshl_u32 v18, s11, v0, 4
	s_add_i32 s16, s11, 12
	v_add_lshl_u32 v20, s14, v0, 4
	;; [unrolled: 2-line block ×3, first 2 shown]
	ds_read_b128 v[14:17], v18 offset:2304
	ds_read_b128 v[10:13], v19 offset:2304
	v_add_lshl_u32 v21, s11, v0, 4
	ds_read_b128 v[6:9], v20 offset:2304
	ds_read_b128 v[2:5], v21 offset:2304
	s_cmp_eq_u32 s10, 0
	s_cbranch_scc1 .LBB213_130
; %bb.128:                              ;   in Loop: Header=BB213_127 Depth=1
	s_mov_b32 s8, 0
	v_mov_b32_e32 v22, v1
	s_mov_b32 s9, s1
.LBB213_129:                            ;   Parent Loop BB213_127 Depth=1
                                        ; =>  This Inner Loop Header: Depth=2
	v_mov_b32_e32 v23, s9
	ds_read_b128 v[24:27], v22
	ds_read_b128 v[28:31], v22 offset:192
	ds_read_b128 v[32:35], v23
	ds_read_b128 v[36:39], v23 offset:16
	ds_read_b128 v[40:43], v23 offset:192
	;; [unrolled: 1-line block ×7, first 2 shown]
	s_add_i32 s8, s8, 2
	s_add_i32 s9, s9, 32
	s_waitcnt lgkmcnt(7)
	v_mul_f64 v[64:65], v[26:27], v[34:35]
	v_mul_f64 v[34:35], v[24:25], v[34:35]
	s_waitcnt lgkmcnt(5)
	v_mul_f64 v[66:67], v[26:27], v[42:43]
	v_mul_f64 v[42:43], v[24:25], v[42:43]
	;; [unrolled: 3-line block ×4, first 2 shown]
	v_mul_f64 v[72:73], v[30:31], v[38:39]
	v_mul_f64 v[38:39], v[28:29], v[38:39]
	;; [unrolled: 1-line block ×6, first 2 shown]
	s_waitcnt lgkmcnt(0)
	v_mul_f64 v[78:79], v[30:31], v[62:63]
	v_mul_f64 v[62:63], v[28:29], v[62:63]
	v_fma_f64 v[64:65], v[24:25], v[32:33], -v[64:65]
	v_fmac_f64_e32 v[34:35], v[26:27], v[32:33]
	v_fma_f64 v[32:33], v[24:25], v[40:41], -v[66:67]
	v_fmac_f64_e32 v[42:43], v[26:27], v[40:41]
	;; [unrolled: 2-line block ×8, first 2 shown]
	v_add_f64 v[14:15], v[14:15], -v[64:65]
	v_add_f64 v[16:17], v[16:17], -v[34:35]
	;; [unrolled: 1-line block ×8, first 2 shown]
	v_add_u32_e32 v22, 0x180, v22
	s_cmp_ge_u32 s8, s10
	v_add_f64 v[14:15], v[14:15], -v[26:27]
	v_add_f64 v[16:17], v[16:17], -v[38:39]
	;; [unrolled: 1-line block ×8, first 2 shown]
	s_cbranch_scc0 .LBB213_129
.LBB213_130:                            ;   in Loop: Header=BB213_127 Depth=1
	s_mul_i32 s15, s10, 0xd0
	v_add_u32_e32 v29, 0x900, v18
	v_mov_b32_e32 v18, s15
	ds_read_b128 v[22:25], v18
	v_add_u32_e32 v28, 0x900, v19
	v_add_u32_e32 v27, 0x900, v20
	;; [unrolled: 1-line block ×3, first 2 shown]
	s_waitcnt lgkmcnt(0)
	v_xor_b32_e32 v19, 0x80000000, v23
	v_cmp_gt_f64_e32 vcc, 0, v[22:23]
	v_xor_b32_e32 v20, 0x80000000, v25
	v_cndmask_b32_e32 v19, v23, v19, vcc
	v_cmp_gt_f64_e32 vcc, 0, v[24:25]
	v_mov_b32_e32 v18, v22
	v_cndmask_b32_e32 v21, v25, v20, vcc
	v_mov_b32_e32 v20, v24
	v_cmp_ngt_f64_e32 vcc, v[18:19], v[20:21]
	s_cbranch_vccz .LBB213_132
; %bb.131:                              ;   in Loop: Header=BB213_127 Depth=1
	v_div_scale_f64 v[18:19], s[8:9], v[24:25], v[24:25], v[22:23]
	v_rcp_f64_e32 v[20:21], v[18:19]
	v_div_scale_f64 v[30:31], vcc, v[22:23], v[24:25], v[22:23]
	v_fma_f64 v[32:33], -v[18:19], v[20:21], 1.0
	v_fmac_f64_e32 v[20:21], v[20:21], v[32:33]
	v_fma_f64 v[32:33], -v[18:19], v[20:21], 1.0
	v_fmac_f64_e32 v[20:21], v[20:21], v[32:33]
	v_mul_f64 v[32:33], v[30:31], v[20:21]
	v_fma_f64 v[18:19], -v[18:19], v[32:33], v[30:31]
	v_div_fmas_f64 v[18:19], v[18:19], v[20:21], v[32:33]
	v_div_fixup_f64 v[20:21], v[18:19], v[24:25], v[22:23]
	v_fma_f64 v[18:19], v[22:23], v[20:21], v[24:25]
	v_div_scale_f64 v[30:31], s[8:9], v[18:19], v[18:19], 1.0
	v_rcp_f64_e32 v[32:33], v[30:31]
	v_fma_f64 v[34:35], -v[30:31], v[32:33], 1.0
	v_fmac_f64_e32 v[32:33], v[32:33], v[34:35]
	v_fma_f64 v[34:35], -v[30:31], v[32:33], 1.0
	v_fmac_f64_e32 v[32:33], v[32:33], v[34:35]
	v_div_scale_f64 v[34:35], vcc, 1.0, v[18:19], 1.0
	v_mul_f64 v[36:37], v[34:35], v[32:33]
	v_fma_f64 v[30:31], -v[30:31], v[36:37], v[34:35]
	s_nop 1
	v_div_fmas_f64 v[30:31], v[30:31], v[32:33], v[36:37]
	v_div_fixup_f64 v[30:31], v[30:31], v[18:19], 1.0
	v_fma_f64 v[18:19], v[14:15], v[20:21], v[16:17]
	v_fma_f64 v[20:21], v[16:17], v[20:21], -v[14:15]
	v_mul_f64 v[18:19], v[18:19], v[30:31]
	v_mul_f64 v[20:21], v[20:21], v[30:31]
	s_cbranch_execz .LBB213_133
	s_branch .LBB213_134
.LBB213_132:                            ;   in Loop: Header=BB213_127 Depth=1
                                        ; implicit-def: $vgpr20_vgpr21
.LBB213_133:                            ;   in Loop: Header=BB213_127 Depth=1
	v_div_scale_f64 v[18:19], s[8:9], v[22:23], v[22:23], v[24:25]
	v_rcp_f64_e32 v[20:21], v[18:19]
	v_div_scale_f64 v[30:31], vcc, v[24:25], v[22:23], v[24:25]
	v_fma_f64 v[32:33], -v[18:19], v[20:21], 1.0
	v_fmac_f64_e32 v[20:21], v[20:21], v[32:33]
	v_fma_f64 v[32:33], -v[18:19], v[20:21], 1.0
	v_fmac_f64_e32 v[20:21], v[20:21], v[32:33]
	v_mul_f64 v[32:33], v[30:31], v[20:21]
	v_fma_f64 v[18:19], -v[18:19], v[32:33], v[30:31]
	v_div_fmas_f64 v[18:19], v[18:19], v[20:21], v[32:33]
	v_div_fixup_f64 v[20:21], v[18:19], v[22:23], v[24:25]
	v_fmac_f64_e32 v[22:23], v[24:25], v[20:21]
	v_div_scale_f64 v[18:19], s[8:9], v[22:23], v[22:23], 1.0
	v_rcp_f64_e32 v[24:25], v[18:19]
	v_fma_f64 v[30:31], -v[18:19], v[24:25], 1.0
	v_fmac_f64_e32 v[24:25], v[24:25], v[30:31]
	v_fma_f64 v[30:31], -v[18:19], v[24:25], 1.0
	v_fmac_f64_e32 v[24:25], v[24:25], v[30:31]
	v_div_scale_f64 v[30:31], vcc, 1.0, v[22:23], 1.0
	v_mul_f64 v[32:33], v[30:31], v[24:25]
	v_fma_f64 v[18:19], -v[18:19], v[32:33], v[30:31]
	s_nop 1
	v_div_fmas_f64 v[18:19], v[18:19], v[24:25], v[32:33]
	v_div_fixup_f64 v[22:23], v[18:19], v[22:23], 1.0
	v_fma_f64 v[18:19], v[16:17], v[20:21], v[14:15]
	v_fma_f64 v[14:15], -v[14:15], v[20:21], v[16:17]
	v_mul_f64 v[18:19], v[18:19], v[22:23]
	v_mul_f64 v[20:21], v[14:15], v[22:23]
.LBB213_134:                            ;   in Loop: Header=BB213_127 Depth=1
	s_add_i32 s16, s16, s10
	s_lshl_b32 s8, s16, 4
	v_mov_b32_e32 v14, s8
	ds_read_b128 v[22:25], v14
	v_mov_b32_e32 v14, s15
	ds_read_b128 v[14:17], v14 offset:208
	ds_write_b128 v29, v[18:21]
	s_waitcnt lgkmcnt(2)
	v_mul_f64 v[30:31], v[20:21], v[24:25]
	v_mul_f64 v[24:25], v[18:19], v[24:25]
	v_fma_f64 v[30:31], v[18:19], v[22:23], -v[30:31]
	v_fmac_f64_e32 v[24:25], v[20:21], v[22:23]
	v_add_f64 v[22:23], v[10:11], -v[30:31]
	s_waitcnt lgkmcnt(1)
	v_xor_b32_e32 v10, 0x80000000, v15
	v_cmp_gt_f64_e32 vcc, 0, v[14:15]
	v_add_f64 v[24:25], v[12:13], -v[24:25]
	v_cndmask_b32_e32 v11, v15, v10, vcc
	v_xor_b32_e32 v12, 0x80000000, v17
	v_cmp_gt_f64_e32 vcc, 0, v[16:17]
	v_mov_b32_e32 v10, v14
	v_cndmask_b32_e32 v13, v17, v12, vcc
	v_mov_b32_e32 v12, v16
	v_cmp_ngt_f64_e32 vcc, v[10:11], v[12:13]
	s_cbranch_vccz .LBB213_136
; %bb.135:                              ;   in Loop: Header=BB213_127 Depth=1
	v_div_scale_f64 v[10:11], s[8:9], v[16:17], v[16:17], v[14:15]
	v_rcp_f64_e32 v[12:13], v[10:11]
	v_div_scale_f64 v[30:31], vcc, v[14:15], v[16:17], v[14:15]
	v_fma_f64 v[32:33], -v[10:11], v[12:13], 1.0
	v_fmac_f64_e32 v[12:13], v[12:13], v[32:33]
	v_fma_f64 v[32:33], -v[10:11], v[12:13], 1.0
	v_fmac_f64_e32 v[12:13], v[12:13], v[32:33]
	v_mul_f64 v[32:33], v[30:31], v[12:13]
	v_fma_f64 v[10:11], -v[10:11], v[32:33], v[30:31]
	v_div_fmas_f64 v[10:11], v[10:11], v[12:13], v[32:33]
	v_div_fixup_f64 v[12:13], v[10:11], v[16:17], v[14:15]
	v_fma_f64 v[10:11], v[14:15], v[12:13], v[16:17]
	v_div_scale_f64 v[30:31], s[8:9], v[10:11], v[10:11], 1.0
	v_rcp_f64_e32 v[32:33], v[30:31]
	v_fma_f64 v[34:35], -v[30:31], v[32:33], 1.0
	v_fmac_f64_e32 v[32:33], v[32:33], v[34:35]
	v_fma_f64 v[34:35], -v[30:31], v[32:33], 1.0
	v_fmac_f64_e32 v[32:33], v[32:33], v[34:35]
	v_div_scale_f64 v[34:35], vcc, 1.0, v[10:11], 1.0
	v_mul_f64 v[36:37], v[34:35], v[32:33]
	v_fma_f64 v[30:31], -v[30:31], v[36:37], v[34:35]
	s_nop 1
	v_div_fmas_f64 v[30:31], v[30:31], v[32:33], v[36:37]
	v_div_fixup_f64 v[30:31], v[30:31], v[10:11], 1.0
	v_fma_f64 v[10:11], v[12:13], v[22:23], v[24:25]
	v_fma_f64 v[12:13], v[12:13], v[24:25], -v[22:23]
	v_mul_f64 v[10:11], v[10:11], v[30:31]
	v_mul_f64 v[12:13], v[12:13], v[30:31]
	s_cbranch_execz .LBB213_137
	s_branch .LBB213_138
.LBB213_136:                            ;   in Loop: Header=BB213_127 Depth=1
                                        ; implicit-def: $vgpr12_vgpr13
.LBB213_137:                            ;   in Loop: Header=BB213_127 Depth=1
	v_div_scale_f64 v[10:11], s[8:9], v[14:15], v[14:15], v[16:17]
	v_rcp_f64_e32 v[12:13], v[10:11]
	v_div_scale_f64 v[30:31], vcc, v[16:17], v[14:15], v[16:17]
	v_fma_f64 v[32:33], -v[10:11], v[12:13], 1.0
	v_fmac_f64_e32 v[12:13], v[12:13], v[32:33]
	v_fma_f64 v[32:33], -v[10:11], v[12:13], 1.0
	v_fmac_f64_e32 v[12:13], v[12:13], v[32:33]
	v_mul_f64 v[32:33], v[30:31], v[12:13]
	v_fma_f64 v[10:11], -v[10:11], v[32:33], v[30:31]
	v_div_fmas_f64 v[10:11], v[10:11], v[12:13], v[32:33]
	v_div_fixup_f64 v[12:13], v[10:11], v[14:15], v[16:17]
	v_fmac_f64_e32 v[14:15], v[16:17], v[12:13]
	v_div_scale_f64 v[10:11], s[8:9], v[14:15], v[14:15], 1.0
	v_rcp_f64_e32 v[16:17], v[10:11]
	v_fma_f64 v[30:31], -v[10:11], v[16:17], 1.0
	v_fmac_f64_e32 v[16:17], v[16:17], v[30:31]
	v_fma_f64 v[30:31], -v[10:11], v[16:17], 1.0
	v_fmac_f64_e32 v[16:17], v[16:17], v[30:31]
	v_div_scale_f64 v[30:31], vcc, 1.0, v[14:15], 1.0
	v_mul_f64 v[32:33], v[30:31], v[16:17]
	v_fma_f64 v[10:11], -v[10:11], v[32:33], v[30:31]
	s_nop 1
	v_div_fmas_f64 v[10:11], v[10:11], v[16:17], v[32:33]
	v_div_fixup_f64 v[14:15], v[10:11], v[14:15], 1.0
	v_fma_f64 v[10:11], v[12:13], v[24:25], v[22:23]
	v_fma_f64 v[12:13], -v[12:13], v[22:23], v[24:25]
	v_mul_f64 v[10:11], v[10:11], v[14:15]
	v_mul_f64 v[12:13], v[12:13], v[14:15]
.LBB213_138:                            ;   in Loop: Header=BB213_127 Depth=1
	s_add_i32 s14, s14, s10
	s_lshl_b32 s8, s14, 4
	v_mov_b32_e32 v22, s8
	ds_read_b128 v[14:17], v22
	ds_read_b128 v[22:25], v22 offset:16
	ds_write_b128 v28, v[10:13]
	s_waitcnt lgkmcnt(2)
	v_mul_f64 v[28:29], v[20:21], v[16:17]
	v_mul_f64 v[16:17], v[18:19], v[16:17]
	v_fma_f64 v[28:29], v[18:19], v[14:15], -v[28:29]
	v_fmac_f64_e32 v[16:17], v[20:21], v[14:15]
	v_add_f64 v[14:15], v[6:7], -v[28:29]
	s_waitcnt lgkmcnt(1)
	v_mul_f64 v[6:7], v[12:13], v[24:25]
	v_fma_f64 v[28:29], v[10:11], v[22:23], -v[6:7]
	v_mov_b32_e32 v6, s15
	v_add_f64 v[16:17], v[8:9], -v[16:17]
	ds_read_b128 v[6:9], v6 offset:416
	v_mul_f64 v[24:25], v[10:11], v[24:25]
	v_fmac_f64_e32 v[24:25], v[12:13], v[22:23]
	v_add_f64 v[22:23], v[14:15], -v[28:29]
	v_add_f64 v[24:25], v[16:17], -v[24:25]
	s_waitcnt lgkmcnt(0)
	v_xor_b32_e32 v14, 0x80000000, v7
	v_cmp_gt_f64_e32 vcc, 0, v[6:7]
	v_cndmask_b32_e32 v15, v7, v14, vcc
	v_xor_b32_e32 v16, 0x80000000, v9
	v_cmp_gt_f64_e32 vcc, 0, v[8:9]
	v_mov_b32_e32 v14, v6
	v_cndmask_b32_e32 v17, v9, v16, vcc
	v_mov_b32_e32 v16, v8
	v_cmp_ngt_f64_e32 vcc, v[14:15], v[16:17]
	s_cbranch_vccz .LBB213_140
; %bb.139:                              ;   in Loop: Header=BB213_127 Depth=1
	v_div_scale_f64 v[14:15], s[8:9], v[8:9], v[8:9], v[6:7]
	v_rcp_f64_e32 v[16:17], v[14:15]
	v_div_scale_f64 v[28:29], vcc, v[6:7], v[8:9], v[6:7]
	v_fma_f64 v[30:31], -v[14:15], v[16:17], 1.0
	v_fmac_f64_e32 v[16:17], v[16:17], v[30:31]
	v_fma_f64 v[30:31], -v[14:15], v[16:17], 1.0
	v_fmac_f64_e32 v[16:17], v[16:17], v[30:31]
	v_mul_f64 v[30:31], v[28:29], v[16:17]
	v_fma_f64 v[14:15], -v[14:15], v[30:31], v[28:29]
	v_div_fmas_f64 v[14:15], v[14:15], v[16:17], v[30:31]
	v_div_fixup_f64 v[16:17], v[14:15], v[8:9], v[6:7]
	v_fma_f64 v[14:15], v[6:7], v[16:17], v[8:9]
	v_div_scale_f64 v[28:29], s[8:9], v[14:15], v[14:15], 1.0
	v_rcp_f64_e32 v[30:31], v[28:29]
	v_fma_f64 v[32:33], -v[28:29], v[30:31], 1.0
	v_fmac_f64_e32 v[30:31], v[30:31], v[32:33]
	v_fma_f64 v[32:33], -v[28:29], v[30:31], 1.0
	v_fmac_f64_e32 v[30:31], v[30:31], v[32:33]
	v_div_scale_f64 v[32:33], vcc, 1.0, v[14:15], 1.0
	v_mul_f64 v[34:35], v[32:33], v[30:31]
	v_fma_f64 v[28:29], -v[28:29], v[34:35], v[32:33]
	s_nop 1
	v_div_fmas_f64 v[28:29], v[28:29], v[30:31], v[34:35]
	v_div_fixup_f64 v[28:29], v[28:29], v[14:15], 1.0
	v_fma_f64 v[14:15], v[16:17], v[22:23], v[24:25]
	v_fma_f64 v[16:17], v[16:17], v[24:25], -v[22:23]
	v_mul_f64 v[14:15], v[14:15], v[28:29]
	v_mul_f64 v[16:17], v[16:17], v[28:29]
	s_cbranch_execz .LBB213_141
	s_branch .LBB213_142
.LBB213_140:                            ;   in Loop: Header=BB213_127 Depth=1
                                        ; implicit-def: $vgpr16_vgpr17
.LBB213_141:                            ;   in Loop: Header=BB213_127 Depth=1
	v_div_scale_f64 v[14:15], s[8:9], v[6:7], v[6:7], v[8:9]
	v_rcp_f64_e32 v[16:17], v[14:15]
	v_div_scale_f64 v[28:29], vcc, v[8:9], v[6:7], v[8:9]
	v_fma_f64 v[30:31], -v[14:15], v[16:17], 1.0
	v_fmac_f64_e32 v[16:17], v[16:17], v[30:31]
	v_fma_f64 v[30:31], -v[14:15], v[16:17], 1.0
	v_fmac_f64_e32 v[16:17], v[16:17], v[30:31]
	v_mul_f64 v[30:31], v[28:29], v[16:17]
	v_fma_f64 v[14:15], -v[14:15], v[30:31], v[28:29]
	v_div_fmas_f64 v[14:15], v[14:15], v[16:17], v[30:31]
	v_div_fixup_f64 v[16:17], v[14:15], v[6:7], v[8:9]
	v_fmac_f64_e32 v[6:7], v[8:9], v[16:17]
	v_div_scale_f64 v[8:9], s[8:9], v[6:7], v[6:7], 1.0
	v_rcp_f64_e32 v[14:15], v[8:9]
	v_fma_f64 v[28:29], -v[8:9], v[14:15], 1.0
	v_fmac_f64_e32 v[14:15], v[14:15], v[28:29]
	v_fma_f64 v[28:29], -v[8:9], v[14:15], 1.0
	v_fmac_f64_e32 v[14:15], v[14:15], v[28:29]
	v_div_scale_f64 v[28:29], vcc, 1.0, v[6:7], 1.0
	v_mul_f64 v[30:31], v[28:29], v[14:15]
	v_fma_f64 v[8:9], -v[8:9], v[30:31], v[28:29]
	s_nop 1
	v_div_fmas_f64 v[8:9], v[8:9], v[14:15], v[30:31]
	v_div_fixup_f64 v[6:7], v[8:9], v[6:7], 1.0
	v_fma_f64 v[8:9], v[16:17], v[24:25], v[22:23]
	v_mul_f64 v[14:15], v[8:9], v[6:7]
	v_fma_f64 v[8:9], -v[16:17], v[22:23], v[24:25]
	v_mul_f64 v[16:17], v[8:9], v[6:7]
.LBB213_142:                            ;   in Loop: Header=BB213_127 Depth=1
	s_add_i32 s11, s11, s10
	s_lshl_b32 s8, s11, 4
	v_mov_b32_e32 v30, s8
	ds_read_b128 v[6:9], v30
	ds_read_b128 v[22:25], v30 offset:16
	ds_write_b128 v27, v[14:17]
	s_waitcnt lgkmcnt(2)
	v_mul_f64 v[28:29], v[20:21], v[8:9]
	v_mul_f64 v[8:9], v[18:19], v[8:9]
	v_fma_f64 v[18:19], v[18:19], v[6:7], -v[28:29]
	v_fmac_f64_e32 v[8:9], v[20:21], v[6:7]
	s_waitcnt lgkmcnt(1)
	v_mul_f64 v[6:7], v[12:13], v[24:25]
	v_add_f64 v[2:3], v[2:3], -v[18:19]
	v_fma_f64 v[18:19], v[10:11], v[22:23], -v[6:7]
	v_mul_f64 v[10:11], v[10:11], v[24:25]
	v_add_f64 v[4:5], v[4:5], -v[8:9]
	v_fmac_f64_e32 v[10:11], v[12:13], v[22:23]
	ds_read_b128 v[6:9], v30 offset:32
	v_add_f64 v[12:13], v[2:3], -v[18:19]
	v_mov_b32_e32 v2, s15
	v_add_f64 v[18:19], v[4:5], -v[10:11]
	ds_read_b128 v[2:5], v2 offset:624
	s_waitcnt lgkmcnt(1)
	v_mul_f64 v[10:11], v[16:17], v[8:9]
	v_mul_f64 v[8:9], v[14:15], v[8:9]
	v_fma_f64 v[10:11], v[14:15], v[6:7], -v[10:11]
	v_fmac_f64_e32 v[8:9], v[16:17], v[6:7]
	s_waitcnt lgkmcnt(0)
	v_xor_b32_e32 v6, 0x80000000, v3
	v_cmp_gt_f64_e32 vcc, 0, v[2:3]
	v_add_f64 v[10:11], v[12:13], -v[10:11]
	v_add_f64 v[12:13], v[18:19], -v[8:9]
	v_cndmask_b32_e32 v7, v3, v6, vcc
	v_xor_b32_e32 v8, 0x80000000, v5
	v_cmp_gt_f64_e32 vcc, 0, v[4:5]
	v_mov_b32_e32 v6, v2
	v_cndmask_b32_e32 v9, v5, v8, vcc
	v_mov_b32_e32 v8, v4
	v_cmp_ngt_f64_e32 vcc, v[6:7], v[8:9]
	s_cbranch_vccz .LBB213_144
; %bb.143:                              ;   in Loop: Header=BB213_127 Depth=1
	v_div_scale_f64 v[6:7], s[8:9], v[4:5], v[4:5], v[2:3]
	v_rcp_f64_e32 v[8:9], v[6:7]
	v_div_scale_f64 v[14:15], vcc, v[2:3], v[4:5], v[2:3]
	v_fma_f64 v[16:17], -v[6:7], v[8:9], 1.0
	v_fmac_f64_e32 v[8:9], v[8:9], v[16:17]
	v_fma_f64 v[16:17], -v[6:7], v[8:9], 1.0
	v_fmac_f64_e32 v[8:9], v[8:9], v[16:17]
	v_mul_f64 v[16:17], v[14:15], v[8:9]
	v_fma_f64 v[6:7], -v[6:7], v[16:17], v[14:15]
	v_div_fmas_f64 v[6:7], v[6:7], v[8:9], v[16:17]
	v_div_fixup_f64 v[8:9], v[6:7], v[4:5], v[2:3]
	v_fma_f64 v[6:7], v[2:3], v[8:9], v[4:5]
	v_div_scale_f64 v[14:15], s[8:9], v[6:7], v[6:7], 1.0
	v_rcp_f64_e32 v[16:17], v[14:15]
	v_fma_f64 v[18:19], -v[14:15], v[16:17], 1.0
	v_fmac_f64_e32 v[16:17], v[16:17], v[18:19]
	v_fma_f64 v[18:19], -v[14:15], v[16:17], 1.0
	v_fmac_f64_e32 v[16:17], v[16:17], v[18:19]
	v_div_scale_f64 v[18:19], vcc, 1.0, v[6:7], 1.0
	v_mul_f64 v[20:21], v[18:19], v[16:17]
	v_fma_f64 v[14:15], -v[14:15], v[20:21], v[18:19]
	s_nop 1
	v_div_fmas_f64 v[14:15], v[14:15], v[16:17], v[20:21]
	v_div_fixup_f64 v[14:15], v[14:15], v[6:7], 1.0
	v_fma_f64 v[6:7], v[8:9], v[10:11], v[12:13]
	v_fma_f64 v[8:9], v[8:9], v[12:13], -v[10:11]
	v_mul_f64 v[6:7], v[6:7], v[14:15]
	v_mul_f64 v[8:9], v[8:9], v[14:15]
	s_cbranch_execz .LBB213_145
	s_branch .LBB213_146
.LBB213_144:                            ;   in Loop: Header=BB213_127 Depth=1
                                        ; implicit-def: $vgpr8_vgpr9
.LBB213_145:                            ;   in Loop: Header=BB213_127 Depth=1
	v_div_scale_f64 v[6:7], s[8:9], v[2:3], v[2:3], v[4:5]
	v_rcp_f64_e32 v[8:9], v[6:7]
	v_div_scale_f64 v[14:15], vcc, v[4:5], v[2:3], v[4:5]
	v_fma_f64 v[16:17], -v[6:7], v[8:9], 1.0
	v_fmac_f64_e32 v[8:9], v[8:9], v[16:17]
	v_fma_f64 v[16:17], -v[6:7], v[8:9], 1.0
	v_fmac_f64_e32 v[8:9], v[8:9], v[16:17]
	v_mul_f64 v[16:17], v[14:15], v[8:9]
	v_fma_f64 v[6:7], -v[6:7], v[16:17], v[14:15]
	v_div_fmas_f64 v[6:7], v[6:7], v[8:9], v[16:17]
	v_div_fixup_f64 v[8:9], v[6:7], v[2:3], v[4:5]
	v_fmac_f64_e32 v[2:3], v[4:5], v[8:9]
	v_div_scale_f64 v[4:5], s[8:9], v[2:3], v[2:3], 1.0
	v_rcp_f64_e32 v[6:7], v[4:5]
	v_fma_f64 v[14:15], -v[4:5], v[6:7], 1.0
	v_fmac_f64_e32 v[6:7], v[6:7], v[14:15]
	v_fma_f64 v[14:15], -v[4:5], v[6:7], 1.0
	v_fmac_f64_e32 v[6:7], v[6:7], v[14:15]
	v_div_scale_f64 v[14:15], vcc, 1.0, v[2:3], 1.0
	v_mul_f64 v[16:17], v[14:15], v[6:7]
	v_fma_f64 v[4:5], -v[4:5], v[16:17], v[14:15]
	s_nop 1
	v_div_fmas_f64 v[4:5], v[4:5], v[6:7], v[16:17]
	v_div_fixup_f64 v[2:3], v[4:5], v[2:3], 1.0
	v_fma_f64 v[4:5], v[8:9], v[12:13], v[10:11]
	v_mul_f64 v[6:7], v[4:5], v[2:3]
	v_fma_f64 v[4:5], -v[8:9], v[10:11], v[12:13]
	v_mul_f64 v[8:9], v[4:5], v[2:3]
.LBB213_146:                            ;   in Loop: Header=BB213_127 Depth=1
	s_add_i32 s11, s10, 4
	s_add_i32 s8, s10, 7
	s_addk_i32 s1, 0x300
	s_cmp_ge_i32 s8, s34
	ds_write_b128 v26, v[6:9]
	s_cbranch_scc1 .LBB213_148
; %bb.147:                              ;   in Loop: Header=BB213_127 Depth=1
	s_mov_b32 s10, s11
	s_branch .LBB213_127
.LBB213_148:
	s_cmp_ge_i32 s11, s34
	s_cbranch_scc1 .LBB213_163
; %bb.149:
	v_mov_b32_e32 v1, 0x900
	s_add_i32 s1, s11, -1
	s_mul_i32 s10, s11, 0xc0
	v_lshl_or_b32 v1, v0, 4, v1
	s_mov_b32 s14, 0
	s_mov_b32 s15, s11
	s_branch .LBB213_151
.LBB213_150:                            ;   in Loop: Header=BB213_151 Depth=1
	s_add_i32 s11, s11, 1
	s_add_i32 s14, s14, 1
	s_addk_i32 s10, 0xc0
	v_add_u16_e64 v2, s15, 1
	s_cmp_ge_i32 s11, s34
	v_readfirstlane_b32 s15, v2
	ds_write_b128 v14, v[10:13]
	s_cbranch_scc1 .LBB213_163
.LBB213_151:                            ; =>This Loop Header: Depth=1
                                        ;     Child Loop BB213_154 Depth 2
                                        ;     Child Loop BB213_158 Depth 2
	s_mul_i32 s8, s11, 12
	v_add_lshl_u32 v6, s8, v0, 4
	ds_read_b128 v[2:5], v6 offset:2304
	s_cmp_eq_u32 s11, 0
	s_cbranch_scc1 .LBB213_159
; %bb.152:                              ;   in Loop: Header=BB213_151 Depth=1
	s_add_i32 s8, s1, s14
	s_cmp_lt_u32 s8, 7
	s_cbranch_scc1 .LBB213_156
; %bb.153:                              ;   in Loop: Header=BB213_151 Depth=1
	s_and_b32 s8, s11, -8
	s_mov_b32 s9, 0
	v_mov_b32_e32 v7, v1
	s_mov_b32 s16, s10
.LBB213_154:                            ;   Parent Loop BB213_151 Depth=1
                                        ; =>  This Inner Loop Header: Depth=2
	v_mov_b32_e32 v68, s16
	ds_read_b128 v[8:11], v7
	ds_read_b128 v[12:15], v7 offset:192
	ds_read_b128 v[16:19], v7 offset:384
	;; [unrolled: 1-line block ×7, first 2 shown]
	ds_read_b128 v[40:43], v68
	ds_read_b128 v[44:47], v68 offset:16
	ds_read_b128 v[48:51], v68 offset:32
	ds_read_b128 v[52:55], v68 offset:48
	ds_read_b128 v[56:59], v68 offset:64
	ds_read_b128 v[60:63], v68 offset:80
	ds_read_b128 v[64:67], v68 offset:96
	ds_read_b128 v[68:71], v68 offset:112
	s_waitcnt lgkmcnt(7)
	v_mul_f64 v[72:73], v[42:43], v[10:11]
	v_mul_f64 v[10:11], v[40:41], v[10:11]
	s_waitcnt lgkmcnt(6)
	v_mul_f64 v[74:75], v[46:47], v[14:15]
	v_mul_f64 v[14:15], v[44:45], v[14:15]
	v_fma_f64 v[40:41], v[40:41], v[8:9], -v[72:73]
	v_fmac_f64_e32 v[10:11], v[42:43], v[8:9]
	s_waitcnt lgkmcnt(5)
	v_mul_f64 v[76:77], v[50:51], v[18:19]
	v_mul_f64 v[18:19], v[48:49], v[18:19]
	v_fma_f64 v[8:9], v[44:45], v[12:13], -v[74:75]
	v_fmac_f64_e32 v[14:15], v[46:47], v[12:13]
	v_add_f64 v[2:3], v[2:3], -v[40:41]
	v_add_f64 v[4:5], v[4:5], -v[10:11]
	s_waitcnt lgkmcnt(4)
	v_mul_f64 v[78:79], v[54:55], v[22:23]
	v_mul_f64 v[22:23], v[52:53], v[22:23]
	v_fma_f64 v[12:13], v[48:49], v[16:17], -v[76:77]
	v_fmac_f64_e32 v[18:19], v[50:51], v[16:17]
	v_add_f64 v[2:3], v[2:3], -v[8:9]
	v_add_f64 v[4:5], v[4:5], -v[14:15]
	;; [unrolled: 7-line block ×6, first 2 shown]
	s_add_i32 s9, s9, 8
	s_addk_i32 s16, 0x80
	v_fma_f64 v[32:33], v[68:69], v[36:37], -v[86:87]
	v_fmac_f64_e32 v[38:39], v[70:71], v[36:37]
	v_add_f64 v[2:3], v[2:3], -v[28:29]
	v_add_f64 v[4:5], v[4:5], -v[34:35]
	v_add_u32_e32 v7, 0x600, v7
	s_cmp_eq_u32 s8, s9
	v_add_f64 v[2:3], v[2:3], -v[32:33]
	v_add_f64 v[4:5], v[4:5], -v[38:39]
	s_cbranch_scc0 .LBB213_154
; %bb.155:                              ;   in Loop: Header=BB213_151 Depth=1
	s_and_b32 s9, s11, 7
	s_cmp_eq_u32 s9, 0
	s_cbranch_scc0 .LBB213_157
	s_branch .LBB213_159
.LBB213_156:                            ;   in Loop: Header=BB213_151 Depth=1
	s_mov_b32 s8, 0
	s_and_b32 s9, s11, 7
	s_cmp_eq_u32 s9, 0
	s_cbranch_scc1 .LBB213_159
.LBB213_157:                            ;   in Loop: Header=BB213_151 Depth=1
	s_lshl_b32 s16, s8, 4
	s_mulk_i32 s8, 0xc0
	s_and_b32 s9, s15, 7
	v_add_u32_e32 v7, s8, v1
.LBB213_158:                            ;   Parent Loop BB213_151 Depth=1
                                        ; =>  This Inner Loop Header: Depth=2
	s_add_i32 s8, s10, s16
	v_mov_b32_e32 v12, s8
	ds_read_b128 v[8:11], v7
	ds_read_b128 v[12:15], v12
	s_add_i32 s16, s16, 16
	s_add_i32 s9, s9, -1
	v_add_u32_e32 v7, 0xc0, v7
	s_cmp_lg_u32 s9, 0
	s_waitcnt lgkmcnt(0)
	v_mul_f64 v[16:17], v[14:15], v[10:11]
	v_mul_f64 v[10:11], v[12:13], v[10:11]
	v_fma_f64 v[12:13], v[12:13], v[8:9], -v[16:17]
	v_fmac_f64_e32 v[10:11], v[14:15], v[8:9]
	v_add_f64 v[2:3], v[2:3], -v[12:13]
	v_add_f64 v[4:5], v[4:5], -v[10:11]
	s_cbranch_scc1 .LBB213_158
.LBB213_159:                            ;   in Loop: Header=BB213_151 Depth=1
	s_mul_i32 s8, s11, 0xd0
	v_add_u32_e32 v14, 0x900, v6
	v_mov_b32_e32 v6, s8
	ds_read_b128 v[6:9], v6
	s_waitcnt lgkmcnt(0)
	v_xor_b32_e32 v11, 0x80000000, v7
	v_cmp_gt_f64_e32 vcc, 0, v[6:7]
	v_xor_b32_e32 v12, 0x80000000, v9
	v_cndmask_b32_e32 v11, v7, v11, vcc
	v_cmp_gt_f64_e32 vcc, 0, v[8:9]
	v_mov_b32_e32 v10, v6
	v_cndmask_b32_e32 v13, v9, v12, vcc
	v_mov_b32_e32 v12, v8
	v_cmp_ngt_f64_e32 vcc, v[10:11], v[12:13]
	s_cbranch_vccz .LBB213_161
; %bb.160:                              ;   in Loop: Header=BB213_151 Depth=1
	v_div_scale_f64 v[10:11], s[8:9], v[8:9], v[8:9], v[6:7]
	v_rcp_f64_e32 v[12:13], v[10:11]
	v_div_scale_f64 v[16:17], vcc, v[6:7], v[8:9], v[6:7]
	v_fma_f64 v[18:19], -v[10:11], v[12:13], 1.0
	v_fmac_f64_e32 v[12:13], v[12:13], v[18:19]
	v_fma_f64 v[18:19], -v[10:11], v[12:13], 1.0
	v_fmac_f64_e32 v[12:13], v[12:13], v[18:19]
	v_mul_f64 v[18:19], v[16:17], v[12:13]
	v_fma_f64 v[10:11], -v[10:11], v[18:19], v[16:17]
	v_div_fmas_f64 v[10:11], v[10:11], v[12:13], v[18:19]
	v_div_fixup_f64 v[12:13], v[10:11], v[8:9], v[6:7]
	v_fma_f64 v[10:11], v[6:7], v[12:13], v[8:9]
	v_div_scale_f64 v[16:17], s[8:9], v[10:11], v[10:11], 1.0
	v_rcp_f64_e32 v[18:19], v[16:17]
	v_fma_f64 v[20:21], -v[16:17], v[18:19], 1.0
	v_fmac_f64_e32 v[18:19], v[18:19], v[20:21]
	v_fma_f64 v[20:21], -v[16:17], v[18:19], 1.0
	v_fmac_f64_e32 v[18:19], v[18:19], v[20:21]
	v_div_scale_f64 v[20:21], vcc, 1.0, v[10:11], 1.0
	v_mul_f64 v[22:23], v[20:21], v[18:19]
	v_fma_f64 v[16:17], -v[16:17], v[22:23], v[20:21]
	s_nop 1
	v_div_fmas_f64 v[16:17], v[16:17], v[18:19], v[22:23]
	v_div_fixup_f64 v[16:17], v[16:17], v[10:11], 1.0
	v_fma_f64 v[10:11], v[2:3], v[12:13], v[4:5]
	v_fma_f64 v[12:13], v[4:5], v[12:13], -v[2:3]
	v_mul_f64 v[10:11], v[10:11], v[16:17]
	v_mul_f64 v[12:13], v[12:13], v[16:17]
	s_cbranch_execnz .LBB213_150
	s_branch .LBB213_162
.LBB213_161:                            ;   in Loop: Header=BB213_151 Depth=1
                                        ; implicit-def: $vgpr10_vgpr11
.LBB213_162:                            ;   in Loop: Header=BB213_151 Depth=1
	v_div_scale_f64 v[10:11], s[8:9], v[6:7], v[6:7], v[8:9]
	v_rcp_f64_e32 v[12:13], v[10:11]
	v_div_scale_f64 v[16:17], vcc, v[8:9], v[6:7], v[8:9]
	v_fma_f64 v[18:19], -v[10:11], v[12:13], 1.0
	v_fmac_f64_e32 v[12:13], v[12:13], v[18:19]
	v_fma_f64 v[18:19], -v[10:11], v[12:13], 1.0
	v_fmac_f64_e32 v[12:13], v[12:13], v[18:19]
	v_mul_f64 v[18:19], v[16:17], v[12:13]
	v_fma_f64 v[10:11], -v[10:11], v[18:19], v[16:17]
	v_div_fmas_f64 v[10:11], v[10:11], v[12:13], v[18:19]
	v_div_fixup_f64 v[12:13], v[10:11], v[6:7], v[8:9]
	v_fmac_f64_e32 v[6:7], v[8:9], v[12:13]
	v_div_scale_f64 v[8:9], s[8:9], v[6:7], v[6:7], 1.0
	v_rcp_f64_e32 v[10:11], v[8:9]
	v_fma_f64 v[16:17], -v[8:9], v[10:11], 1.0
	v_fmac_f64_e32 v[10:11], v[10:11], v[16:17]
	v_fma_f64 v[16:17], -v[8:9], v[10:11], 1.0
	v_fmac_f64_e32 v[10:11], v[10:11], v[16:17]
	v_div_scale_f64 v[16:17], vcc, 1.0, v[6:7], 1.0
	v_mul_f64 v[18:19], v[16:17], v[10:11]
	v_fma_f64 v[8:9], -v[8:9], v[18:19], v[16:17]
	s_nop 1
	v_div_fmas_f64 v[8:9], v[8:9], v[10:11], v[18:19]
	v_div_fixup_f64 v[6:7], v[8:9], v[6:7], 1.0
	v_fma_f64 v[8:9], v[4:5], v[12:13], v[2:3]
	v_fma_f64 v[2:3], -v[2:3], v[12:13], v[4:5]
	v_mul_f64 v[10:11], v[8:9], v[6:7]
	v_mul_f64 v[12:13], v[2:3], v[6:7]
	s_branch .LBB213_150
.LBB213_163:
	s_and_saveexec_b64 s[8:9], s[6:7]
	s_cbranch_execz .LBB213_170
; %bb.164:
	s_ashr_i32 s1, s0, 31
	s_mov_b32 s14, 0
	s_cmp_lt_u32 s33, 4
	v_lshlrev_b32_e32 v1, 4, v0
	s_cbranch_scc1 .LBB213_167
; %bb.165:
	v_mov_b32_e32 v3, s25
	v_add_co_u32_e32 v2, vcc, s24, v1
	s_mul_hi_i32 s17, s0, 48
	s_lshl_b64 s[6:7], s[0:1], 6
	s_lshl_b64 s[8:9], s[0:1], 5
	;; [unrolled: 1-line block ×3, first 2 shown]
	v_mov_b32_e32 v4, 0x900
	v_addc_co_u32_e32 v3, vcc, 0, v3, vcc
	s_and_b32 s14, s33, 0x7ffffffc
	s_mul_i32 s15, s0, 48
	v_lshl_or_b32 v4, v0, 4, v4
	s_mov_b32 s16, 0
	v_mov_b32_e32 v5, s11
	v_mov_b32_e32 v6, s9
	;; [unrolled: 1-line block ×4, first 2 shown]
.LBB213_166:                            ; =>This Inner Loop Header: Depth=1
	v_add_co_u32_e32 v26, vcc, s10, v2
	v_addc_co_u32_e32 v27, vcc, v3, v5, vcc
	ds_read2_b64 v[10:13], v4 offset1:1
	ds_read2_b64 v[14:17], v4 offset0:24 offset1:25
	ds_read2_b64 v[18:21], v4 offset0:48 offset1:49
	;; [unrolled: 1-line block ×3, first 2 shown]
	v_add_co_u32_e32 v28, vcc, s8, v2
	v_addc_co_u32_e32 v29, vcc, v3, v6, vcc
	v_add_co_u32_e32 v30, vcc, s15, v2
	v_addc_co_u32_e32 v31, vcc, v3, v7, vcc
	s_add_i32 s16, s16, 4
	s_waitcnt lgkmcnt(3)
	global_store_dwordx4 v[2:3], v[10:13], off
	s_waitcnt lgkmcnt(2)
	global_store_dwordx4 v[26:27], v[14:17], off
	;; [unrolled: 2-line block ×4, first 2 shown]
	v_add_co_u32_e32 v2, vcc, s6, v2
	v_add_u32_e32 v4, 0x300, v4
	s_cmp_lg_u32 s14, s16
	v_addc_co_u32_e32 v3, vcc, v3, v8, vcc
	s_cbranch_scc1 .LBB213_166
.LBB213_167:
	s_and_b32 s6, s33, 3
	s_cmp_eq_u32 s6, 0
	s_cbranch_scc1 .LBB213_170
; %bb.168:
	s_mul_hi_i32 s9, s0, s14
	s_mul_i32 s8, s0, s14
	s_lshl_b64 s[8:9], s[8:9], 4
	s_add_u32 s7, s12, s8
	s_addc_u32 s8, s13, s9
	s_add_u32 s7, s7, s23
	s_addc_u32 s8, s8, s22
	;; [unrolled: 2-line block ×4, first 2 shown]
	v_add_co_u32_e32 v2, vcc, s2, v1
	s_mul_i32 s2, s14, 0xc0
	v_mov_b32_e32 v3, s3
	s_lshl_b64 s[0:1], s[0:1], 4
	v_lshl_add_u32 v0, v0, 4, s2
	v_addc_co_u32_e32 v3, vcc, 0, v3, vcc
	v_add_u32_e32 v0, 0x900, v0
	v_mov_b32_e32 v1, s1
.LBB213_169:                            ; =>This Inner Loop Header: Depth=1
	ds_read2_b64 v[4:7], v0 offset1:1
	s_add_i32 s6, s6, -1
	v_add_u32_e32 v0, 0xc0, v0
	s_cmp_lg_u32 s6, 0
	s_waitcnt lgkmcnt(0)
	global_store_dwordx4 v[2:3], v[4:7], off
	v_add_co_u32_e32 v2, vcc, s0, v2
	v_addc_co_u32_e32 v3, vcc, v3, v1, vcc
	s_cbranch_scc1 .LBB213_169
.LBB213_170:
	s_endpgm
	.section	.rodata,"a",@progbits
	.p2align	6, 0x0
	.amdhsa_kernel _ZL31rocblas_trsm_small_right_deviceI19rocblas_complex_numIdES1_PKS1_PS1_Li12EEv13rocblas_fill_18rocblas_operation_17rocblas_diagonal_iiT0_T1_lilT2_lili
		.amdhsa_group_segment_fixed_size 4608
		.amdhsa_private_segment_fixed_size 0
		.amdhsa_kernarg_size 368
		.amdhsa_user_sgpr_count 6
		.amdhsa_user_sgpr_private_segment_buffer 1
		.amdhsa_user_sgpr_dispatch_ptr 0
		.amdhsa_user_sgpr_queue_ptr 0
		.amdhsa_user_sgpr_kernarg_segment_ptr 1
		.amdhsa_user_sgpr_dispatch_id 0
		.amdhsa_user_sgpr_flat_scratch_init 0
		.amdhsa_user_sgpr_kernarg_preload_length 0
		.amdhsa_user_sgpr_kernarg_preload_offset 0
		.amdhsa_user_sgpr_private_segment_size 0
		.amdhsa_uses_dynamic_stack 0
		.amdhsa_system_sgpr_private_segment_wavefront_offset 0
		.amdhsa_system_sgpr_workgroup_id_x 1
		.amdhsa_system_sgpr_workgroup_id_y 0
		.amdhsa_system_sgpr_workgroup_id_z 1
		.amdhsa_system_sgpr_workgroup_info 0
		.amdhsa_system_vgpr_workitem_id 0
		.amdhsa_next_free_vgpr 88
		.amdhsa_next_free_sgpr 39
		.amdhsa_accum_offset 88
		.amdhsa_reserve_vcc 1
		.amdhsa_reserve_flat_scratch 0
		.amdhsa_float_round_mode_32 0
		.amdhsa_float_round_mode_16_64 0
		.amdhsa_float_denorm_mode_32 3
		.amdhsa_float_denorm_mode_16_64 3
		.amdhsa_dx10_clamp 1
		.amdhsa_ieee_mode 1
		.amdhsa_fp16_overflow 0
		.amdhsa_tg_split 0
		.amdhsa_exception_fp_ieee_invalid_op 0
		.amdhsa_exception_fp_denorm_src 0
		.amdhsa_exception_fp_ieee_div_zero 0
		.amdhsa_exception_fp_ieee_overflow 0
		.amdhsa_exception_fp_ieee_underflow 0
		.amdhsa_exception_fp_ieee_inexact 0
		.amdhsa_exception_int_div_zero 0
	.end_amdhsa_kernel
	.section	.text._ZL31rocblas_trsm_small_right_deviceI19rocblas_complex_numIdES1_PKS1_PS1_Li12EEv13rocblas_fill_18rocblas_operation_17rocblas_diagonal_iiT0_T1_lilT2_lili,"axG",@progbits,_ZL31rocblas_trsm_small_right_deviceI19rocblas_complex_numIdES1_PKS1_PS1_Li12EEv13rocblas_fill_18rocblas_operation_17rocblas_diagonal_iiT0_T1_lilT2_lili,comdat
.Lfunc_end213:
	.size	_ZL31rocblas_trsm_small_right_deviceI19rocblas_complex_numIdES1_PKS1_PS1_Li12EEv13rocblas_fill_18rocblas_operation_17rocblas_diagonal_iiT0_T1_lilT2_lili, .Lfunc_end213-_ZL31rocblas_trsm_small_right_deviceI19rocblas_complex_numIdES1_PKS1_PS1_Li12EEv13rocblas_fill_18rocblas_operation_17rocblas_diagonal_iiT0_T1_lilT2_lili
                                        ; -- End function
	.section	.AMDGPU.csdata,"",@progbits
; Kernel info:
; codeLenInByte = 17628
; NumSgprs: 43
; NumVgprs: 88
; NumAgprs: 0
; TotalNumVgprs: 88
; ScratchSize: 0
; MemoryBound: 0
; FloatMode: 240
; IeeeMode: 1
; LDSByteSize: 4608 bytes/workgroup (compile time only)
; SGPRBlocks: 5
; VGPRBlocks: 10
; NumSGPRsForWavesPerEU: 43
; NumVGPRsForWavesPerEU: 88
; AccumOffset: 88
; Occupancy: 4
; WaveLimiterHint : 0
; COMPUTE_PGM_RSRC2:SCRATCH_EN: 0
; COMPUTE_PGM_RSRC2:USER_SGPR: 6
; COMPUTE_PGM_RSRC2:TRAP_HANDLER: 0
; COMPUTE_PGM_RSRC2:TGID_X_EN: 1
; COMPUTE_PGM_RSRC2:TGID_Y_EN: 0
; COMPUTE_PGM_RSRC2:TGID_Z_EN: 1
; COMPUTE_PGM_RSRC2:TIDIG_COMP_CNT: 0
; COMPUTE_PGM_RSRC3_GFX90A:ACCUM_OFFSET: 21
; COMPUTE_PGM_RSRC3_GFX90A:TG_SPLIT: 0
	.section	.text._ZL38rocblas_trsm_small_left_device_sharedBILi16ELi16ELb0E19rocblas_complex_numIdES1_PKS1_PS1_Ev13rocblas_fill_18rocblas_operation_17rocblas_diagonal_iiT3_T4_lilT5_lili,"axG",@progbits,_ZL38rocblas_trsm_small_left_device_sharedBILi16ELi16ELb0E19rocblas_complex_numIdES1_PKS1_PS1_Ev13rocblas_fill_18rocblas_operation_17rocblas_diagonal_iiT3_T4_lilT5_lili,comdat
	.globl	_ZL38rocblas_trsm_small_left_device_sharedBILi16ELi16ELb0E19rocblas_complex_numIdES1_PKS1_PS1_Ev13rocblas_fill_18rocblas_operation_17rocblas_diagonal_iiT3_T4_lilT5_lili ; -- Begin function _ZL38rocblas_trsm_small_left_device_sharedBILi16ELi16ELb0E19rocblas_complex_numIdES1_PKS1_PS1_Ev13rocblas_fill_18rocblas_operation_17rocblas_diagonal_iiT3_T4_lilT5_lili
	.p2align	8
	.type	_ZL38rocblas_trsm_small_left_device_sharedBILi16ELi16ELb0E19rocblas_complex_numIdES1_PKS1_PS1_Ev13rocblas_fill_18rocblas_operation_17rocblas_diagonal_iiT3_T4_lilT5_lili,@function
_ZL38rocblas_trsm_small_left_device_sharedBILi16ELi16ELb0E19rocblas_complex_numIdES1_PKS1_PS1_Ev13rocblas_fill_18rocblas_operation_17rocblas_diagonal_iiT3_T4_lilT5_lili: ; @_ZL38rocblas_trsm_small_left_device_sharedBILi16ELi16ELb0E19rocblas_complex_numIdES1_PKS1_PS1_Ev13rocblas_fill_18rocblas_operation_17rocblas_diagonal_iiT3_T4_lilT5_lili
; %bb.0:
	s_add_u32 s0, s0, s10
	s_load_dwordx4 s[24:27], s[4:5], 0x4
	s_load_dwordx8 s[12:19], s[4:5], 0x18
	s_load_dwordx4 s[20:23], s[4:5], 0x40
	s_load_dwordx2 s[10:11], s[4:5], 0x50
	s_load_dword s39, s[4:5], 0x70
	s_addc_u32 s1, s1, 0
	s_waitcnt lgkmcnt(0)
	s_min_i32 s33, s26, 16
	s_mov_b32 s40, 0
	s_add_i32 s38, s33, -1
	v_cmp_gt_i32_e32 vcc, s33, v0
	s_and_saveexec_b64 s[28:29], vcc
	s_cbranch_execz .LBB214_15
; %bb.1:
	s_load_dword s30, s[4:5], 0x38
	s_mul_i32 s41, s21, s9
	s_mul_hi_u32 s42, s20, s9
	s_mul_i32 s20, s20, s9
	s_waitcnt lgkmcnt(0)
	s_ashr_i32 s31, s30, 31
	s_cmpk_eq_i32 s24, 0x71
	s_cselect_b64 vcc, -1, 0
	s_cmp_lt_u32 s38, 3
	s_cbranch_scc1 .LBB214_4
; %bb.2:
	s_add_i32 s21, s42, s41
	s_and_b32 s40, s33, -4
	s_lshl_b64 s[6:7], s[20:21], 4
	s_lshl_b64 s[34:35], s[18:19], 4
	s_add_u32 s6, s6, s34
	s_addc_u32 s7, s7, s35
	s_add_u32 s6, s16, s6
	v_lshlrev_b32_e32 v2, 4, v0
	s_addc_u32 s7, s17, s7
	v_mov_b32_e32 v3, s7
	v_add_co_u32_e64 v2, s[6:7], s6, v2
	v_addc_co_u32_e64 v3, s[6:7], 0, v3, s[6:7]
	v_add_co_u32_e64 v2, s[6:7], 8, v2
	s_lshl_b64 s[34:35], s[30:31], 6
	s_lshl_b64 s[36:37], s[30:31], 4
	v_lshlrev_b32_e32 v1, 4, v0
	v_addc_co_u32_e64 v3, s[6:7], 0, v3, s[6:7]
	s_mov_b32 s21, 0
	v_mov_b32_e32 v4, s37
	v_mov_b32_e32 v5, s35
.LBB214_3:                              ; =>This Inner Loop Header: Depth=1
	v_add_co_u32_e64 v18, s[6:7], s36, v2
	v_addc_co_u32_e64 v19, s[6:7], v3, v4, s[6:7]
	v_add_co_u32_e64 v20, s[6:7], s36, v18
	global_load_dwordx4 v[6:9], v[2:3], off offset:-8
	v_addc_co_u32_e64 v21, s[6:7], v19, v4, s[6:7]
	global_load_dwordx4 v[10:13], v[18:19], off offset:-8
	global_load_dwordx4 v[14:17], v[20:21], off offset:-8
	v_add_co_u32_e64 v18, s[6:7], s36, v20
	v_addc_co_u32_e64 v19, s[6:7], v21, v4, s[6:7]
	global_load_dwordx4 v[18:21], v[18:19], off offset:-8
	s_add_i32 s21, s21, 4
	v_add_co_u32_e64 v2, s[6:7], s34, v2
	s_cmp_eq_u32 s40, s21
	v_addc_co_u32_e64 v3, s[6:7], v3, v5, s[6:7]
	s_waitcnt vmcnt(3)
	v_xor_b32_e32 v22, 0x80000000, v9
	v_cndmask_b32_e32 v9, v9, v22, vcc
	ds_write_b128 v1, v[6:9]
	s_waitcnt vmcnt(1)
	v_xor_b32_e32 v6, 0x80000000, v17
	v_xor_b32_e32 v22, 0x80000000, v13
	v_cndmask_b32_e32 v17, v17, v6, vcc
	v_cndmask_b32_e32 v13, v13, v22, vcc
	ds_write_b128 v1, v[10:13] offset:256
	s_waitcnt vmcnt(0)
	v_xor_b32_e32 v6, 0x80000000, v21
	v_cndmask_b32_e32 v21, v21, v6, vcc
	ds_write_b128 v1, v[14:17] offset:512
	ds_write_b128 v1, v[18:21] offset:768
	v_add_u32_e32 v1, 0x400, v1
	s_cbranch_scc0 .LBB214_3
.LBB214_4:
	s_and_b32 s34, s33, 3
	s_cmp_eq_u32 s34, 0
	s_cbranch_scc1 .LBB214_7
; %bb.5:
	s_add_i32 s21, s42, s41
	s_lshl_b64 s[6:7], s[20:21], 4
	s_mul_i32 s20, s31, s40
	s_mul_hi_u32 s21, s30, s40
	s_add_i32 s21, s21, s20
	s_mul_i32 s20, s30, s40
	s_lshl_b64 s[20:21], s[20:21], 4
	s_add_u32 s20, s6, s20
	s_addc_u32 s21, s7, s21
	s_lshl_b64 s[6:7], s[18:19], 4
	s_add_u32 s6, s20, s6
	s_addc_u32 s7, s21, s7
	s_add_u32 s6, s16, s6
	v_lshlrev_b32_e32 v2, 4, v0
	s_addc_u32 s7, s17, s7
	v_lshl_or_b32 v1, s40, 8, v2
	v_mov_b32_e32 v3, s7
	v_add_co_u32_e64 v2, s[6:7], s6, v2
	v_addc_co_u32_e64 v3, s[6:7], 0, v3, s[6:7]
	v_add_co_u32_e64 v2, s[6:7], 8, v2
	s_lshl_b64 s[16:17], s[30:31], 4
	v_addc_co_u32_e64 v3, s[6:7], 0, v3, s[6:7]
	v_mov_b32_e32 v4, s17
.LBB214_6:                              ; =>This Inner Loop Header: Depth=1
	global_load_dwordx4 v[6:9], v[2:3], off offset:-8
	v_add_co_u32_e64 v2, s[6:7], s16, v2
	s_add_i32 s34, s34, -1
	v_addc_co_u32_e64 v3, s[6:7], v3, v4, s[6:7]
	s_cmp_lg_u32 s34, 0
	s_waitcnt vmcnt(0)
	v_xor_b32_e32 v5, 0x80000000, v9
	v_cndmask_b32_e32 v9, v9, v5, vcc
	ds_write_b128 v1, v[6:9]
	v_add_u32_e32 v1, 0x100, v1
	s_cbranch_scc1 .LBB214_6
.LBB214_7:
	v_mul_u32_u24_e32 v1, 17, v0
	s_cmpk_lg_i32 s25, 0x84
	v_lshlrev_b32_e32 v1, 4, v1
	s_cbranch_scc0 .LBB214_13
; %bb.8:
	ds_read_b128 v[2:5], v1
	s_waitcnt lgkmcnt(0)
	v_xor_b32_e32 v7, 0x80000000, v3
	v_cmp_gt_f64_e32 vcc, 0, v[2:3]
	v_xor_b32_e32 v8, 0x80000000, v5
	v_cndmask_b32_e32 v7, v3, v7, vcc
	v_cmp_gt_f64_e32 vcc, 0, v[4:5]
	v_mov_b32_e32 v6, v2
	v_cndmask_b32_e32 v9, v5, v8, vcc
	v_mov_b32_e32 v8, v4
	v_cmp_ngt_f64_e32 vcc, v[6:7], v[8:9]
                                        ; implicit-def: $vgpr8_vgpr9
	s_and_saveexec_b64 s[6:7], vcc
	s_xor_b64 s[6:7], exec, s[6:7]
	s_cbranch_execz .LBB214_10
; %bb.9:
	v_div_scale_f64 v[6:7], s[16:17], v[4:5], v[4:5], v[2:3]
	v_rcp_f64_e32 v[8:9], v[6:7]
	v_div_scale_f64 v[10:11], vcc, v[2:3], v[4:5], v[2:3]
	v_fma_f64 v[12:13], -v[6:7], v[8:9], 1.0
	v_fmac_f64_e32 v[8:9], v[8:9], v[12:13]
	v_fma_f64 v[12:13], -v[6:7], v[8:9], 1.0
	v_fmac_f64_e32 v[8:9], v[8:9], v[12:13]
	v_mul_f64 v[12:13], v[10:11], v[8:9]
	v_fma_f64 v[6:7], -v[6:7], v[12:13], v[10:11]
	v_div_fmas_f64 v[6:7], v[6:7], v[8:9], v[12:13]
	v_div_fixup_f64 v[8:9], v[6:7], v[4:5], v[2:3]
	v_fmac_f64_e32 v[4:5], v[2:3], v[8:9]
	v_div_scale_f64 v[2:3], s[16:17], v[4:5], v[4:5], 1.0
	v_rcp_f64_e32 v[6:7], v[2:3]
	v_fma_f64 v[10:11], -v[2:3], v[6:7], 1.0
	v_fmac_f64_e32 v[6:7], v[6:7], v[10:11]
	v_fma_f64 v[10:11], -v[2:3], v[6:7], 1.0
	v_fmac_f64_e32 v[6:7], v[6:7], v[10:11]
	v_div_scale_f64 v[10:11], vcc, 1.0, v[4:5], 1.0
	v_mul_f64 v[12:13], v[10:11], v[6:7]
	v_fma_f64 v[2:3], -v[2:3], v[12:13], v[10:11]
	s_nop 1
	v_div_fmas_f64 v[2:3], v[2:3], v[6:7], v[12:13]
	v_div_fixup_f64 v[2:3], v[2:3], v[4:5], 1.0
	v_add_f64 v[4:5], v[8:9], 0
	v_mul_f64 v[6:7], v[4:5], v[2:3]
	v_fma_f64 v[4:5], v[8:9], 0, -1.0
	v_mul_f64 v[8:9], v[4:5], v[2:3]
                                        ; implicit-def: $vgpr2_vgpr3
.LBB214_10:
	s_andn2_saveexec_b64 s[6:7], s[6:7]
	s_cbranch_execz .LBB214_12
; %bb.11:
	v_div_scale_f64 v[6:7], s[16:17], v[2:3], v[2:3], v[4:5]
	v_rcp_f64_e32 v[8:9], v[6:7]
	v_div_scale_f64 v[10:11], vcc, v[4:5], v[2:3], v[4:5]
	v_fma_f64 v[12:13], -v[6:7], v[8:9], 1.0
	v_fmac_f64_e32 v[8:9], v[8:9], v[12:13]
	v_fma_f64 v[12:13], -v[6:7], v[8:9], 1.0
	v_fmac_f64_e32 v[8:9], v[8:9], v[12:13]
	v_mul_f64 v[12:13], v[10:11], v[8:9]
	v_fma_f64 v[6:7], -v[6:7], v[12:13], v[10:11]
	v_div_fmas_f64 v[6:7], v[6:7], v[8:9], v[12:13]
	v_div_fixup_f64 v[8:9], v[6:7], v[2:3], v[4:5]
	v_fmac_f64_e32 v[2:3], v[4:5], v[8:9]
	v_div_scale_f64 v[4:5], s[16:17], v[2:3], v[2:3], 1.0
	v_rcp_f64_e32 v[6:7], v[4:5]
	v_fma_f64 v[10:11], -v[4:5], v[6:7], 1.0
	v_fmac_f64_e32 v[6:7], v[6:7], v[10:11]
	v_fma_f64 v[10:11], -v[4:5], v[6:7], 1.0
	v_fmac_f64_e32 v[6:7], v[6:7], v[10:11]
	v_div_scale_f64 v[10:11], vcc, 1.0, v[2:3], 1.0
	v_mul_f64 v[12:13], v[10:11], v[6:7]
	v_fma_f64 v[4:5], -v[4:5], v[12:13], v[10:11]
	s_nop 1
	v_div_fmas_f64 v[4:5], v[4:5], v[6:7], v[12:13]
	v_div_fixup_f64 v[2:3], v[4:5], v[2:3], 1.0
	v_fma_f64 v[4:5], v[8:9], 0, 1.0
	v_mul_f64 v[6:7], v[4:5], v[2:3]
	v_add_f64 v[4:5], -v[8:9], 0
	v_mul_f64 v[8:9], v[4:5], v[2:3]
.LBB214_12:
	s_or_b64 exec, exec, s[6:7]
	s_branch .LBB214_14
.LBB214_13:
	v_mov_b32_e32 v6, 0
	v_mov_b32_e32 v7, 0x3ff00000
	v_pk_mov_b32 v[8:9], 0, 0
.LBB214_14:
	ds_write_b128 v1, v[6:9]
.LBB214_15:
	s_or_b64 exec, exec, s[28:29]
	s_load_dword s25, s[4:5], 0x58
	s_load_dwordx2 s[6:7], s[4:5], 0x60
	s_waitcnt lgkmcnt(0)
	s_ashr_i32 s28, s25, 31
	s_mul_i32 s5, s9, s7
	s_mul_hi_u32 s7, s9, s6
	s_mul_i32 s4, s9, s6
	s_add_i32 s5, s7, s5
	s_lshl_b64 s[4:5], s[4:5], 4
	s_add_u32 s9, s22, s4
	s_addc_u32 s16, s23, s5
	s_lshl_b64 s[6:7], s[10:11], 4
	s_add_u32 s17, s9, s6
	s_addc_u32 s16, s16, s7
	s_lshl_b32 s10, s8, 4
	s_add_i32 s39, s39, -1
	s_sub_i32 s9, s27, s10
	s_cmp_ge_u32 s8, s39
	s_cselect_b32 s18, s9, 16
	s_mul_hi_i32 s9, s25, s10
	s_mul_i32 s8, s25, s10
	s_ashr_i32 s11, s10, 31
	s_lshl_b64 s[8:9], s[8:9], 4
	s_add_u32 s27, s17, s8
	s_addc_u32 s29, s16, s9
	s_cmp_gt_i32 s26, 0
	v_cmp_gt_i32_e32 vcc, s18, v0
	s_cselect_b64 s[8:9], -1, 0
	s_mov_b32 s18, 0
	s_and_b64 s[8:9], vcc, s[8:9]
	s_and_saveexec_b64 s[16:17], s[8:9]
	s_cbranch_execz .LBB214_22
; %bb.16:
	s_cmp_lt_i32 s26, 8
	s_cbranch_scc1 .LBB214_19
; %bb.17:
	v_mad_i64_i32 v[2:3], s[18:19], s25, v0, 0
	v_lshlrev_b64 v[2:3], 4, v[2:3]
	v_mov_b32_e32 v4, s29
	v_add_co_u32_e32 v1, vcc, s27, v2
	v_addc_co_u32_e32 v2, vcc, v4, v3, vcc
	v_mov_b32_e32 v3, 0x1000
	s_lshl_b32 s18, s33, 4
	v_lshl_or_b32 v3, v0, 4, v3
	s_and_b32 s19, s18, 0x180
	s_mov_b32 s18, 0
	s_mov_b64 s[20:21], 0
.LBB214_18:                             ; =>This Inner Loop Header: Depth=1
	v_mov_b32_e32 v4, s21
	v_add_co_u32_e32 v36, vcc, s20, v1
	v_addc_co_u32_e32 v37, vcc, v2, v4, vcc
	global_load_dwordx4 v[4:7], v[36:37], off
	global_load_dwordx4 v[8:11], v[36:37], off offset:16
	global_load_dwordx4 v[12:15], v[36:37], off offset:32
	;; [unrolled: 1-line block ×7, first 2 shown]
	s_add_i32 s18, s18, 8
	s_add_u32 s20, s20, 0x80
	s_addc_u32 s21, s21, 0
	s_cmp_lg_u32 s19, s20
	s_waitcnt vmcnt(7)
	v_mul_f64 v[38:39], s[14:15], v[6:7]
	v_mul_f64 v[36:37], s[12:13], v[6:7]
	s_waitcnt vmcnt(6)
	v_mul_f64 v[40:41], s[14:15], v[10:11]
	v_mul_f64 v[6:7], s[12:13], v[10:11]
	;; [unrolled: 3-line block ×8, first 2 shown]
	v_fma_f64 v[34:35], s[12:13], v[4:5], -v[38:39]
	v_fmac_f64_e32 v[36:37], s[14:15], v[4:5]
	v_fma_f64 v[4:5], s[12:13], v[8:9], -v[40:41]
	v_fmac_f64_e32 v[6:7], s[14:15], v[8:9]
	;; [unrolled: 2-line block ×8, first 2 shown]
	ds_write_b128 v3, v[34:37]
	ds_write_b128 v3, v[4:7] offset:256
	ds_write_b128 v3, v[8:11] offset:512
	;; [unrolled: 1-line block ×7, first 2 shown]
	v_add_u32_e32 v3, 0x800, v3
	s_cbranch_scc1 .LBB214_18
.LBB214_19:
	s_and_b32 s20, s33, 7
	s_cmp_eq_u32 s20, 0
	s_mov_b32 s19, 0
	s_cbranch_scc1 .LBB214_22
; %bb.20:
	v_lshlrev_b32_e32 v2, 4, v0
	v_lshl_or_b32 v1, s18, 8, v2
	s_lshl_b64 s[30:31], s[10:11], 4
	s_lshl_b64 s[18:19], s[18:19], 4
	s_add_u32 s18, s22, s18
	s_addc_u32 s19, s23, s19
	s_add_u32 s18, s18, s6
	s_addc_u32 s19, s19, s7
	s_add_u32 s18, s18, s4
	v_mov_b32_e32 v3, s31
	v_add_co_u32_e32 v4, vcc, s30, v2
	s_addc_u32 s19, s19, s5
	v_addc_co_u32_e32 v5, vcc, 0, v3, vcc
	v_pk_mov_b32 v[2:3], s[18:19], s[18:19] op_sel:[0,1]
	v_mad_u64_u32 v[2:3], s[18:19], v4, s25, v[2:3]
	v_mul_lo_u32 v4, v4, s28
	v_mul_lo_u32 v5, v5, s25
	v_add3_u32 v3, v5, v3, v4
	v_add_co_u32_e32 v2, vcc, 8, v2
	v_add_u32_e32 v1, 0x1000, v1
	v_addc_co_u32_e32 v3, vcc, 0, v3, vcc
.LBB214_21:                             ; =>This Inner Loop Header: Depth=1
	global_load_dwordx4 v[4:7], v[2:3], off offset:-8
	v_add_co_u32_e32 v2, vcc, 16, v2
	s_add_i32 s20, s20, -1
	v_addc_co_u32_e32 v3, vcc, 0, v3, vcc
	s_cmp_lg_u32 s20, 0
	s_waitcnt vmcnt(0)
	v_mul_f64 v[10:11], s[14:15], v[6:7]
	v_mul_f64 v[8:9], s[12:13], v[6:7]
	v_fma_f64 v[6:7], s[12:13], v[4:5], -v[10:11]
	v_fmac_f64_e32 v[8:9], s[14:15], v[4:5]
	ds_write_b128 v1, v[6:9]
	v_add_u32_e32 v1, 0x100, v1
	s_cbranch_scc1 .LBB214_21
.LBB214_22:
	s_or_b64 exec, exec, s[16:17]
	s_cmpk_eq_i32 s24, 0x6f
	s_mov_b64 s[12:13], -1
	s_waitcnt lgkmcnt(0)
	; wave barrier
	s_waitcnt lgkmcnt(0)
	s_cbranch_scc1 .LBB214_44
; %bb.23:
	v_mov_b32_e32 v1, 0x1000
	s_mov_b32 s13, 0
	v_lshl_or_b32 v1, v0, 4, v1
	v_lshlrev_b32_e32 v6, 4, v0
	v_mov_b32_e32 v7, 0
	s_mov_b32 s12, s13
	s_mov_b32 s16, s13
	s_branch .LBB214_25
.LBB214_24:                             ;   in Loop: Header=BB214_25 Depth=1
	s_cmp_ge_i32 s16, s33
	s_cselect_b64 s[14:15], -1, 0
	s_add_i32 s12, s12, 1
	s_cmp_eq_u32 s12, 3
	s_cselect_b64 s[18:19], -1, 0
	s_or_b64 s[14:15], s[14:15], s[18:19]
	s_andn2_b64 vcc, exec, s[14:15]
	s_cbranch_vccz .LBB214_43
.LBB214_25:                             ; =>This Loop Header: Depth=1
                                        ;     Child Loop BB214_28 Depth 2
                                        ;       Child Loop BB214_29 Depth 3
                                        ;       Child Loop BB214_32 Depth 3
                                        ;         Child Loop BB214_33 Depth 4
                                        ;       Child Loop BB214_37 Depth 3
                                        ;         Child Loop BB214_39 Depth 4
	s_lshl_b64 s[14:15], s[12:13], 2
	s_getpc_b64 s[18:19]
	s_add_u32 s18, s18, __const._ZL38rocblas_trsm_small_left_device_sharedBILi16ELi16ELb0E19rocblas_complex_numIdES1_PKS1_PS1_Ev13rocblas_fill_18rocblas_operation_17rocblas_diagonal_iiT3_T4_lilT5_lili.step_sizes@rel32@lo+4
	s_addc_u32 s19, s19, __const._ZL38rocblas_trsm_small_left_device_sharedBILi16ELi16ELb0E19rocblas_complex_numIdES1_PKS1_PS1_Ev13rocblas_fill_18rocblas_operation_17rocblas_diagonal_iiT3_T4_lilT5_lili.step_sizes@rel32@hi+12
	s_add_u32 s14, s14, s18
	s_addc_u32 s15, s15, s19
	s_load_dword s17, s[14:15], 0x0
	s_waitcnt lgkmcnt(0)
	s_add_i32 s18, s17, -1
	s_add_i32 s14, s18, s16
	s_cmp_ge_i32 s14, s33
	s_cbranch_scc1 .LBB214_24
; %bb.26:                               ;   in Loop: Header=BB214_25 Depth=1
	s_lshl_b32 s20, s16, 8
	s_max_i32 s19, s17, 1
	v_add_u32_e32 v8, s20, v1
	s_lshl_b32 s21, s17, 8
	s_mul_i32 s24, s16, 0x110
	s_mul_i32 s30, s17, 0x110
	s_branch .LBB214_28
.LBB214_27:                             ;   in Loop: Header=BB214_28 Depth=2
	s_add_i32 s16, s16, s17
	s_add_i32 s14, s18, s16
	;; [unrolled: 1-line block ×4, first 2 shown]
	s_cmp_ge_i32 s14, s33
	v_add_u32_e32 v8, s21, v8
	s_cbranch_scc1 .LBB214_24
.LBB214_28:                             ;   Parent Loop BB214_25 Depth=1
                                        ; =>  This Loop Header: Depth=2
                                        ;       Child Loop BB214_29 Depth 3
                                        ;       Child Loop BB214_32 Depth 3
                                        ;         Child Loop BB214_33 Depth 4
                                        ;       Child Loop BB214_37 Depth 3
                                        ;         Child Loop BB214_39 Depth 4
	v_mov_b32_e32 v2, 0
	v_mov_b32_e32 v3, v8
	s_mov_b32 s14, s19
.LBB214_29:                             ;   Parent Loop BB214_25 Depth=1
                                        ;     Parent Loop BB214_28 Depth=2
                                        ; =>    This Inner Loop Header: Depth=3
	ds_read_b128 v[10:13], v3
	s_add_i32 s14, s14, -1
	v_add_u32_e32 v3, 0x100, v3
	s_cmp_eq_u32 s14, 0
	s_waitcnt lgkmcnt(0)
	buffer_store_dword v13, v2, s[0:3], 0 offen offset:12
	buffer_store_dword v12, v2, s[0:3], 0 offen offset:8
	;; [unrolled: 1-line block ×3, first 2 shown]
	buffer_store_dword v10, v2, s[0:3], 0 offen
	v_add_u32_e32 v2, 16, v2
	s_cbranch_scc0 .LBB214_29
; %bb.30:                               ;   in Loop: Header=BB214_28 Depth=2
	s_cmp_lt_i32 s16, 1
	s_cbranch_scc1 .LBB214_35
; %bb.31:                               ;   in Loop: Header=BB214_28 Depth=2
	s_mov_b32 s14, 0
	s_mov_b32 s15, s20
.LBB214_32:                             ;   Parent Loop BB214_25 Depth=1
                                        ;     Parent Loop BB214_28 Depth=2
                                        ; =>    This Loop Header: Depth=3
                                        ;         Child Loop BB214_33 Depth 4
	v_lshl_or_b32 v2, s14, 8, v6
	ds_read_b128 v[2:5], v2 offset:4096
	v_mov_b32_e32 v9, 0
	s_mov_b32 s31, s15
	s_mov_b32 s34, s19
.LBB214_33:                             ;   Parent Loop BB214_25 Depth=1
                                        ;     Parent Loop BB214_28 Depth=2
                                        ;       Parent Loop BB214_32 Depth=3
                                        ; =>      This Inner Loop Header: Depth=4
	buffer_load_dword v14, v9, s[0:3], 0 offen
	buffer_load_dword v15, v9, s[0:3], 0 offen offset:4
	buffer_load_dword v16, v9, s[0:3], 0 offen offset:8
	;; [unrolled: 1-line block ×3, first 2 shown]
	v_mov_b32_e32 v10, s31
	ds_read_b128 v[10:13], v10
	s_add_i32 s34, s34, -1
	s_addk_i32 s31, 0x100
	s_cmp_eq_u32 s34, 0
	s_waitcnt lgkmcnt(0)
	v_mul_f64 v[18:19], v[4:5], v[12:13]
	v_mul_f64 v[12:13], v[2:3], v[12:13]
	v_fma_f64 v[18:19], v[2:3], v[10:11], -v[18:19]
	v_fmac_f64_e32 v[12:13], v[4:5], v[10:11]
	s_waitcnt vmcnt(2)
	v_add_f64 v[10:11], v[14:15], -v[18:19]
	s_waitcnt vmcnt(0)
	v_add_f64 v[12:13], v[16:17], -v[12:13]
	buffer_store_dword v10, v9, s[0:3], 0 offen
	buffer_store_dword v11, v9, s[0:3], 0 offen offset:4
	buffer_store_dword v12, v9, s[0:3], 0 offen offset:8
	;; [unrolled: 1-line block ×3, first 2 shown]
	v_add_u32_e32 v9, 16, v9
	s_cbranch_scc0 .LBB214_33
; %bb.34:                               ;   in Loop: Header=BB214_32 Depth=3
	s_add_i32 s14, s14, 1
	s_add_i32 s15, s15, 16
	s_cmp_ge_i32 s14, s16
	s_cbranch_scc0 .LBB214_32
.LBB214_35:                             ;   in Loop: Header=BB214_28 Depth=2
	s_lshl_b32 s31, s16, 4
	s_mov_b32 s34, 0
	s_mov_b32 s35, s24
	s_branch .LBB214_37
.LBB214_36:                             ;   in Loop: Header=BB214_37 Depth=3
	s_mul_i32 s14, s37, 0x110
	v_mov_b32_e32 v9, s14
	ds_read_b128 v[10:13], v9
	s_lshl_b32 s14, s34, 4
	s_add_i32 s34, s34, 1
	s_addk_i32 s35, 0x100
	v_add_u32_e32 v9, s14, v7
	s_waitcnt vmcnt(0) lgkmcnt(0)
	v_mul_f64 v[14:15], v[12:13], v[4:5]
	v_mul_f64 v[16:17], v[10:11], v[4:5]
	v_fma_f64 v[14:15], v[10:11], v[2:3], -v[14:15]
	v_fmac_f64_e32 v[16:17], v[12:13], v[2:3]
	v_add_lshl_u32 v2, s36, v0, 4
	s_cmp_eq_u32 s34, s19
	buffer_store_dword v15, v9, s[0:3], 0 offen offset:4
	buffer_store_dword v14, v9, s[0:3], 0 offen
	buffer_store_dword v17, v9, s[0:3], 0 offen offset:12
	buffer_store_dword v16, v9, s[0:3], 0 offen offset:8
	ds_write_b128 v2, v[14:17] offset:4096
	s_cbranch_scc1 .LBB214_27
.LBB214_37:                             ;   Parent Loop BB214_25 Depth=1
                                        ;     Parent Loop BB214_28 Depth=2
                                        ; =>    This Loop Header: Depth=3
                                        ;         Child Loop BB214_39 Depth 4
	s_cmp_lg_u32 s34, 0
	s_cbranch_scc0 .LBB214_41
; %bb.38:                               ;   in Loop: Header=BB214_37 Depth=3
	s_lshl_b32 s14, s34, 4
	v_add_u32_e32 v9, s14, v7
	buffer_load_dword v2, v9, s[0:3], 0 offen
	buffer_load_dword v3, v9, s[0:3], 0 offen offset:4
	buffer_load_dword v4, v9, s[0:3], 0 offen offset:8
	;; [unrolled: 1-line block ×3, first 2 shown]
	s_add_i32 s37, s34, s16
	s_lshl_b32 s36, s37, 4
	v_mov_b32_e32 v10, 0
	s_mov_b32 s14, 0
	s_mov_b32 s15, s35
.LBB214_39:                             ;   Parent Loop BB214_25 Depth=1
                                        ;     Parent Loop BB214_28 Depth=2
                                        ;       Parent Loop BB214_37 Depth=3
                                        ; =>      This Inner Loop Header: Depth=4
	buffer_load_dword v16, v10, s[0:3], 0 offen offset:8
	buffer_load_dword v17, v10, s[0:3], 0 offen offset:12
	buffer_load_dword v18, v10, s[0:3], 0 offen
	buffer_load_dword v19, v10, s[0:3], 0 offen offset:4
	v_mov_b32_e32 v11, s15
	ds_read_b128 v[12:15], v11
	s_add_i32 s14, s14, 1
	s_add_i32 s15, s15, 16
	v_add_u32_e32 v10, 16, v10
	s_cmp_ge_u32 s14, s34
	s_waitcnt vmcnt(2) lgkmcnt(0)
	v_mul_f64 v[20:21], v[14:15], v[16:17]
	v_mul_f64 v[16:17], v[12:13], v[16:17]
	s_waitcnt vmcnt(0)
	v_fma_f64 v[12:13], v[12:13], v[18:19], -v[20:21]
	v_fmac_f64_e32 v[16:17], v[14:15], v[18:19]
	v_add_f64 v[2:3], v[2:3], -v[12:13]
	v_add_f64 v[4:5], v[4:5], -v[16:17]
	buffer_store_dword v2, v9, s[0:3], 0 offen
	buffer_store_dword v3, v9, s[0:3], 0 offen offset:4
	buffer_store_dword v4, v9, s[0:3], 0 offen offset:8
	;; [unrolled: 1-line block ×3, first 2 shown]
	s_cbranch_scc0 .LBB214_39
; %bb.40:                               ;   in Loop: Header=BB214_37 Depth=3
	s_branch .LBB214_36
.LBB214_41:                             ;   in Loop: Header=BB214_37 Depth=3
                                        ; implicit-def: $vgpr2_vgpr3
                                        ; implicit-def: $vgpr4_vgpr5
                                        ; implicit-def: $sgpr37
                                        ; implicit-def: $sgpr36
	s_cbranch_execz .LBB214_36
; %bb.42:                               ;   in Loop: Header=BB214_37 Depth=3
	buffer_load_dword v2, off, s[0:3], 0
	buffer_load_dword v3, off, s[0:3], 0 offset:4
	buffer_load_dword v4, off, s[0:3], 0 offset:8
	;; [unrolled: 1-line block ×3, first 2 shown]
	s_mov_b32 s36, s31
	s_mov_b32 s37, s16
	s_branch .LBB214_36
.LBB214_43:
	s_mov_b64 s[12:13], 0
.LBB214_44:
	s_and_b64 vcc, exec, s[12:13]
	s_cbranch_vccz .LBB214_64
; %bb.45:
	v_mov_b32_e32 v1, 0x1000
	s_lshl_b32 s16, s33, 8
	s_mov_b32 s13, 0
	v_lshl_or_b32 v1, v0, 4, v1
	s_addk_i32 s16, 0xff00
	v_lshlrev_b32_e32 v6, 4, v0
	v_mov_b32_e32 v7, 0
	s_mov_b32 s12, s13
	s_mov_b32 s17, s38
	s_branch .LBB214_47
.LBB214_46:                             ;   in Loop: Header=BB214_47 Depth=1
	s_cmp_lt_i32 s17, 0
	s_cselect_b64 s[14:15], -1, 0
	s_add_i32 s12, s12, 1
	s_cmp_eq_u32 s12, 3
	s_cselect_b64 s[18:19], -1, 0
	s_or_b64 s[14:15], s[14:15], s[18:19]
	s_and_b64 vcc, exec, s[14:15]
	s_cbranch_vccnz .LBB214_64
.LBB214_47:                             ; =>This Loop Header: Depth=1
                                        ;     Child Loop BB214_50 Depth 2
                                        ;       Child Loop BB214_51 Depth 3
                                        ;       Child Loop BB214_53 Depth 3
                                        ;         Child Loop BB214_54 Depth 4
                                        ;       Child Loop BB214_58 Depth 3
                                        ;         Child Loop BB214_60 Depth 4
	s_lshl_b64 s[14:15], s[12:13], 2
	s_getpc_b64 s[18:19]
	s_add_u32 s18, s18, __const._ZL38rocblas_trsm_small_left_device_sharedBILi16ELi16ELb0E19rocblas_complex_numIdES1_PKS1_PS1_Ev13rocblas_fill_18rocblas_operation_17rocblas_diagonal_iiT3_T4_lilT5_lili.step_sizes@rel32@lo+4
	s_addc_u32 s19, s19, __const._ZL38rocblas_trsm_small_left_device_sharedBILi16ELi16ELb0E19rocblas_complex_numIdES1_PKS1_PS1_Ev13rocblas_fill_18rocblas_operation_17rocblas_diagonal_iiT3_T4_lilT5_lili.step_sizes@rel32@hi+12
	s_add_u32 s14, s14, s18
	s_addc_u32 s15, s15, s19
	s_load_dword s18, s[14:15], 0x0
	s_waitcnt lgkmcnt(0)
	s_add_i32 s19, s18, -1
	s_cmp_lt_i32 s17, s19
	s_cbranch_scc1 .LBB214_46
; %bb.48:                               ;   in Loop: Header=BB214_47 Depth=1
	s_lshl_b32 s14, s18, 8
	s_sub_i32 s21, 0, s14
	s_lshl_b32 s14, s17, 4
	s_add_i32 s24, s16, s14
	s_lshl_b32 s14, s18, 4
	s_max_i32 s20, s18, 1
	v_lshl_add_u32 v8, s17, 8, v1
	s_sub_i32 s30, 0, s14
	s_mul_i32 s31, s17, 0x110
	s_mul_i32 s34, s18, 0xfffffef0
	s_branch .LBB214_50
.LBB214_49:                             ;   in Loop: Header=BB214_50 Depth=2
	s_sub_i32 s17, s17, s18
	s_add_i32 s24, s24, s30
	s_add_i32 s31, s31, s34
	s_cmp_lt_i32 s17, s19
	v_add_u32_e32 v8, s21, v8
	s_cbranch_scc1 .LBB214_46
.LBB214_50:                             ;   Parent Loop BB214_47 Depth=1
                                        ; =>  This Loop Header: Depth=2
                                        ;       Child Loop BB214_51 Depth 3
                                        ;       Child Loop BB214_53 Depth 3
                                        ;         Child Loop BB214_54 Depth 4
                                        ;       Child Loop BB214_58 Depth 3
                                        ;         Child Loop BB214_60 Depth 4
	v_mov_b32_e32 v2, 0
	v_mov_b32_e32 v3, v8
	s_mov_b32 s14, s20
.LBB214_51:                             ;   Parent Loop BB214_47 Depth=1
                                        ;     Parent Loop BB214_50 Depth=2
                                        ; =>    This Inner Loop Header: Depth=3
	ds_read_b128 v[10:13], v3
	s_add_i32 s14, s14, -1
	v_add_u32_e32 v3, 0xffffff00, v3
	s_cmp_eq_u32 s14, 0
	s_waitcnt lgkmcnt(0)
	buffer_store_dword v13, v2, s[0:3], 0 offen offset:12
	buffer_store_dword v12, v2, s[0:3], 0 offen offset:8
	;; [unrolled: 1-line block ×3, first 2 shown]
	buffer_store_dword v10, v2, s[0:3], 0 offen
	v_add_u32_e32 v2, 16, v2
	s_cbranch_scc0 .LBB214_51
; %bb.52:                               ;   in Loop: Header=BB214_50 Depth=2
	s_cmp_le_i32 s38, s17
	s_mov_b32 s14, s24
	s_mov_b32 s15, s38
	s_cbranch_scc1 .LBB214_56
.LBB214_53:                             ;   Parent Loop BB214_47 Depth=1
                                        ;     Parent Loop BB214_50 Depth=2
                                        ; =>    This Loop Header: Depth=3
                                        ;         Child Loop BB214_54 Depth 4
	v_lshl_or_b32 v2, s15, 8, v6
	ds_read_b128 v[2:5], v2 offset:4096
	v_mov_b32_e32 v9, 0
	s_mov_b32 s35, s20
	s_mov_b32 s36, s14
.LBB214_54:                             ;   Parent Loop BB214_47 Depth=1
                                        ;     Parent Loop BB214_50 Depth=2
                                        ;       Parent Loop BB214_53 Depth=3
                                        ; =>      This Inner Loop Header: Depth=4
	buffer_load_dword v14, v9, s[0:3], 0 offen
	buffer_load_dword v15, v9, s[0:3], 0 offen offset:4
	buffer_load_dword v16, v9, s[0:3], 0 offen offset:8
	;; [unrolled: 1-line block ×3, first 2 shown]
	v_mov_b32_e32 v10, s36
	ds_read_b128 v[10:13], v10
	s_add_i32 s36, s36, -16
	s_add_i32 s35, s35, -1
	s_cmp_eq_u32 s35, 0
	s_waitcnt lgkmcnt(0)
	v_mul_f64 v[18:19], v[4:5], v[12:13]
	v_mul_f64 v[12:13], v[2:3], v[12:13]
	v_fma_f64 v[18:19], v[2:3], v[10:11], -v[18:19]
	v_fmac_f64_e32 v[12:13], v[4:5], v[10:11]
	s_waitcnt vmcnt(2)
	v_add_f64 v[10:11], v[14:15], -v[18:19]
	s_waitcnt vmcnt(0)
	v_add_f64 v[12:13], v[16:17], -v[12:13]
	buffer_store_dword v10, v9, s[0:3], 0 offen
	buffer_store_dword v11, v9, s[0:3], 0 offen offset:4
	buffer_store_dword v12, v9, s[0:3], 0 offen offset:8
	;; [unrolled: 1-line block ×3, first 2 shown]
	v_add_u32_e32 v9, 16, v9
	s_cbranch_scc0 .LBB214_54
; %bb.55:                               ;   in Loop: Header=BB214_53 Depth=3
	s_add_i32 s15, s15, -1
	s_addk_i32 s14, 0xff00
	s_cmp_le_i32 s15, s17
	s_cbranch_scc0 .LBB214_53
.LBB214_56:                             ;   in Loop: Header=BB214_50 Depth=2
	s_mov_b32 s35, 0
	s_mov_b32 s36, s31
	s_branch .LBB214_58
.LBB214_57:                             ;   in Loop: Header=BB214_58 Depth=3
	s_mul_i32 s14, s37, 0x110
	v_mov_b32_e32 v9, s14
	ds_read_b128 v[10:13], v9
	s_lshl_b32 s14, s35, 4
	s_add_i32 s35, s35, 1
	s_add_i32 s36, s36, -16
	v_add_u32_e32 v9, s14, v7
	s_waitcnt vmcnt(0) lgkmcnt(0)
	v_mul_f64 v[14:15], v[12:13], v[4:5]
	v_mul_f64 v[16:17], v[10:11], v[4:5]
	v_fma_f64 v[14:15], v[10:11], v[2:3], -v[14:15]
	v_fmac_f64_e32 v[16:17], v[12:13], v[2:3]
	v_lshl_or_b32 v2, s37, 8, v6
	s_cmp_eq_u32 s35, s20
	buffer_store_dword v15, v9, s[0:3], 0 offen offset:4
	buffer_store_dword v14, v9, s[0:3], 0 offen
	buffer_store_dword v17, v9, s[0:3], 0 offen offset:12
	buffer_store_dword v16, v9, s[0:3], 0 offen offset:8
	ds_write_b128 v2, v[14:17] offset:4096
	s_cbranch_scc1 .LBB214_49
.LBB214_58:                             ;   Parent Loop BB214_47 Depth=1
                                        ;     Parent Loop BB214_50 Depth=2
                                        ; =>    This Loop Header: Depth=3
                                        ;         Child Loop BB214_60 Depth 4
	s_cmp_lg_u32 s35, 0
	s_cbranch_scc0 .LBB214_62
; %bb.59:                               ;   in Loop: Header=BB214_58 Depth=3
	s_lshl_b32 s14, s35, 4
	v_add_u32_e32 v9, s14, v7
	buffer_load_dword v2, v9, s[0:3], 0 offen
	buffer_load_dword v3, v9, s[0:3], 0 offen offset:4
	buffer_load_dword v4, v9, s[0:3], 0 offen offset:8
	;; [unrolled: 1-line block ×3, first 2 shown]
	s_sub_i32 s37, s17, s35
	v_mov_b32_e32 v10, 0
	s_mov_b32 s14, 0
	s_mov_b32 s15, s36
.LBB214_60:                             ;   Parent Loop BB214_47 Depth=1
                                        ;     Parent Loop BB214_50 Depth=2
                                        ;       Parent Loop BB214_58 Depth=3
                                        ; =>      This Inner Loop Header: Depth=4
	buffer_load_dword v16, v10, s[0:3], 0 offen offset:8
	buffer_load_dword v17, v10, s[0:3], 0 offen offset:12
	buffer_load_dword v18, v10, s[0:3], 0 offen
	buffer_load_dword v19, v10, s[0:3], 0 offen offset:4
	v_mov_b32_e32 v11, s15
	ds_read_b128 v[12:15], v11
	s_add_i32 s14, s14, 1
	s_addk_i32 s15, 0xff00
	v_add_u32_e32 v10, 16, v10
	s_cmp_ge_u32 s14, s35
	s_waitcnt vmcnt(2) lgkmcnt(0)
	v_mul_f64 v[20:21], v[14:15], v[16:17]
	v_mul_f64 v[16:17], v[12:13], v[16:17]
	s_waitcnt vmcnt(0)
	v_fma_f64 v[12:13], v[12:13], v[18:19], -v[20:21]
	v_fmac_f64_e32 v[16:17], v[14:15], v[18:19]
	v_add_f64 v[2:3], v[2:3], -v[12:13]
	v_add_f64 v[4:5], v[4:5], -v[16:17]
	buffer_store_dword v2, v9, s[0:3], 0 offen
	buffer_store_dword v3, v9, s[0:3], 0 offen offset:4
	buffer_store_dword v4, v9, s[0:3], 0 offen offset:8
	;; [unrolled: 1-line block ×3, first 2 shown]
	s_cbranch_scc0 .LBB214_60
; %bb.61:                               ;   in Loop: Header=BB214_58 Depth=3
	s_branch .LBB214_57
.LBB214_62:                             ;   in Loop: Header=BB214_58 Depth=3
                                        ; implicit-def: $vgpr2_vgpr3
                                        ; implicit-def: $vgpr4_vgpr5
                                        ; implicit-def: $sgpr37
	s_cbranch_execz .LBB214_57
; %bb.63:                               ;   in Loop: Header=BB214_58 Depth=3
	buffer_load_dword v2, off, s[0:3], 0
	buffer_load_dword v3, off, s[0:3], 0 offset:4
	buffer_load_dword v4, off, s[0:3], 0 offset:8
	buffer_load_dword v5, off, s[0:3], 0 offset:12
	s_mov_b32 s37, s17
	s_branch .LBB214_57
.LBB214_64:
	s_waitcnt lgkmcnt(0)
	; wave barrier
	s_waitcnt lgkmcnt(0)
	s_and_saveexec_b64 s[12:13], s[8:9]
	s_cbranch_execz .LBB214_71
; %bb.65:
	s_cmp_lt_i32 s26, 8
	s_mov_b32 s8, 0
	s_cbranch_scc1 .LBB214_68
; %bb.66:
	v_mad_i64_i32 v[2:3], s[8:9], s25, v0, 0
	v_lshlrev_b64 v[2:3], 4, v[2:3]
	v_mov_b32_e32 v4, s29
	v_add_co_u32_e32 v1, vcc, s27, v2
	v_addc_co_u32_e32 v2, vcc, v4, v3, vcc
	v_mov_b32_e32 v3, 0x1000
	s_lshl_b32 s8, s33, 4
	v_lshl_or_b32 v3, v0, 4, v3
	s_and_b32 s9, s8, 0x180
	s_mov_b32 s8, 0
	s_mov_b64 s[12:13], 0
.LBB214_67:                             ; =>This Inner Loop Header: Depth=1
	ds_read2_b64 v[4:7], v3 offset1:1
	ds_read2_b64 v[8:11], v3 offset0:32 offset1:33
	ds_read2_b64 v[12:15], v3 offset0:64 offset1:65
	;; [unrolled: 1-line block ×7, first 2 shown]
	s_add_i32 s8, s8, 8
	v_add_co_u32_e32 v36, vcc, s12, v1
	s_add_u32 s12, s12, 0x80
	v_mov_b32_e32 v37, s13
	s_addc_u32 s13, s13, 0
	v_add_u32_e32 v3, 0x800, v3
	v_addc_co_u32_e32 v37, vcc, v2, v37, vcc
	s_cmp_lg_u32 s9, s12
	s_waitcnt lgkmcnt(7)
	global_store_dwordx4 v[36:37], v[4:7], off
	s_waitcnt lgkmcnt(6)
	global_store_dwordx4 v[36:37], v[8:11], off offset:16
	s_waitcnt lgkmcnt(5)
	global_store_dwordx4 v[36:37], v[12:15], off offset:32
	s_waitcnt lgkmcnt(4)
	global_store_dwordx4 v[36:37], v[16:19], off offset:48
	s_waitcnt lgkmcnt(3)
	global_store_dwordx4 v[36:37], v[20:23], off offset:64
	s_waitcnt lgkmcnt(2)
	global_store_dwordx4 v[36:37], v[24:27], off offset:80
	s_waitcnt lgkmcnt(1)
	global_store_dwordx4 v[36:37], v[28:31], off offset:96
	s_waitcnt lgkmcnt(0)
	global_store_dwordx4 v[36:37], v[32:35], off offset:112
	s_cbranch_scc1 .LBB214_67
.LBB214_68:
	s_and_b32 s12, s33, 7
	s_cmp_eq_u32 s12, 0
	s_mov_b32 s9, 0
	s_cbranch_scc1 .LBB214_71
; %bb.69:
	s_lshl_b64 s[10:11], s[10:11], 4
	v_lshlrev_b32_e32 v2, 4, v0
	v_mov_b32_e32 v0, s11
	v_add_co_u32_e32 v3, vcc, s10, v2
	s_lshl_b64 s[10:11], s[8:9], 4
	s_add_u32 s9, s22, s10
	s_addc_u32 s10, s23, s11
	s_add_u32 s6, s9, s6
	s_addc_u32 s7, s10, s7
	;; [unrolled: 2-line block ×3, first 2 shown]
	v_addc_co_u32_e32 v4, vcc, 0, v0, vcc
	v_pk_mov_b32 v[0:1], s[4:5], s[4:5] op_sel:[0,1]
	v_mad_u64_u32 v[0:1], s[4:5], v3, s25, v[0:1]
	v_mul_lo_u32 v3, v3, s28
	v_mul_lo_u32 v4, v4, s25
	v_lshl_or_b32 v2, s8, 8, v2
	v_add3_u32 v1, v4, v1, v3
	v_add_u32_e32 v2, 0x1000, v2
.LBB214_70:                             ; =>This Inner Loop Header: Depth=1
	ds_read2_b64 v[4:7], v2 offset1:1
	s_add_i32 s12, s12, -1
	v_add_u32_e32 v2, 0x100, v2
	s_cmp_lg_u32 s12, 0
	s_waitcnt lgkmcnt(0)
	global_store_dwordx4 v[0:1], v[4:7], off
	v_add_co_u32_e32 v0, vcc, 16, v0
	v_addc_co_u32_e32 v1, vcc, 0, v1, vcc
	s_cbranch_scc1 .LBB214_70
.LBB214_71:
	s_endpgm
	.section	.rodata,"a",@progbits
	.p2align	6, 0x0
	.amdhsa_kernel _ZL38rocblas_trsm_small_left_device_sharedBILi16ELi16ELb0E19rocblas_complex_numIdES1_PKS1_PS1_Ev13rocblas_fill_18rocblas_operation_17rocblas_diagonal_iiT3_T4_lilT5_lili
		.amdhsa_group_segment_fixed_size 8192
		.amdhsa_private_segment_fixed_size 272
		.amdhsa_kernarg_size 368
		.amdhsa_user_sgpr_count 8
		.amdhsa_user_sgpr_private_segment_buffer 1
		.amdhsa_user_sgpr_dispatch_ptr 0
		.amdhsa_user_sgpr_queue_ptr 0
		.amdhsa_user_sgpr_kernarg_segment_ptr 1
		.amdhsa_user_sgpr_dispatch_id 0
		.amdhsa_user_sgpr_flat_scratch_init 1
		.amdhsa_user_sgpr_kernarg_preload_length 0
		.amdhsa_user_sgpr_kernarg_preload_offset 0
		.amdhsa_user_sgpr_private_segment_size 0
		.amdhsa_uses_dynamic_stack 0
		.amdhsa_system_sgpr_private_segment_wavefront_offset 1
		.amdhsa_system_sgpr_workgroup_id_x 1
		.amdhsa_system_sgpr_workgroup_id_y 0
		.amdhsa_system_sgpr_workgroup_id_z 1
		.amdhsa_system_sgpr_workgroup_info 0
		.amdhsa_system_vgpr_workitem_id 0
		.amdhsa_next_free_vgpr 54
		.amdhsa_next_free_sgpr 43
		.amdhsa_accum_offset 56
		.amdhsa_reserve_vcc 1
		.amdhsa_reserve_flat_scratch 0
		.amdhsa_float_round_mode_32 0
		.amdhsa_float_round_mode_16_64 0
		.amdhsa_float_denorm_mode_32 3
		.amdhsa_float_denorm_mode_16_64 3
		.amdhsa_dx10_clamp 1
		.amdhsa_ieee_mode 1
		.amdhsa_fp16_overflow 0
		.amdhsa_tg_split 0
		.amdhsa_exception_fp_ieee_invalid_op 0
		.amdhsa_exception_fp_denorm_src 0
		.amdhsa_exception_fp_ieee_div_zero 0
		.amdhsa_exception_fp_ieee_overflow 0
		.amdhsa_exception_fp_ieee_underflow 0
		.amdhsa_exception_fp_ieee_inexact 0
		.amdhsa_exception_int_div_zero 0
	.end_amdhsa_kernel
	.section	.text._ZL38rocblas_trsm_small_left_device_sharedBILi16ELi16ELb0E19rocblas_complex_numIdES1_PKS1_PS1_Ev13rocblas_fill_18rocblas_operation_17rocblas_diagonal_iiT3_T4_lilT5_lili,"axG",@progbits,_ZL38rocblas_trsm_small_left_device_sharedBILi16ELi16ELb0E19rocblas_complex_numIdES1_PKS1_PS1_Ev13rocblas_fill_18rocblas_operation_17rocblas_diagonal_iiT3_T4_lilT5_lili,comdat
.Lfunc_end214:
	.size	_ZL38rocblas_trsm_small_left_device_sharedBILi16ELi16ELb0E19rocblas_complex_numIdES1_PKS1_PS1_Ev13rocblas_fill_18rocblas_operation_17rocblas_diagonal_iiT3_T4_lilT5_lili, .Lfunc_end214-_ZL38rocblas_trsm_small_left_device_sharedBILi16ELi16ELb0E19rocblas_complex_numIdES1_PKS1_PS1_Ev13rocblas_fill_18rocblas_operation_17rocblas_diagonal_iiT3_T4_lilT5_lili
                                        ; -- End function
	.section	.AMDGPU.csdata,"",@progbits
; Kernel info:
; codeLenInByte = 4276
; NumSgprs: 47
; NumVgprs: 54
; NumAgprs: 0
; TotalNumVgprs: 54
; ScratchSize: 272
; MemoryBound: 0
; FloatMode: 240
; IeeeMode: 1
; LDSByteSize: 8192 bytes/workgroup (compile time only)
; SGPRBlocks: 5
; VGPRBlocks: 6
; NumSGPRsForWavesPerEU: 47
; NumVGPRsForWavesPerEU: 54
; AccumOffset: 56
; Occupancy: 2
; WaveLimiterHint : 0
; COMPUTE_PGM_RSRC2:SCRATCH_EN: 1
; COMPUTE_PGM_RSRC2:USER_SGPR: 8
; COMPUTE_PGM_RSRC2:TRAP_HANDLER: 0
; COMPUTE_PGM_RSRC2:TGID_X_EN: 1
; COMPUTE_PGM_RSRC2:TGID_Y_EN: 0
; COMPUTE_PGM_RSRC2:TGID_Z_EN: 1
; COMPUTE_PGM_RSRC2:TIDIG_COMP_CNT: 0
; COMPUTE_PGM_RSRC3_GFX90A:ACCUM_OFFSET: 13
; COMPUTE_PGM_RSRC3_GFX90A:TG_SPLIT: 0
	.section	.text._ZL30rocblas_trsm_small_left_deviceILi16ELi16ELb0E19rocblas_complex_numIdES1_PKS1_PS1_Ev13rocblas_fill_18rocblas_operation_17rocblas_diagonal_iiT3_T4_lilT5_lili,"axG",@progbits,_ZL30rocblas_trsm_small_left_deviceILi16ELi16ELb0E19rocblas_complex_numIdES1_PKS1_PS1_Ev13rocblas_fill_18rocblas_operation_17rocblas_diagonal_iiT3_T4_lilT5_lili,comdat
	.globl	_ZL30rocblas_trsm_small_left_deviceILi16ELi16ELb0E19rocblas_complex_numIdES1_PKS1_PS1_Ev13rocblas_fill_18rocblas_operation_17rocblas_diagonal_iiT3_T4_lilT5_lili ; -- Begin function _ZL30rocblas_trsm_small_left_deviceILi16ELi16ELb0E19rocblas_complex_numIdES1_PKS1_PS1_Ev13rocblas_fill_18rocblas_operation_17rocblas_diagonal_iiT3_T4_lilT5_lili
	.p2align	8
	.type	_ZL30rocblas_trsm_small_left_deviceILi16ELi16ELb0E19rocblas_complex_numIdES1_PKS1_PS1_Ev13rocblas_fill_18rocblas_operation_17rocblas_diagonal_iiT3_T4_lilT5_lili,@function
_ZL30rocblas_trsm_small_left_deviceILi16ELi16ELb0E19rocblas_complex_numIdES1_PKS1_PS1_Ev13rocblas_fill_18rocblas_operation_17rocblas_diagonal_iiT3_T4_lilT5_lili: ; @_ZL30rocblas_trsm_small_left_deviceILi16ELi16ELb0E19rocblas_complex_numIdES1_PKS1_PS1_Ev13rocblas_fill_18rocblas_operation_17rocblas_diagonal_iiT3_T4_lilT5_lili
; %bb.0:
	s_add_u32 s0, s0, s10
	s_load_dwordx4 s[24:27], s[4:5], 0x4
	s_load_dwordx8 s[12:19], s[4:5], 0x18
	s_load_dwordx4 s[20:23], s[4:5], 0x40
	s_load_dwordx2 s[10:11], s[4:5], 0x50
	s_load_dword s39, s[4:5], 0x70
	s_addc_u32 s1, s1, 0
	s_waitcnt lgkmcnt(0)
	s_min_i32 s38, s26, 16
	s_mov_b32 s40, 0
	s_add_i32 s33, s38, -1
	v_cmp_gt_i32_e32 vcc, s38, v0
	s_and_saveexec_b64 s[28:29], vcc
	s_cbranch_execz .LBB215_15
; %bb.1:
	s_load_dword s30, s[4:5], 0x38
	v_lshlrev_b32_e32 v1, 4, v0
	s_mul_i32 s26, s21, s9
	s_mul_hi_u32 s41, s20, s9
	s_mul_i32 s20, s20, s9
	s_waitcnt lgkmcnt(0)
	s_ashr_i32 s31, s30, 31
	s_cmpk_eq_i32 s24, 0x71
	s_cselect_b64 vcc, -1, 0
	s_cmp_lt_u32 s33, 3
	s_cbranch_scc1 .LBB215_4
; %bb.2:
	s_add_i32 s21, s41, s26
	s_and_b32 s40, s38, -4
	s_lshl_b64 s[6:7], s[20:21], 4
	s_lshl_b64 s[34:35], s[18:19], 4
	s_add_u32 s6, s6, s34
	s_addc_u32 s7, s7, s35
	s_add_u32 s6, s16, s6
	v_lshlrev_b32_e32 v2, 4, v0
	s_addc_u32 s7, s17, s7
	v_mov_b32_e32 v3, s7
	v_add_co_u32_e64 v2, s[6:7], s6, v2
	v_addc_co_u32_e64 v3, s[6:7], 0, v3, s[6:7]
	v_add_co_u32_e64 v2, s[6:7], 8, v2
	s_lshl_b64 s[34:35], s[30:31], 6
	s_lshl_b64 s[36:37], s[30:31], 4
	v_addc_co_u32_e64 v3, s[6:7], 0, v3, s[6:7]
	s_mov_b32 s21, 0
	v_mov_b32_e32 v4, s37
	v_mov_b32_e32 v5, s35
	;; [unrolled: 1-line block ×3, first 2 shown]
.LBB215_3:                              ; =>This Inner Loop Header: Depth=1
	v_add_co_u32_e64 v20, s[6:7], s36, v2
	v_addc_co_u32_e64 v21, s[6:7], v3, v4, s[6:7]
	v_add_co_u32_e64 v22, s[6:7], s36, v20
	global_load_dwordx4 v[8:11], v[2:3], off offset:-8
	v_addc_co_u32_e64 v23, s[6:7], v21, v4, s[6:7]
	global_load_dwordx4 v[12:15], v[20:21], off offset:-8
	global_load_dwordx4 v[16:19], v[22:23], off offset:-8
	v_add_co_u32_e64 v20, s[6:7], s36, v22
	v_addc_co_u32_e64 v21, s[6:7], v23, v4, s[6:7]
	global_load_dwordx4 v[20:23], v[20:21], off offset:-8
	s_add_i32 s21, s21, 4
	v_add_co_u32_e64 v2, s[6:7], s34, v2
	s_cmp_eq_u32 s40, s21
	v_addc_co_u32_e64 v3, s[6:7], v3, v5, s[6:7]
	s_waitcnt vmcnt(3)
	v_xor_b32_e32 v7, 0x80000000, v11
	v_cndmask_b32_e32 v11, v11, v7, vcc
	s_waitcnt vmcnt(2)
	v_xor_b32_e32 v7, 0x80000000, v15
	v_cndmask_b32_e32 v15, v15, v7, vcc
	;; [unrolled: 3-line block ×3, first 2 shown]
	ds_write_b128 v6, v[8:11]
	ds_write_b128 v6, v[12:15] offset:256
	s_waitcnt vmcnt(0)
	v_xor_b32_e32 v7, 0x80000000, v23
	v_cndmask_b32_e32 v23, v23, v7, vcc
	ds_write_b128 v6, v[16:19] offset:512
	ds_write_b128 v6, v[20:23] offset:768
	v_add_u32_e32 v6, 0x400, v6
	s_cbranch_scc0 .LBB215_3
.LBB215_4:
	s_and_b32 s34, s38, 3
	s_cmp_eq_u32 s34, 0
	s_cbranch_scc1 .LBB215_7
; %bb.5:
	s_add_i32 s21, s41, s26
	s_lshl_b64 s[6:7], s[20:21], 4
	s_mul_i32 s20, s31, s40
	s_mul_hi_u32 s21, s30, s40
	s_add_i32 s21, s21, s20
	s_mul_i32 s20, s30, s40
	s_lshl_b64 s[20:21], s[20:21], 4
	s_add_u32 s20, s6, s20
	s_addc_u32 s21, s7, s21
	s_lshl_b64 s[6:7], s[18:19], 4
	s_add_u32 s6, s20, s6
	s_addc_u32 s7, s21, s7
	s_add_u32 s6, s16, s6
	s_addc_u32 s7, s17, s7
	v_lshl_or_b32 v4, s40, 8, v1
	v_mov_b32_e32 v2, s7
	v_add_co_u32_e64 v1, s[6:7], s6, v1
	v_addc_co_u32_e64 v3, s[6:7], 0, v2, s[6:7]
	v_add_co_u32_e64 v2, s[6:7], 8, v1
	s_lshl_b64 s[16:17], s[30:31], 4
	v_addc_co_u32_e64 v3, s[6:7], 0, v3, s[6:7]
	v_mov_b32_e32 v1, s17
.LBB215_6:                              ; =>This Inner Loop Header: Depth=1
	global_load_dwordx4 v[6:9], v[2:3], off offset:-8
	v_add_co_u32_e64 v2, s[6:7], s16, v2
	s_add_i32 s34, s34, -1
	v_addc_co_u32_e64 v3, s[6:7], v3, v1, s[6:7]
	s_cmp_lg_u32 s34, 0
	s_waitcnt vmcnt(0)
	v_xor_b32_e32 v5, 0x80000000, v9
	v_cndmask_b32_e32 v9, v9, v5, vcc
	ds_write_b128 v4, v[6:9]
	v_add_u32_e32 v4, 0x100, v4
	s_cbranch_scc1 .LBB215_6
.LBB215_7:
	v_mul_u32_u24_e32 v1, 17, v0
	s_cmpk_lg_i32 s25, 0x84
	v_lshlrev_b32_e32 v1, 4, v1
	s_cbranch_scc0 .LBB215_13
; %bb.8:
	ds_read_b128 v[2:5], v1
	s_waitcnt lgkmcnt(0)
	v_xor_b32_e32 v7, 0x80000000, v3
	v_cmp_gt_f64_e32 vcc, 0, v[2:3]
	v_xor_b32_e32 v8, 0x80000000, v5
	v_cndmask_b32_e32 v7, v3, v7, vcc
	v_cmp_gt_f64_e32 vcc, 0, v[4:5]
	v_mov_b32_e32 v6, v2
	v_cndmask_b32_e32 v9, v5, v8, vcc
	v_mov_b32_e32 v8, v4
	v_cmp_ngt_f64_e32 vcc, v[6:7], v[8:9]
                                        ; implicit-def: $vgpr8_vgpr9
	s_and_saveexec_b64 s[6:7], vcc
	s_xor_b64 s[6:7], exec, s[6:7]
	s_cbranch_execz .LBB215_10
; %bb.9:
	v_div_scale_f64 v[6:7], s[16:17], v[4:5], v[4:5], v[2:3]
	v_rcp_f64_e32 v[8:9], v[6:7]
	v_div_scale_f64 v[10:11], vcc, v[2:3], v[4:5], v[2:3]
	v_fma_f64 v[12:13], -v[6:7], v[8:9], 1.0
	v_fmac_f64_e32 v[8:9], v[8:9], v[12:13]
	v_fma_f64 v[12:13], -v[6:7], v[8:9], 1.0
	v_fmac_f64_e32 v[8:9], v[8:9], v[12:13]
	v_mul_f64 v[12:13], v[10:11], v[8:9]
	v_fma_f64 v[6:7], -v[6:7], v[12:13], v[10:11]
	v_div_fmas_f64 v[6:7], v[6:7], v[8:9], v[12:13]
	v_div_fixup_f64 v[8:9], v[6:7], v[4:5], v[2:3]
	v_fmac_f64_e32 v[4:5], v[2:3], v[8:9]
	v_div_scale_f64 v[2:3], s[16:17], v[4:5], v[4:5], 1.0
	v_rcp_f64_e32 v[6:7], v[2:3]
	v_fma_f64 v[10:11], -v[2:3], v[6:7], 1.0
	v_fmac_f64_e32 v[6:7], v[6:7], v[10:11]
	v_fma_f64 v[10:11], -v[2:3], v[6:7], 1.0
	v_fmac_f64_e32 v[6:7], v[6:7], v[10:11]
	v_div_scale_f64 v[10:11], vcc, 1.0, v[4:5], 1.0
	v_mul_f64 v[12:13], v[10:11], v[6:7]
	v_fma_f64 v[2:3], -v[2:3], v[12:13], v[10:11]
	s_nop 1
	v_div_fmas_f64 v[2:3], v[2:3], v[6:7], v[12:13]
	v_div_fixup_f64 v[2:3], v[2:3], v[4:5], 1.0
	v_add_f64 v[4:5], v[8:9], 0
	v_mul_f64 v[6:7], v[4:5], v[2:3]
	v_fma_f64 v[4:5], v[8:9], 0, -1.0
	v_mul_f64 v[8:9], v[4:5], v[2:3]
                                        ; implicit-def: $vgpr2_vgpr3
.LBB215_10:
	s_andn2_saveexec_b64 s[6:7], s[6:7]
	s_cbranch_execz .LBB215_12
; %bb.11:
	v_div_scale_f64 v[6:7], s[16:17], v[2:3], v[2:3], v[4:5]
	v_rcp_f64_e32 v[8:9], v[6:7]
	v_div_scale_f64 v[10:11], vcc, v[4:5], v[2:3], v[4:5]
	v_fma_f64 v[12:13], -v[6:7], v[8:9], 1.0
	v_fmac_f64_e32 v[8:9], v[8:9], v[12:13]
	v_fma_f64 v[12:13], -v[6:7], v[8:9], 1.0
	v_fmac_f64_e32 v[8:9], v[8:9], v[12:13]
	v_mul_f64 v[12:13], v[10:11], v[8:9]
	v_fma_f64 v[6:7], -v[6:7], v[12:13], v[10:11]
	v_div_fmas_f64 v[6:7], v[6:7], v[8:9], v[12:13]
	v_div_fixup_f64 v[8:9], v[6:7], v[2:3], v[4:5]
	v_fmac_f64_e32 v[2:3], v[4:5], v[8:9]
	v_div_scale_f64 v[4:5], s[16:17], v[2:3], v[2:3], 1.0
	v_rcp_f64_e32 v[6:7], v[4:5]
	v_fma_f64 v[10:11], -v[4:5], v[6:7], 1.0
	v_fmac_f64_e32 v[6:7], v[6:7], v[10:11]
	v_fma_f64 v[10:11], -v[4:5], v[6:7], 1.0
	v_fmac_f64_e32 v[6:7], v[6:7], v[10:11]
	v_div_scale_f64 v[10:11], vcc, 1.0, v[2:3], 1.0
	v_mul_f64 v[12:13], v[10:11], v[6:7]
	v_fma_f64 v[4:5], -v[4:5], v[12:13], v[10:11]
	s_nop 1
	v_div_fmas_f64 v[4:5], v[4:5], v[6:7], v[12:13]
	v_div_fixup_f64 v[2:3], v[4:5], v[2:3], 1.0
	v_fma_f64 v[4:5], v[8:9], 0, 1.0
	v_mul_f64 v[6:7], v[4:5], v[2:3]
	v_add_f64 v[4:5], -v[8:9], 0
	v_mul_f64 v[8:9], v[4:5], v[2:3]
.LBB215_12:
	s_or_b64 exec, exec, s[6:7]
	s_branch .LBB215_14
.LBB215_13:
	v_mov_b32_e32 v6, 0
	v_mov_b32_e32 v7, 0x3ff00000
	v_pk_mov_b32 v[8:9], 0, 0
.LBB215_14:
	ds_write_b128 v1, v[6:9]
.LBB215_15:
	s_or_b64 exec, exec, s[28:29]
	s_lshl_b32 s16, s8, 4
	s_add_i32 s39, s39, -1
	s_sub_i32 s6, s27, s16
	s_cmp_ge_u32 s8, s39
	s_cselect_b32 s6, s6, 16
	v_cmp_gt_i32_e32 vcc, s6, v0
	s_waitcnt lgkmcnt(0)
	; wave barrier
	s_waitcnt lgkmcnt(0)
	s_and_saveexec_b64 s[6:7], vcc
	s_cbranch_execz .LBB215_58
; %bb.16:
	s_load_dwordx2 s[6:7], s[4:5], 0x60
	s_load_dword s8, s[4:5], 0x58
	v_add_u32_e32 v0, s16, v0
	s_waitcnt lgkmcnt(0)
	s_mul_i32 s5, s9, s7
	s_mul_hi_u32 s7, s9, s6
	s_mul_i32 s4, s9, s6
	s_add_i32 s5, s7, s5
	s_lshl_b64 s[4:5], s[4:5], 4
	s_add_u32 s9, s22, s4
	s_addc_u32 s17, s23, s5
	s_lshl_b64 s[6:7], s[10:11], 4
	s_add_u32 s10, s9, s6
	v_mad_i64_i32 v[0:1], s[8:9], s8, v0, 0
	s_addc_u32 s11, s17, s7
	v_lshlrev_b64 v[4:5], 4, v[0:1]
	v_mov_b32_e32 v0, s11
	v_add_co_u32_e32 v8, vcc, s10, v4
	v_addc_co_u32_e32 v9, vcc, v0, v5, vcc
	s_cmpk_eq_i32 s24, 0x6f
	s_mov_b64 s[8:9], -1
	s_cbranch_scc1 .LBB215_38
; %bb.17:
	s_add_u32 s8, s22, s6
	s_addc_u32 s9, s23, s7
	s_add_u32 s8, s8, s4
	s_addc_u32 s9, s9, s5
	v_mov_b32_e32 v0, s9
	v_add_co_u32_e32 v1, vcc, s8, v4
	v_addc_co_u32_e32 v0, vcc, v0, v5, vcc
	v_add_co_u32_e32 v10, vcc, 8, v1
	s_mov_b32 s9, 0
	v_addc_co_u32_e32 v11, vcc, 0, v0, vcc
	v_mov_b32_e32 v12, 0
	s_mov_b32 s10, s9
	s_mov_b32 s16, s9
	s_branch .LBB215_19
.LBB215_18:                             ;   in Loop: Header=BB215_19 Depth=1
	s_cmp_ge_i32 s16, s38
	s_cselect_b64 s[18:19], -1, 0
	s_add_i32 s10, s10, 1
	s_cmp_eq_u32 s10, 3
	s_cselect_b64 s[20:21], -1, 0
	s_or_b64 s[18:19], s[18:19], s[20:21]
	s_andn2_b64 vcc, exec, s[18:19]
	s_cbranch_vccz .LBB215_37
.LBB215_19:                             ; =>This Loop Header: Depth=1
                                        ;     Child Loop BB215_22 Depth 2
                                        ;       Child Loop BB215_23 Depth 3
                                        ;       Child Loop BB215_26 Depth 3
                                        ;         Child Loop BB215_27 Depth 4
                                        ;       Child Loop BB215_31 Depth 3
                                        ;         Child Loop BB215_33 Depth 4
	s_mov_b32 s11, s9
	s_lshl_b64 s[18:19], s[10:11], 2
	s_getpc_b64 s[20:21]
	s_add_u32 s20, s20, __const._ZL30rocblas_trsm_small_left_deviceILi16ELi16ELb0E19rocblas_complex_numIdES1_PKS1_PS1_Ev13rocblas_fill_18rocblas_operation_17rocblas_diagonal_iiT3_T4_lilT5_lili.step_sizes@rel32@lo+4
	s_addc_u32 s21, s21, __const._ZL30rocblas_trsm_small_left_deviceILi16ELi16ELb0E19rocblas_complex_numIdES1_PKS1_PS1_Ev13rocblas_fill_18rocblas_operation_17rocblas_diagonal_iiT3_T4_lilT5_lili.step_sizes@rel32@hi+12
	s_add_u32 s18, s18, s20
	s_addc_u32 s19, s19, s21
	s_load_dword s18, s[18:19], 0x0
	s_waitcnt lgkmcnt(0)
	s_add_i32 s11, s18, -1
	s_add_i32 s8, s11, s16
	s_cmp_ge_i32 s8, s38
	s_cbranch_scc1 .LBB215_18
; %bb.20:                               ;   in Loop: Header=BB215_19 Depth=1
	s_ashr_i32 s17, s16, 31
	s_lshl_b64 s[20:21], s[16:17], 4
	v_mov_b32_e32 v0, s21
	v_add_co_u32_e32 v6, vcc, s20, v10
	s_ashr_i32 s19, s18, 31
	s_max_i32 s28, s18, 1
	v_addc_co_u32_e32 v7, vcc, v11, v0, vcc
	s_lshl_b64 s[20:21], s[18:19], 4
	s_lshl_b32 s17, s16, 8
	s_lshl_b32 s19, s18, 8
	s_mul_i32 s29, s16, 0x110
	s_mul_i32 s30, s18, 0x110
	s_branch .LBB215_22
.LBB215_21:                             ;   in Loop: Header=BB215_22 Depth=2
	s_add_i32 s16, s16, s18
	s_add_i32 s8, s11, s16
	v_mov_b32_e32 v0, s21
	s_add_i32 s17, s17, s19
	s_add_i32 s29, s29, s30
	v_add_co_u32_e32 v6, vcc, s20, v6
	s_cmp_ge_i32 s8, s38
	v_addc_co_u32_e32 v7, vcc, v7, v0, vcc
	s_cbranch_scc1 .LBB215_18
.LBB215_22:                             ;   Parent Loop BB215_19 Depth=1
                                        ; =>  This Loop Header: Depth=2
                                        ;       Child Loop BB215_23 Depth 3
                                        ;       Child Loop BB215_26 Depth 3
                                        ;         Child Loop BB215_27 Depth 4
                                        ;       Child Loop BB215_31 Depth 3
                                        ;         Child Loop BB215_33 Depth 4
	v_mov_b32_e32 v2, 0
	v_pk_mov_b32 v[0:1], v[6:7], v[6:7] op_sel:[0,1]
	s_mov_b32 s8, s28
.LBB215_23:                             ;   Parent Loop BB215_19 Depth=1
                                        ;     Parent Loop BB215_22 Depth=2
                                        ; =>    This Inner Loop Header: Depth=3
	global_load_dwordx4 v[14:17], v[0:1], off offset:-8
	s_add_i32 s8, s8, -1
	v_add_co_u32_e32 v0, vcc, 16, v0
	v_addc_co_u32_e32 v1, vcc, 0, v1, vcc
	s_cmp_eq_u32 s8, 0
	s_waitcnt vmcnt(0)
	v_mul_f64 v[18:19], s[14:15], v[16:17]
	v_mul_f64 v[16:17], s[12:13], v[16:17]
	v_fma_f64 v[18:19], s[12:13], v[14:15], -v[18:19]
	v_fmac_f64_e32 v[16:17], s[14:15], v[14:15]
	buffer_store_dword v19, v2, s[0:3], 0 offen offset:4
	buffer_store_dword v18, v2, s[0:3], 0 offen
	buffer_store_dword v17, v2, s[0:3], 0 offen offset:12
	buffer_store_dword v16, v2, s[0:3], 0 offen offset:8
	v_add_u32_e32 v2, 16, v2
	s_cbranch_scc0 .LBB215_23
; %bb.24:                               ;   in Loop: Header=BB215_22 Depth=2
	s_cmp_lt_i32 s16, 1
	s_cbranch_scc1 .LBB215_29
; %bb.25:                               ;   in Loop: Header=BB215_22 Depth=2
	s_mov_b32 s8, 0
	s_mov_b32 s24, s17
.LBB215_26:                             ;   Parent Loop BB215_19 Depth=1
                                        ;     Parent Loop BB215_22 Depth=2
                                        ; =>    This Loop Header: Depth=3
                                        ;         Child Loop BB215_27 Depth 4
	s_lshl_b64 s[26:27], s[8:9], 4
	v_mov_b32_e32 v1, s27
	v_add_co_u32_e32 v0, vcc, s26, v8
	v_addc_co_u32_e32 v1, vcc, v9, v1, vcc
	global_load_dwordx4 v[0:3], v[0:1], off
	v_mov_b32_e32 v13, 0
	s_mov_b32 s25, s24
	s_mov_b32 s26, s28
.LBB215_27:                             ;   Parent Loop BB215_19 Depth=1
                                        ;     Parent Loop BB215_22 Depth=2
                                        ;       Parent Loop BB215_26 Depth=3
                                        ; =>      This Inner Loop Header: Depth=4
	buffer_load_dword v18, v13, s[0:3], 0 offen
	buffer_load_dword v19, v13, s[0:3], 0 offen offset:4
	buffer_load_dword v20, v13, s[0:3], 0 offen offset:8
	;; [unrolled: 1-line block ×3, first 2 shown]
	v_mov_b32_e32 v14, s25
	ds_read_b128 v[14:17], v14
	s_add_i32 s26, s26, -1
	s_addk_i32 s25, 0x100
	s_cmp_eq_u32 s26, 0
	s_waitcnt vmcnt(4) lgkmcnt(0)
	v_mul_f64 v[22:23], v[2:3], v[16:17]
	v_mul_f64 v[16:17], v[0:1], v[16:17]
	v_fma_f64 v[22:23], v[0:1], v[14:15], -v[22:23]
	v_fmac_f64_e32 v[16:17], v[2:3], v[14:15]
	s_waitcnt vmcnt(2)
	v_add_f64 v[14:15], v[18:19], -v[22:23]
	s_waitcnt vmcnt(0)
	v_add_f64 v[16:17], v[20:21], -v[16:17]
	buffer_store_dword v14, v13, s[0:3], 0 offen
	buffer_store_dword v15, v13, s[0:3], 0 offen offset:4
	buffer_store_dword v16, v13, s[0:3], 0 offen offset:8
	;; [unrolled: 1-line block ×3, first 2 shown]
	v_add_u32_e32 v13, 16, v13
	s_cbranch_scc0 .LBB215_27
; %bb.28:                               ;   in Loop: Header=BB215_26 Depth=3
	s_add_i32 s8, s8, 1
	s_add_i32 s24, s24, 16
	s_cmp_ge_i32 s8, s16
	s_cbranch_scc0 .LBB215_26
.LBB215_29:                             ;   in Loop: Header=BB215_22 Depth=2
	s_mov_b32 s8, 0
	s_mov_b32 s31, s29
	s_branch .LBB215_31
.LBB215_30:                             ;   in Loop: Header=BB215_31 Depth=3
	s_mul_i32 s25, s24, 0x110
	v_mov_b32_e32 v13, s25
	ds_read_b128 v[14:17], v13
	s_lshl_b32 s25, s8, 4
	v_add_u32_e32 v13, s25, v12
	s_ashr_i32 s25, s24, 31
	s_lshl_b64 s[24:25], s[24:25], 4
	s_waitcnt vmcnt(0) lgkmcnt(0)
	v_mul_f64 v[18:19], v[16:17], v[2:3]
	v_mul_f64 v[20:21], v[14:15], v[2:3]
	v_fma_f64 v[18:19], v[14:15], v[0:1], -v[18:19]
	v_fmac_f64_e32 v[20:21], v[16:17], v[0:1]
	v_mov_b32_e32 v1, s25
	v_add_co_u32_e32 v0, vcc, s24, v8
	s_add_i32 s8, s8, 1
	s_addk_i32 s31, 0x100
	v_addc_co_u32_e32 v1, vcc, v9, v1, vcc
	s_cmp_eq_u32 s8, s28
	buffer_store_dword v19, v13, s[0:3], 0 offen offset:4
	buffer_store_dword v18, v13, s[0:3], 0 offen
	buffer_store_dword v21, v13, s[0:3], 0 offen offset:12
	buffer_store_dword v20, v13, s[0:3], 0 offen offset:8
	global_store_dwordx4 v[0:1], v[18:21], off
	s_cbranch_scc1 .LBB215_21
.LBB215_31:                             ;   Parent Loop BB215_19 Depth=1
                                        ;     Parent Loop BB215_22 Depth=2
                                        ; =>    This Loop Header: Depth=3
                                        ;         Child Loop BB215_33 Depth 4
	s_cmp_lg_u32 s8, 0
	s_cbranch_scc0 .LBB215_35
; %bb.32:                               ;   in Loop: Header=BB215_31 Depth=3
	s_lshl_b32 s24, s8, 4
	v_add_u32_e32 v13, s24, v12
	buffer_load_dword v0, v13, s[0:3], 0 offen
	buffer_load_dword v1, v13, s[0:3], 0 offen offset:4
	buffer_load_dword v2, v13, s[0:3], 0 offen offset:8
	;; [unrolled: 1-line block ×3, first 2 shown]
	s_add_i32 s24, s8, s16
	v_mov_b32_e32 v14, 0
	s_mov_b32 s25, 0
	s_mov_b32 s26, s31
.LBB215_33:                             ;   Parent Loop BB215_19 Depth=1
                                        ;     Parent Loop BB215_22 Depth=2
                                        ;       Parent Loop BB215_31 Depth=3
                                        ; =>      This Inner Loop Header: Depth=4
	buffer_load_dword v20, v14, s[0:3], 0 offen offset:8
	buffer_load_dword v21, v14, s[0:3], 0 offen offset:12
	buffer_load_dword v22, v14, s[0:3], 0 offen
	buffer_load_dword v23, v14, s[0:3], 0 offen offset:4
	v_mov_b32_e32 v15, s26
	ds_read_b128 v[16:19], v15
	s_add_i32 s25, s25, 1
	s_add_i32 s26, s26, 16
	v_add_u32_e32 v14, 16, v14
	s_cmp_ge_u32 s25, s8
	s_waitcnt vmcnt(2) lgkmcnt(0)
	v_mul_f64 v[24:25], v[18:19], v[20:21]
	v_mul_f64 v[20:21], v[16:17], v[20:21]
	s_waitcnt vmcnt(0)
	v_fma_f64 v[16:17], v[16:17], v[22:23], -v[24:25]
	v_fmac_f64_e32 v[20:21], v[18:19], v[22:23]
	v_add_f64 v[0:1], v[0:1], -v[16:17]
	v_add_f64 v[2:3], v[2:3], -v[20:21]
	buffer_store_dword v0, v13, s[0:3], 0 offen
	buffer_store_dword v1, v13, s[0:3], 0 offen offset:4
	buffer_store_dword v2, v13, s[0:3], 0 offen offset:8
	;; [unrolled: 1-line block ×3, first 2 shown]
	s_cbranch_scc0 .LBB215_33
; %bb.34:                               ;   in Loop: Header=BB215_31 Depth=3
	s_branch .LBB215_30
.LBB215_35:                             ;   in Loop: Header=BB215_31 Depth=3
                                        ; implicit-def: $vgpr0_vgpr1
                                        ; implicit-def: $vgpr2_vgpr3
                                        ; implicit-def: $sgpr24
	s_cbranch_execz .LBB215_30
; %bb.36:                               ;   in Loop: Header=BB215_31 Depth=3
	buffer_load_dword v0, off, s[0:3], 0
	buffer_load_dword v1, off, s[0:3], 0 offset:4
	buffer_load_dword v2, off, s[0:3], 0 offset:8
	;; [unrolled: 1-line block ×3, first 2 shown]
	s_mov_b32 s24, s16
	s_branch .LBB215_30
.LBB215_37:
	s_mov_b64 s[8:9], 0
.LBB215_38:
	s_and_b64 vcc, exec, s[8:9]
	s_cbranch_vccz .LBB215_58
; %bb.39:
	s_add_u32 s6, s22, s6
	s_addc_u32 s7, s23, s7
	s_add_u32 s4, s6, s4
	s_addc_u32 s5, s7, s5
	v_mov_b32_e32 v0, s5
	v_add_co_u32_e32 v1, vcc, s4, v4
	v_addc_co_u32_e32 v0, vcc, v0, v5, vcc
	v_add_co_u32_e32 v4, vcc, 8, v1
	s_lshl_b32 s18, s38, 8
	s_mov_b32 s5, 0
	v_addc_co_u32_e32 v5, vcc, 0, v0, vcc
	s_addk_i32 s18, 0xff00
	v_mov_b32_e32 v6, 0
	s_mov_b32 s6, s33
	s_mov_b32 s4, s5
	s_branch .LBB215_41
.LBB215_40:                             ;   in Loop: Header=BB215_41 Depth=1
	s_cmp_lt_i32 s6, 0
	s_cselect_b64 s[8:9], -1, 0
	s_add_i32 s4, s4, 1
	s_cmp_eq_u32 s4, 3
	s_cselect_b64 s[10:11], -1, 0
	s_or_b64 s[8:9], s[8:9], s[10:11]
	s_and_b64 vcc, exec, s[8:9]
	s_cbranch_vccnz .LBB215_58
.LBB215_41:                             ; =>This Loop Header: Depth=1
                                        ;     Child Loop BB215_44 Depth 2
                                        ;       Child Loop BB215_45 Depth 3
                                        ;       Child Loop BB215_47 Depth 3
                                        ;         Child Loop BB215_48 Depth 4
                                        ;       Child Loop BB215_52 Depth 3
                                        ;         Child Loop BB215_54 Depth 4
	s_lshl_b64 s[8:9], s[4:5], 2
	s_getpc_b64 s[10:11]
	s_add_u32 s10, s10, __const._ZL30rocblas_trsm_small_left_deviceILi16ELi16ELb0E19rocblas_complex_numIdES1_PKS1_PS1_Ev13rocblas_fill_18rocblas_operation_17rocblas_diagonal_iiT3_T4_lilT5_lili.step_sizes@rel32@lo+4
	s_addc_u32 s11, s11, __const._ZL30rocblas_trsm_small_left_deviceILi16ELi16ELb0E19rocblas_complex_numIdES1_PKS1_PS1_Ev13rocblas_fill_18rocblas_operation_17rocblas_diagonal_iiT3_T4_lilT5_lili.step_sizes@rel32@hi+12
	s_add_u32 s8, s8, s10
	s_addc_u32 s9, s9, s11
	s_load_dword s19, s[8:9], 0x0
	s_waitcnt lgkmcnt(0)
	s_add_i32 s20, s19, -1
	s_cmp_lt_i32 s6, s20
	s_cbranch_scc1 .LBB215_40
; %bb.42:                               ;   in Loop: Header=BB215_41 Depth=1
	s_lshl_b32 s7, s6, 4
	s_add_i32 s22, s18, s7
	s_lshl_b32 s7, s19, 4
	s_max_i32 s21, s19, 1
	s_sub_i32 s23, 0, s7
	s_mul_i32 s24, s6, 0x110
	s_mul_i32 s25, s19, 0xfffffef0
	s_branch .LBB215_44
.LBB215_43:                             ;   in Loop: Header=BB215_44 Depth=2
	s_sub_i32 s6, s6, s19
	s_add_i32 s22, s22, s23
	s_add_i32 s24, s24, s25
	s_cmp_lt_i32 s6, s20
	s_cbranch_scc1 .LBB215_40
.LBB215_44:                             ;   Parent Loop BB215_41 Depth=1
                                        ; =>  This Loop Header: Depth=2
                                        ;       Child Loop BB215_45 Depth 3
                                        ;       Child Loop BB215_47 Depth 3
                                        ;         Child Loop BB215_48 Depth 4
                                        ;       Child Loop BB215_52 Depth 3
                                        ;         Child Loop BB215_54 Depth 4
	s_ashr_i32 s7, s6, 31
	s_lshl_b64 s[8:9], s[6:7], 4
	v_mov_b32_e32 v1, s9
	v_add_co_u32_e32 v0, vcc, s8, v4
	v_addc_co_u32_e32 v1, vcc, v5, v1, vcc
	v_mov_b32_e32 v2, 0
	s_mov_b32 s8, s21
.LBB215_45:                             ;   Parent Loop BB215_41 Depth=1
                                        ;     Parent Loop BB215_44 Depth=2
                                        ; =>    This Inner Loop Header: Depth=3
	global_load_dwordx4 v[10:13], v[0:1], off offset:-8
	s_add_i32 s8, s8, -1
	v_add_co_u32_e32 v0, vcc, -16, v0
	v_addc_co_u32_e32 v1, vcc, -1, v1, vcc
	s_cmp_eq_u32 s8, 0
	s_waitcnt vmcnt(0)
	v_mul_f64 v[14:15], s[14:15], v[12:13]
	v_mul_f64 v[12:13], s[12:13], v[12:13]
	v_fma_f64 v[14:15], s[12:13], v[10:11], -v[14:15]
	v_fmac_f64_e32 v[12:13], s[14:15], v[10:11]
	buffer_store_dword v15, v2, s[0:3], 0 offen offset:4
	buffer_store_dword v14, v2, s[0:3], 0 offen
	buffer_store_dword v13, v2, s[0:3], 0 offen offset:12
	buffer_store_dword v12, v2, s[0:3], 0 offen offset:8
	v_add_u32_e32 v2, 16, v2
	s_cbranch_scc0 .LBB215_45
; %bb.46:                               ;   in Loop: Header=BB215_44 Depth=2
	s_cmp_le_i32 s33, s6
	s_mov_b32 s10, s22
	s_mov_b32 s8, s33
	s_cbranch_scc1 .LBB215_50
.LBB215_47:                             ;   Parent Loop BB215_41 Depth=1
                                        ;     Parent Loop BB215_44 Depth=2
                                        ; =>    This Loop Header: Depth=3
                                        ;         Child Loop BB215_48 Depth 4
	s_ashr_i32 s9, s8, 31
	s_lshl_b64 s[16:17], s[8:9], 4
	v_mov_b32_e32 v1, s17
	v_add_co_u32_e32 v0, vcc, s16, v8
	v_addc_co_u32_e32 v1, vcc, v9, v1, vcc
	global_load_dwordx4 v[0:3], v[0:1], off
	v_mov_b32_e32 v7, 0
	s_mov_b32 s9, s21
	s_mov_b32 s11, s10
.LBB215_48:                             ;   Parent Loop BB215_41 Depth=1
                                        ;     Parent Loop BB215_44 Depth=2
                                        ;       Parent Loop BB215_47 Depth=3
                                        ; =>      This Inner Loop Header: Depth=4
	buffer_load_dword v14, v7, s[0:3], 0 offen
	buffer_load_dword v15, v7, s[0:3], 0 offen offset:4
	buffer_load_dword v16, v7, s[0:3], 0 offen offset:8
	;; [unrolled: 1-line block ×3, first 2 shown]
	v_mov_b32_e32 v10, s11
	ds_read_b128 v[10:13], v10
	s_add_i32 s11, s11, -16
	s_add_i32 s9, s9, -1
	s_cmp_eq_u32 s9, 0
	s_waitcnt vmcnt(4) lgkmcnt(0)
	v_mul_f64 v[18:19], v[2:3], v[12:13]
	v_mul_f64 v[12:13], v[0:1], v[12:13]
	v_fma_f64 v[18:19], v[0:1], v[10:11], -v[18:19]
	v_fmac_f64_e32 v[12:13], v[2:3], v[10:11]
	s_waitcnt vmcnt(2)
	v_add_f64 v[10:11], v[14:15], -v[18:19]
	s_waitcnt vmcnt(0)
	v_add_f64 v[12:13], v[16:17], -v[12:13]
	buffer_store_dword v10, v7, s[0:3], 0 offen
	buffer_store_dword v11, v7, s[0:3], 0 offen offset:4
	buffer_store_dword v12, v7, s[0:3], 0 offen offset:8
	;; [unrolled: 1-line block ×3, first 2 shown]
	v_add_u32_e32 v7, 16, v7
	s_cbranch_scc0 .LBB215_48
; %bb.49:                               ;   in Loop: Header=BB215_47 Depth=3
	s_add_i32 s8, s8, -1
	s_addk_i32 s10, 0xff00
	s_cmp_le_i32 s8, s6
	s_cbranch_scc0 .LBB215_47
.LBB215_50:                             ;   in Loop: Header=BB215_44 Depth=2
	s_mov_b32 s26, 0
	s_mov_b32 s27, s24
	s_branch .LBB215_52
.LBB215_51:                             ;   in Loop: Header=BB215_52 Depth=3
	s_mulk_i32 s10, 0x110
	v_mov_b32_e32 v7, s10
	ds_read_b128 v[10:13], v7
	s_lshl_b64 s[8:9], s[8:9], 4
	s_lshl_b32 s10, s26, 4
	s_add_i32 s26, s26, 1
	s_add_i32 s27, s27, -16
	s_waitcnt vmcnt(0) lgkmcnt(0)
	v_mul_f64 v[14:15], v[12:13], v[2:3]
	v_mul_f64 v[16:17], v[10:11], v[2:3]
	v_fma_f64 v[14:15], v[10:11], v[0:1], -v[14:15]
	v_fmac_f64_e32 v[16:17], v[12:13], v[0:1]
	v_mov_b32_e32 v1, s9
	v_add_co_u32_e32 v0, vcc, s8, v8
	v_add_u32_e32 v7, s10, v6
	v_addc_co_u32_e32 v1, vcc, v9, v1, vcc
	s_cmp_eq_u32 s26, s21
	buffer_store_dword v15, v7, s[0:3], 0 offen offset:4
	buffer_store_dword v14, v7, s[0:3], 0 offen
	buffer_store_dword v17, v7, s[0:3], 0 offen offset:12
	buffer_store_dword v16, v7, s[0:3], 0 offen offset:8
	global_store_dwordx4 v[0:1], v[14:17], off
	s_cbranch_scc1 .LBB215_43
.LBB215_52:                             ;   Parent Loop BB215_41 Depth=1
                                        ;     Parent Loop BB215_44 Depth=2
                                        ; =>    This Loop Header: Depth=3
                                        ;         Child Loop BB215_54 Depth 4
	s_cmp_lg_u32 s26, 0
	s_cbranch_scc0 .LBB215_56
; %bb.53:                               ;   in Loop: Header=BB215_52 Depth=3
	s_lshl_b32 s8, s26, 4
	v_add_u32_e32 v7, s8, v6
	buffer_load_dword v0, v7, s[0:3], 0 offen
	buffer_load_dword v1, v7, s[0:3], 0 offen offset:4
	buffer_load_dword v2, v7, s[0:3], 0 offen offset:8
	;; [unrolled: 1-line block ×3, first 2 shown]
	v_mov_b32_e32 v10, 0
	s_mov_b32 s8, 0
	s_mov_b32 s9, s27
.LBB215_54:                             ;   Parent Loop BB215_41 Depth=1
                                        ;     Parent Loop BB215_44 Depth=2
                                        ;       Parent Loop BB215_52 Depth=3
                                        ; =>      This Inner Loop Header: Depth=4
	buffer_load_dword v16, v10, s[0:3], 0 offen offset:8
	buffer_load_dword v17, v10, s[0:3], 0 offen offset:12
	buffer_load_dword v18, v10, s[0:3], 0 offen
	buffer_load_dword v19, v10, s[0:3], 0 offen offset:4
	v_mov_b32_e32 v11, s9
	ds_read_b128 v[12:15], v11
	s_add_i32 s8, s8, 1
	s_addk_i32 s9, 0xff00
	v_add_u32_e32 v10, 16, v10
	s_cmp_ge_u32 s8, s26
	s_waitcnt vmcnt(2) lgkmcnt(0)
	v_mul_f64 v[20:21], v[14:15], v[16:17]
	v_mul_f64 v[16:17], v[12:13], v[16:17]
	s_waitcnt vmcnt(0)
	v_fma_f64 v[12:13], v[12:13], v[18:19], -v[20:21]
	v_fmac_f64_e32 v[16:17], v[14:15], v[18:19]
	v_add_f64 v[0:1], v[0:1], -v[12:13]
	v_add_f64 v[2:3], v[2:3], -v[16:17]
	buffer_store_dword v0, v7, s[0:3], 0 offen
	buffer_store_dword v1, v7, s[0:3], 0 offen offset:4
	buffer_store_dword v2, v7, s[0:3], 0 offen offset:8
	;; [unrolled: 1-line block ×3, first 2 shown]
	s_cbranch_scc0 .LBB215_54
; %bb.55:                               ;   in Loop: Header=BB215_52 Depth=3
	s_sub_i32 s10, s6, s26
	s_ashr_i32 s11, s10, 31
	s_mov_b64 s[8:9], s[10:11]
	s_branch .LBB215_51
.LBB215_56:                             ;   in Loop: Header=BB215_52 Depth=3
                                        ; implicit-def: $vgpr0_vgpr1
                                        ; implicit-def: $vgpr2_vgpr3
                                        ; implicit-def: $sgpr10
                                        ; implicit-def: $sgpr8_sgpr9
	s_cbranch_execz .LBB215_51
; %bb.57:                               ;   in Loop: Header=BB215_52 Depth=3
	buffer_load_dword v0, off, s[0:3], 0
	buffer_load_dword v1, off, s[0:3], 0 offset:4
	buffer_load_dword v2, off, s[0:3], 0 offset:8
	;; [unrolled: 1-line block ×3, first 2 shown]
	s_mov_b64 s[8:9], s[6:7]
	s_mov_b32 s10, s6
	s_branch .LBB215_51
.LBB215_58:
	s_endpgm
	.section	.rodata,"a",@progbits
	.p2align	6, 0x0
	.amdhsa_kernel _ZL30rocblas_trsm_small_left_deviceILi16ELi16ELb0E19rocblas_complex_numIdES1_PKS1_PS1_Ev13rocblas_fill_18rocblas_operation_17rocblas_diagonal_iiT3_T4_lilT5_lili
		.amdhsa_group_segment_fixed_size 4096
		.amdhsa_private_segment_fixed_size 272
		.amdhsa_kernarg_size 368
		.amdhsa_user_sgpr_count 8
		.amdhsa_user_sgpr_private_segment_buffer 1
		.amdhsa_user_sgpr_dispatch_ptr 0
		.amdhsa_user_sgpr_queue_ptr 0
		.amdhsa_user_sgpr_kernarg_segment_ptr 1
		.amdhsa_user_sgpr_dispatch_id 0
		.amdhsa_user_sgpr_flat_scratch_init 1
		.amdhsa_user_sgpr_kernarg_preload_length 0
		.amdhsa_user_sgpr_kernarg_preload_offset 0
		.amdhsa_user_sgpr_private_segment_size 0
		.amdhsa_uses_dynamic_stack 0
		.amdhsa_system_sgpr_private_segment_wavefront_offset 1
		.amdhsa_system_sgpr_workgroup_id_x 1
		.amdhsa_system_sgpr_workgroup_id_y 0
		.amdhsa_system_sgpr_workgroup_id_z 1
		.amdhsa_system_sgpr_workgroup_info 0
		.amdhsa_system_vgpr_workitem_id 0
		.amdhsa_next_free_vgpr 26
		.amdhsa_next_free_sgpr 42
		.amdhsa_accum_offset 28
		.amdhsa_reserve_vcc 1
		.amdhsa_reserve_flat_scratch 0
		.amdhsa_float_round_mode_32 0
		.amdhsa_float_round_mode_16_64 0
		.amdhsa_float_denorm_mode_32 3
		.amdhsa_float_denorm_mode_16_64 3
		.amdhsa_dx10_clamp 1
		.amdhsa_ieee_mode 1
		.amdhsa_fp16_overflow 0
		.amdhsa_tg_split 0
		.amdhsa_exception_fp_ieee_invalid_op 0
		.amdhsa_exception_fp_denorm_src 0
		.amdhsa_exception_fp_ieee_div_zero 0
		.amdhsa_exception_fp_ieee_overflow 0
		.amdhsa_exception_fp_ieee_underflow 0
		.amdhsa_exception_fp_ieee_inexact 0
		.amdhsa_exception_int_div_zero 0
	.end_amdhsa_kernel
	.section	.text._ZL30rocblas_trsm_small_left_deviceILi16ELi16ELb0E19rocblas_complex_numIdES1_PKS1_PS1_Ev13rocblas_fill_18rocblas_operation_17rocblas_diagonal_iiT3_T4_lilT5_lili,"axG",@progbits,_ZL30rocblas_trsm_small_left_deviceILi16ELi16ELb0E19rocblas_complex_numIdES1_PKS1_PS1_Ev13rocblas_fill_18rocblas_operation_17rocblas_diagonal_iiT3_T4_lilT5_lili,comdat
.Lfunc_end215:
	.size	_ZL30rocblas_trsm_small_left_deviceILi16ELi16ELb0E19rocblas_complex_numIdES1_PKS1_PS1_Ev13rocblas_fill_18rocblas_operation_17rocblas_diagonal_iiT3_T4_lilT5_lili, .Lfunc_end215-_ZL30rocblas_trsm_small_left_deviceILi16ELi16ELb0E19rocblas_complex_numIdES1_PKS1_PS1_Ev13rocblas_fill_18rocblas_operation_17rocblas_diagonal_iiT3_T4_lilT5_lili
                                        ; -- End function
	.section	.AMDGPU.csdata,"",@progbits
; Kernel info:
; codeLenInByte = 3256
; NumSgprs: 46
; NumVgprs: 26
; NumAgprs: 0
; TotalNumVgprs: 26
; ScratchSize: 272
; MemoryBound: 0
; FloatMode: 240
; IeeeMode: 1
; LDSByteSize: 4096 bytes/workgroup (compile time only)
; SGPRBlocks: 5
; VGPRBlocks: 3
; NumSGPRsForWavesPerEU: 46
; NumVGPRsForWavesPerEU: 26
; AccumOffset: 28
; Occupancy: 4
; WaveLimiterHint : 0
; COMPUTE_PGM_RSRC2:SCRATCH_EN: 1
; COMPUTE_PGM_RSRC2:USER_SGPR: 8
; COMPUTE_PGM_RSRC2:TRAP_HANDLER: 0
; COMPUTE_PGM_RSRC2:TGID_X_EN: 1
; COMPUTE_PGM_RSRC2:TGID_Y_EN: 0
; COMPUTE_PGM_RSRC2:TGID_Z_EN: 1
; COMPUTE_PGM_RSRC2:TIDIG_COMP_CNT: 0
; COMPUTE_PGM_RSRC3_GFX90A:ACCUM_OFFSET: 6
; COMPUTE_PGM_RSRC3_GFX90A:TG_SPLIT: 0
	.section	.text._ZL38rocblas_trsm_small_left_device_sharedBILi16ELi16ELb1E19rocblas_complex_numIdES1_PKS1_PS1_Ev13rocblas_fill_18rocblas_operation_17rocblas_diagonal_iiT3_T4_lilT5_lili,"axG",@progbits,_ZL38rocblas_trsm_small_left_device_sharedBILi16ELi16ELb1E19rocblas_complex_numIdES1_PKS1_PS1_Ev13rocblas_fill_18rocblas_operation_17rocblas_diagonal_iiT3_T4_lilT5_lili,comdat
	.globl	_ZL38rocblas_trsm_small_left_device_sharedBILi16ELi16ELb1E19rocblas_complex_numIdES1_PKS1_PS1_Ev13rocblas_fill_18rocblas_operation_17rocblas_diagonal_iiT3_T4_lilT5_lili ; -- Begin function _ZL38rocblas_trsm_small_left_device_sharedBILi16ELi16ELb1E19rocblas_complex_numIdES1_PKS1_PS1_Ev13rocblas_fill_18rocblas_operation_17rocblas_diagonal_iiT3_T4_lilT5_lili
	.p2align	8
	.type	_ZL38rocblas_trsm_small_left_device_sharedBILi16ELi16ELb1E19rocblas_complex_numIdES1_PKS1_PS1_Ev13rocblas_fill_18rocblas_operation_17rocblas_diagonal_iiT3_T4_lilT5_lili,@function
_ZL38rocblas_trsm_small_left_device_sharedBILi16ELi16ELb1E19rocblas_complex_numIdES1_PKS1_PS1_Ev13rocblas_fill_18rocblas_operation_17rocblas_diagonal_iiT3_T4_lilT5_lili: ; @_ZL38rocblas_trsm_small_left_device_sharedBILi16ELi16ELb1E19rocblas_complex_numIdES1_PKS1_PS1_Ev13rocblas_fill_18rocblas_operation_17rocblas_diagonal_iiT3_T4_lilT5_lili
; %bb.0:
	s_add_u32 s0, s0, s10
	s_load_dwordx4 s[24:27], s[4:5], 0x4
	s_load_dwordx8 s[12:19], s[4:5], 0x18
	s_load_dwordx4 s[20:23], s[4:5], 0x40
	s_load_dwordx2 s[10:11], s[4:5], 0x50
	s_load_dword s39, s[4:5], 0x70
	s_addc_u32 s1, s1, 0
	s_waitcnt lgkmcnt(0)
	s_min_i32 s33, s26, 16
	s_mov_b32 s40, 0
	s_add_i32 s38, s33, -1
	v_cmp_gt_i32_e32 vcc, s33, v0
	s_and_saveexec_b64 s[28:29], vcc
	s_cbranch_execz .LBB216_15
; %bb.1:
	s_load_dword s30, s[4:5], 0x38
	s_mul_i32 s41, s21, s9
	s_mul_hi_u32 s42, s20, s9
	s_mul_i32 s20, s20, s9
	s_waitcnt lgkmcnt(0)
	s_ashr_i32 s31, s30, 31
	s_cmpk_eq_i32 s24, 0x71
	s_cselect_b64 vcc, -1, 0
	s_cmp_lt_u32 s38, 3
	s_cbranch_scc1 .LBB216_4
; %bb.2:
	s_add_i32 s21, s42, s41
	s_and_b32 s40, s33, -4
	s_lshl_b64 s[6:7], s[20:21], 4
	s_lshl_b64 s[34:35], s[18:19], 4
	s_add_u32 s6, s6, s34
	s_addc_u32 s7, s7, s35
	s_add_u32 s6, s16, s6
	v_lshlrev_b32_e32 v2, 4, v0
	s_addc_u32 s7, s17, s7
	v_mov_b32_e32 v3, s7
	v_add_co_u32_e64 v2, s[6:7], s6, v2
	v_addc_co_u32_e64 v3, s[6:7], 0, v3, s[6:7]
	v_add_co_u32_e64 v2, s[6:7], 8, v2
	s_lshl_b64 s[34:35], s[30:31], 6
	s_lshl_b64 s[36:37], s[30:31], 4
	v_lshlrev_b32_e32 v1, 4, v0
	v_addc_co_u32_e64 v3, s[6:7], 0, v3, s[6:7]
	s_mov_b32 s21, 0
	v_mov_b32_e32 v4, s37
	v_mov_b32_e32 v5, s35
.LBB216_3:                              ; =>This Inner Loop Header: Depth=1
	v_add_co_u32_e64 v18, s[6:7], s36, v2
	v_addc_co_u32_e64 v19, s[6:7], v3, v4, s[6:7]
	v_add_co_u32_e64 v20, s[6:7], s36, v18
	global_load_dwordx4 v[6:9], v[2:3], off offset:-8
	v_addc_co_u32_e64 v21, s[6:7], v19, v4, s[6:7]
	global_load_dwordx4 v[10:13], v[18:19], off offset:-8
	global_load_dwordx4 v[14:17], v[20:21], off offset:-8
	v_add_co_u32_e64 v18, s[6:7], s36, v20
	v_addc_co_u32_e64 v19, s[6:7], v21, v4, s[6:7]
	global_load_dwordx4 v[18:21], v[18:19], off offset:-8
	s_add_i32 s21, s21, 4
	v_add_co_u32_e64 v2, s[6:7], s34, v2
	s_cmp_eq_u32 s40, s21
	v_addc_co_u32_e64 v3, s[6:7], v3, v5, s[6:7]
	s_waitcnt vmcnt(3)
	v_xor_b32_e32 v22, 0x80000000, v9
	v_cndmask_b32_e32 v9, v9, v22, vcc
	ds_write_b128 v1, v[6:9]
	s_waitcnt vmcnt(1)
	v_xor_b32_e32 v6, 0x80000000, v17
	v_xor_b32_e32 v22, 0x80000000, v13
	v_cndmask_b32_e32 v17, v17, v6, vcc
	v_cndmask_b32_e32 v13, v13, v22, vcc
	ds_write_b128 v1, v[10:13] offset:256
	s_waitcnt vmcnt(0)
	v_xor_b32_e32 v6, 0x80000000, v21
	v_cndmask_b32_e32 v21, v21, v6, vcc
	ds_write_b128 v1, v[14:17] offset:512
	ds_write_b128 v1, v[18:21] offset:768
	v_add_u32_e32 v1, 0x400, v1
	s_cbranch_scc0 .LBB216_3
.LBB216_4:
	s_and_b32 s34, s33, 3
	s_cmp_eq_u32 s34, 0
	s_cbranch_scc1 .LBB216_7
; %bb.5:
	s_add_i32 s21, s42, s41
	s_lshl_b64 s[6:7], s[20:21], 4
	s_mul_i32 s20, s31, s40
	s_mul_hi_u32 s21, s30, s40
	s_add_i32 s21, s21, s20
	s_mul_i32 s20, s30, s40
	s_lshl_b64 s[20:21], s[20:21], 4
	s_add_u32 s20, s6, s20
	s_addc_u32 s21, s7, s21
	s_lshl_b64 s[6:7], s[18:19], 4
	s_add_u32 s6, s20, s6
	s_addc_u32 s7, s21, s7
	s_add_u32 s6, s16, s6
	v_lshlrev_b32_e32 v2, 4, v0
	s_addc_u32 s7, s17, s7
	v_lshl_or_b32 v1, s40, 8, v2
	v_mov_b32_e32 v3, s7
	v_add_co_u32_e64 v2, s[6:7], s6, v2
	v_addc_co_u32_e64 v3, s[6:7], 0, v3, s[6:7]
	v_add_co_u32_e64 v2, s[6:7], 8, v2
	s_lshl_b64 s[16:17], s[30:31], 4
	v_addc_co_u32_e64 v3, s[6:7], 0, v3, s[6:7]
	v_mov_b32_e32 v4, s17
.LBB216_6:                              ; =>This Inner Loop Header: Depth=1
	global_load_dwordx4 v[6:9], v[2:3], off offset:-8
	v_add_co_u32_e64 v2, s[6:7], s16, v2
	s_add_i32 s34, s34, -1
	v_addc_co_u32_e64 v3, s[6:7], v3, v4, s[6:7]
	s_cmp_lg_u32 s34, 0
	s_waitcnt vmcnt(0)
	v_xor_b32_e32 v5, 0x80000000, v9
	v_cndmask_b32_e32 v9, v9, v5, vcc
	ds_write_b128 v1, v[6:9]
	v_add_u32_e32 v1, 0x100, v1
	s_cbranch_scc1 .LBB216_6
.LBB216_7:
	v_mul_u32_u24_e32 v1, 17, v0
	s_cmpk_lg_i32 s25, 0x84
	v_lshlrev_b32_e32 v1, 4, v1
	s_cbranch_scc0 .LBB216_13
; %bb.8:
	ds_read_b128 v[2:5], v1
	s_waitcnt lgkmcnt(0)
	v_xor_b32_e32 v7, 0x80000000, v3
	v_cmp_gt_f64_e32 vcc, 0, v[2:3]
	v_xor_b32_e32 v8, 0x80000000, v5
	v_cndmask_b32_e32 v7, v3, v7, vcc
	v_cmp_gt_f64_e32 vcc, 0, v[4:5]
	v_mov_b32_e32 v6, v2
	v_cndmask_b32_e32 v9, v5, v8, vcc
	v_mov_b32_e32 v8, v4
	v_cmp_ngt_f64_e32 vcc, v[6:7], v[8:9]
                                        ; implicit-def: $vgpr8_vgpr9
	s_and_saveexec_b64 s[6:7], vcc
	s_xor_b64 s[6:7], exec, s[6:7]
	s_cbranch_execz .LBB216_10
; %bb.9:
	v_div_scale_f64 v[6:7], s[16:17], v[4:5], v[4:5], v[2:3]
	v_rcp_f64_e32 v[8:9], v[6:7]
	v_div_scale_f64 v[10:11], vcc, v[2:3], v[4:5], v[2:3]
	v_fma_f64 v[12:13], -v[6:7], v[8:9], 1.0
	v_fmac_f64_e32 v[8:9], v[8:9], v[12:13]
	v_fma_f64 v[12:13], -v[6:7], v[8:9], 1.0
	v_fmac_f64_e32 v[8:9], v[8:9], v[12:13]
	v_mul_f64 v[12:13], v[10:11], v[8:9]
	v_fma_f64 v[6:7], -v[6:7], v[12:13], v[10:11]
	v_div_fmas_f64 v[6:7], v[6:7], v[8:9], v[12:13]
	v_div_fixup_f64 v[8:9], v[6:7], v[4:5], v[2:3]
	v_fmac_f64_e32 v[4:5], v[2:3], v[8:9]
	v_div_scale_f64 v[2:3], s[16:17], v[4:5], v[4:5], 1.0
	v_rcp_f64_e32 v[6:7], v[2:3]
	v_fma_f64 v[10:11], -v[2:3], v[6:7], 1.0
	v_fmac_f64_e32 v[6:7], v[6:7], v[10:11]
	v_fma_f64 v[10:11], -v[2:3], v[6:7], 1.0
	v_fmac_f64_e32 v[6:7], v[6:7], v[10:11]
	v_div_scale_f64 v[10:11], vcc, 1.0, v[4:5], 1.0
	v_mul_f64 v[12:13], v[10:11], v[6:7]
	v_fma_f64 v[2:3], -v[2:3], v[12:13], v[10:11]
	s_nop 1
	v_div_fmas_f64 v[2:3], v[2:3], v[6:7], v[12:13]
	v_div_fixup_f64 v[2:3], v[2:3], v[4:5], 1.0
	v_add_f64 v[4:5], v[8:9], 0
	v_mul_f64 v[6:7], v[4:5], v[2:3]
	v_fma_f64 v[4:5], v[8:9], 0, -1.0
	v_mul_f64 v[8:9], v[4:5], v[2:3]
                                        ; implicit-def: $vgpr2_vgpr3
.LBB216_10:
	s_andn2_saveexec_b64 s[6:7], s[6:7]
	s_cbranch_execz .LBB216_12
; %bb.11:
	v_div_scale_f64 v[6:7], s[16:17], v[2:3], v[2:3], v[4:5]
	v_rcp_f64_e32 v[8:9], v[6:7]
	v_div_scale_f64 v[10:11], vcc, v[4:5], v[2:3], v[4:5]
	v_fma_f64 v[12:13], -v[6:7], v[8:9], 1.0
	v_fmac_f64_e32 v[8:9], v[8:9], v[12:13]
	v_fma_f64 v[12:13], -v[6:7], v[8:9], 1.0
	v_fmac_f64_e32 v[8:9], v[8:9], v[12:13]
	v_mul_f64 v[12:13], v[10:11], v[8:9]
	v_fma_f64 v[6:7], -v[6:7], v[12:13], v[10:11]
	v_div_fmas_f64 v[6:7], v[6:7], v[8:9], v[12:13]
	v_div_fixup_f64 v[8:9], v[6:7], v[2:3], v[4:5]
	v_fmac_f64_e32 v[2:3], v[4:5], v[8:9]
	v_div_scale_f64 v[4:5], s[16:17], v[2:3], v[2:3], 1.0
	v_rcp_f64_e32 v[6:7], v[4:5]
	v_fma_f64 v[10:11], -v[4:5], v[6:7], 1.0
	v_fmac_f64_e32 v[6:7], v[6:7], v[10:11]
	v_fma_f64 v[10:11], -v[4:5], v[6:7], 1.0
	v_fmac_f64_e32 v[6:7], v[6:7], v[10:11]
	v_div_scale_f64 v[10:11], vcc, 1.0, v[2:3], 1.0
	v_mul_f64 v[12:13], v[10:11], v[6:7]
	v_fma_f64 v[4:5], -v[4:5], v[12:13], v[10:11]
	s_nop 1
	v_div_fmas_f64 v[4:5], v[4:5], v[6:7], v[12:13]
	v_div_fixup_f64 v[2:3], v[4:5], v[2:3], 1.0
	v_fma_f64 v[4:5], v[8:9], 0, 1.0
	v_mul_f64 v[6:7], v[4:5], v[2:3]
	v_add_f64 v[4:5], -v[8:9], 0
	v_mul_f64 v[8:9], v[4:5], v[2:3]
.LBB216_12:
	s_or_b64 exec, exec, s[6:7]
	s_branch .LBB216_14
.LBB216_13:
	v_mov_b32_e32 v6, 0
	v_mov_b32_e32 v7, 0x3ff00000
	v_pk_mov_b32 v[8:9], 0, 0
.LBB216_14:
	ds_write_b128 v1, v[6:9]
.LBB216_15:
	s_or_b64 exec, exec, s[28:29]
	s_load_dword s25, s[4:5], 0x58
	s_load_dwordx2 s[6:7], s[4:5], 0x60
	s_waitcnt lgkmcnt(0)
	s_ashr_i32 s28, s25, 31
	s_mul_i32 s5, s9, s7
	s_mul_hi_u32 s7, s9, s6
	s_mul_i32 s4, s9, s6
	s_add_i32 s5, s7, s5
	s_lshl_b64 s[4:5], s[4:5], 4
	s_add_u32 s9, s22, s4
	s_addc_u32 s16, s23, s5
	s_lshl_b64 s[6:7], s[10:11], 4
	s_add_u32 s17, s9, s6
	s_addc_u32 s16, s16, s7
	s_lshl_b32 s10, s8, 4
	s_add_i32 s39, s39, -1
	s_sub_i32 s9, s27, s10
	s_cmp_ge_u32 s8, s39
	s_cselect_b32 s18, s9, 16
	s_mul_hi_i32 s9, s25, s10
	s_mul_i32 s8, s25, s10
	s_ashr_i32 s11, s10, 31
	s_lshl_b64 s[8:9], s[8:9], 4
	s_add_u32 s27, s17, s8
	s_addc_u32 s29, s16, s9
	s_cmp_gt_i32 s26, 0
	v_cmp_gt_i32_e32 vcc, s18, v0
	s_cselect_b64 s[8:9], -1, 0
	s_mov_b32 s18, 0
	s_and_b64 s[8:9], vcc, s[8:9]
	s_and_saveexec_b64 s[16:17], s[8:9]
	s_cbranch_execz .LBB216_22
; %bb.16:
	s_cmp_lt_i32 s26, 8
	s_cbranch_scc1 .LBB216_19
; %bb.17:
	v_mad_i64_i32 v[2:3], s[18:19], s25, v0, 0
	v_lshlrev_b64 v[2:3], 4, v[2:3]
	v_mov_b32_e32 v4, s29
	v_add_co_u32_e32 v1, vcc, s27, v2
	v_addc_co_u32_e32 v2, vcc, v4, v3, vcc
	v_mov_b32_e32 v3, 0x1000
	s_lshl_b32 s18, s33, 4
	v_lshl_or_b32 v3, v0, 4, v3
	s_and_b32 s19, s18, 0x180
	s_mov_b32 s18, 0
	s_mov_b64 s[20:21], 0
.LBB216_18:                             ; =>This Inner Loop Header: Depth=1
	v_mov_b32_e32 v4, s21
	v_add_co_u32_e32 v36, vcc, s20, v1
	v_addc_co_u32_e32 v37, vcc, v2, v4, vcc
	global_load_dwordx4 v[4:7], v[36:37], off
	global_load_dwordx4 v[8:11], v[36:37], off offset:16
	global_load_dwordx4 v[12:15], v[36:37], off offset:32
	;; [unrolled: 1-line block ×7, first 2 shown]
	s_add_i32 s18, s18, 8
	s_add_u32 s20, s20, 0x80
	s_addc_u32 s21, s21, 0
	s_cmp_lg_u32 s19, s20
	s_waitcnt vmcnt(7)
	v_mul_f64 v[38:39], s[14:15], v[6:7]
	v_mul_f64 v[36:37], s[12:13], v[6:7]
	s_waitcnt vmcnt(6)
	v_mul_f64 v[40:41], s[14:15], v[10:11]
	v_mul_f64 v[6:7], s[12:13], v[10:11]
	;; [unrolled: 3-line block ×8, first 2 shown]
	v_fma_f64 v[34:35], s[12:13], v[4:5], -v[38:39]
	v_fmac_f64_e32 v[36:37], s[14:15], v[4:5]
	v_fma_f64 v[4:5], s[12:13], v[8:9], -v[40:41]
	v_fmac_f64_e32 v[6:7], s[14:15], v[8:9]
	;; [unrolled: 2-line block ×8, first 2 shown]
	ds_write_b128 v3, v[34:37]
	ds_write_b128 v3, v[4:7] offset:256
	ds_write_b128 v3, v[8:11] offset:512
	;; [unrolled: 1-line block ×7, first 2 shown]
	v_add_u32_e32 v3, 0x800, v3
	s_cbranch_scc1 .LBB216_18
.LBB216_19:
	s_and_b32 s20, s33, 7
	s_cmp_eq_u32 s20, 0
	s_mov_b32 s19, 0
	s_cbranch_scc1 .LBB216_22
; %bb.20:
	v_lshlrev_b32_e32 v2, 4, v0
	v_lshl_or_b32 v1, s18, 8, v2
	s_lshl_b64 s[30:31], s[10:11], 4
	s_lshl_b64 s[18:19], s[18:19], 4
	s_add_u32 s18, s22, s18
	s_addc_u32 s19, s23, s19
	s_add_u32 s18, s18, s6
	s_addc_u32 s19, s19, s7
	s_add_u32 s18, s18, s4
	v_mov_b32_e32 v3, s31
	v_add_co_u32_e32 v4, vcc, s30, v2
	s_addc_u32 s19, s19, s5
	v_addc_co_u32_e32 v5, vcc, 0, v3, vcc
	v_pk_mov_b32 v[2:3], s[18:19], s[18:19] op_sel:[0,1]
	v_mad_u64_u32 v[2:3], s[18:19], v4, s25, v[2:3]
	v_mul_lo_u32 v4, v4, s28
	v_mul_lo_u32 v5, v5, s25
	v_add3_u32 v3, v5, v3, v4
	v_add_co_u32_e32 v2, vcc, 8, v2
	v_add_u32_e32 v1, 0x1000, v1
	v_addc_co_u32_e32 v3, vcc, 0, v3, vcc
.LBB216_21:                             ; =>This Inner Loop Header: Depth=1
	global_load_dwordx4 v[4:7], v[2:3], off offset:-8
	v_add_co_u32_e32 v2, vcc, 16, v2
	s_add_i32 s20, s20, -1
	v_addc_co_u32_e32 v3, vcc, 0, v3, vcc
	s_cmp_lg_u32 s20, 0
	s_waitcnt vmcnt(0)
	v_mul_f64 v[10:11], s[14:15], v[6:7]
	v_mul_f64 v[8:9], s[12:13], v[6:7]
	v_fma_f64 v[6:7], s[12:13], v[4:5], -v[10:11]
	v_fmac_f64_e32 v[8:9], s[14:15], v[4:5]
	ds_write_b128 v1, v[6:9]
	v_add_u32_e32 v1, 0x100, v1
	s_cbranch_scc1 .LBB216_21
.LBB216_22:
	s_or_b64 exec, exec, s[16:17]
	s_cmpk_eq_i32 s24, 0x6f
	s_mov_b64 s[12:13], -1
	s_waitcnt lgkmcnt(0)
	; wave barrier
	s_waitcnt lgkmcnt(0)
	s_cbranch_scc1 .LBB216_43
; %bb.23:
	v_mov_b32_e32 v1, 0x1000
	s_lshl_b32 s16, s33, 4
	s_mov_b32 s13, 0
	v_lshl_or_b32 v1, v0, 4, v1
	s_add_i32 s16, s16, -16
	v_lshlrev_b32_e32 v6, 4, v0
	v_mov_b32_e32 v7, 0
	s_mov_b32 s12, s13
	s_mov_b32 s17, s38
	s_branch .LBB216_25
.LBB216_24:                             ;   in Loop: Header=BB216_25 Depth=1
	s_cmp_lt_i32 s17, 0
	s_cselect_b64 s[14:15], -1, 0
	s_add_i32 s12, s12, 1
	s_cmp_eq_u32 s12, 3
	s_cselect_b64 s[18:19], -1, 0
	s_or_b64 s[14:15], s[14:15], s[18:19]
	s_andn2_b64 vcc, exec, s[14:15]
	s_cbranch_vccz .LBB216_42
.LBB216_25:                             ; =>This Loop Header: Depth=1
                                        ;     Child Loop BB216_28 Depth 2
                                        ;       Child Loop BB216_29 Depth 3
                                        ;       Child Loop BB216_31 Depth 3
                                        ;         Child Loop BB216_32 Depth 4
                                        ;       Child Loop BB216_36 Depth 3
                                        ;         Child Loop BB216_38 Depth 4
	s_lshl_b64 s[14:15], s[12:13], 2
	s_getpc_b64 s[18:19]
	s_add_u32 s18, s18, __const._ZL38rocblas_trsm_small_left_device_sharedBILi16ELi16ELb1E19rocblas_complex_numIdES1_PKS1_PS1_Ev13rocblas_fill_18rocblas_operation_17rocblas_diagonal_iiT3_T4_lilT5_lili.step_sizes@rel32@lo+4
	s_addc_u32 s19, s19, __const._ZL38rocblas_trsm_small_left_device_sharedBILi16ELi16ELb1E19rocblas_complex_numIdES1_PKS1_PS1_Ev13rocblas_fill_18rocblas_operation_17rocblas_diagonal_iiT3_T4_lilT5_lili.step_sizes@rel32@hi+12
	s_add_u32 s14, s14, s18
	s_addc_u32 s15, s15, s19
	s_load_dword s18, s[14:15], 0x0
	s_waitcnt lgkmcnt(0)
	s_add_i32 s19, s18, -1
	s_cmp_lt_i32 s17, s19
	s_cbranch_scc1 .LBB216_24
; %bb.26:                               ;   in Loop: Header=BB216_25 Depth=1
	s_lshl_b32 s14, s17, 8
	s_lshl_b32 s15, s18, 8
	s_max_i32 s20, s18, 1
	v_add_u32_e32 v8, s14, v1
	s_sub_i32 s21, 0, s15
	s_add_i32 s24, s16, s14
	s_mul_i32 s30, s17, 0x110
	s_mul_i32 s31, s18, 0xfffffef0
	s_branch .LBB216_28
.LBB216_27:                             ;   in Loop: Header=BB216_28 Depth=2
	s_sub_i32 s17, s17, s18
	s_add_i32 s24, s24, s21
	s_add_i32 s30, s30, s31
	s_cmp_lt_i32 s17, s19
	v_add_u32_e32 v8, s21, v8
	s_cbranch_scc1 .LBB216_24
.LBB216_28:                             ;   Parent Loop BB216_25 Depth=1
                                        ; =>  This Loop Header: Depth=2
                                        ;       Child Loop BB216_29 Depth 3
                                        ;       Child Loop BB216_31 Depth 3
                                        ;         Child Loop BB216_32 Depth 4
                                        ;       Child Loop BB216_36 Depth 3
                                        ;         Child Loop BB216_38 Depth 4
	v_mov_b32_e32 v2, 0
	v_mov_b32_e32 v3, v8
	s_mov_b32 s14, s20
.LBB216_29:                             ;   Parent Loop BB216_25 Depth=1
                                        ;     Parent Loop BB216_28 Depth=2
                                        ; =>    This Inner Loop Header: Depth=3
	ds_read_b128 v[10:13], v3
	s_add_i32 s14, s14, -1
	v_add_u32_e32 v3, 0xffffff00, v3
	s_cmp_eq_u32 s14, 0
	s_waitcnt lgkmcnt(0)
	buffer_store_dword v13, v2, s[0:3], 0 offen offset:12
	buffer_store_dword v12, v2, s[0:3], 0 offen offset:8
	;; [unrolled: 1-line block ×3, first 2 shown]
	buffer_store_dword v10, v2, s[0:3], 0 offen
	v_add_u32_e32 v2, 16, v2
	s_cbranch_scc0 .LBB216_29
; %bb.30:                               ;   in Loop: Header=BB216_28 Depth=2
	s_cmp_le_i32 s38, s17
	s_mov_b32 s14, s24
	s_mov_b32 s15, s38
	s_cbranch_scc1 .LBB216_34
.LBB216_31:                             ;   Parent Loop BB216_25 Depth=1
                                        ;     Parent Loop BB216_28 Depth=2
                                        ; =>    This Loop Header: Depth=3
                                        ;         Child Loop BB216_32 Depth 4
	v_lshl_or_b32 v2, s15, 8, v6
	ds_read_b128 v[2:5], v2 offset:4096
	v_mov_b32_e32 v9, 0
	s_mov_b32 s34, s14
	s_mov_b32 s35, s20
.LBB216_32:                             ;   Parent Loop BB216_25 Depth=1
                                        ;     Parent Loop BB216_28 Depth=2
                                        ;       Parent Loop BB216_31 Depth=3
                                        ; =>      This Inner Loop Header: Depth=4
	buffer_load_dword v14, v9, s[0:3], 0 offen
	buffer_load_dword v15, v9, s[0:3], 0 offen offset:4
	buffer_load_dword v16, v9, s[0:3], 0 offen offset:8
	;; [unrolled: 1-line block ×3, first 2 shown]
	v_mov_b32_e32 v10, s34
	ds_read_b128 v[10:13], v10
	s_add_i32 s35, s35, -1
	s_addk_i32 s34, 0xff00
	s_cmp_eq_u32 s35, 0
	s_waitcnt lgkmcnt(0)
	v_mul_f64 v[18:19], v[4:5], v[12:13]
	v_mul_f64 v[12:13], v[2:3], v[12:13]
	v_fma_f64 v[18:19], v[2:3], v[10:11], -v[18:19]
	v_fmac_f64_e32 v[12:13], v[4:5], v[10:11]
	s_waitcnt vmcnt(2)
	v_add_f64 v[10:11], v[14:15], -v[18:19]
	s_waitcnt vmcnt(0)
	v_add_f64 v[12:13], v[16:17], -v[12:13]
	buffer_store_dword v10, v9, s[0:3], 0 offen
	buffer_store_dword v11, v9, s[0:3], 0 offen offset:4
	buffer_store_dword v12, v9, s[0:3], 0 offen offset:8
	;; [unrolled: 1-line block ×3, first 2 shown]
	v_add_u32_e32 v9, 16, v9
	s_cbranch_scc0 .LBB216_32
; %bb.33:                               ;   in Loop: Header=BB216_31 Depth=3
	s_add_i32 s15, s15, -1
	s_add_i32 s14, s14, -16
	s_cmp_le_i32 s15, s17
	s_cbranch_scc0 .LBB216_31
.LBB216_34:                             ;   in Loop: Header=BB216_28 Depth=2
	s_lshl_b32 s34, s17, 4
	s_mov_b32 s35, 0
	s_mov_b32 s36, s30
	s_branch .LBB216_36
.LBB216_35:                             ;   in Loop: Header=BB216_36 Depth=3
	s_mul_i32 s14, s39, 0x110
	v_mov_b32_e32 v9, s14
	ds_read_b128 v[10:13], v9
	s_lshl_b32 s14, s35, 4
	s_add_i32 s35, s35, 1
	s_addk_i32 s36, 0xff00
	v_add_u32_e32 v9, s14, v7
	s_waitcnt vmcnt(0) lgkmcnt(0)
	v_mul_f64 v[14:15], v[12:13], v[4:5]
	v_mul_f64 v[16:17], v[10:11], v[4:5]
	v_fma_f64 v[14:15], v[10:11], v[2:3], -v[14:15]
	v_fmac_f64_e32 v[16:17], v[12:13], v[2:3]
	v_add_lshl_u32 v2, s37, v0, 4
	s_cmp_eq_u32 s35, s20
	buffer_store_dword v15, v9, s[0:3], 0 offen offset:4
	buffer_store_dword v14, v9, s[0:3], 0 offen
	buffer_store_dword v17, v9, s[0:3], 0 offen offset:12
	buffer_store_dword v16, v9, s[0:3], 0 offen offset:8
	ds_write_b128 v2, v[14:17] offset:4096
	s_cbranch_scc1 .LBB216_27
.LBB216_36:                             ;   Parent Loop BB216_25 Depth=1
                                        ;     Parent Loop BB216_28 Depth=2
                                        ; =>    This Loop Header: Depth=3
                                        ;         Child Loop BB216_38 Depth 4
	s_cmp_lg_u32 s35, 0
	s_cbranch_scc0 .LBB216_40
; %bb.37:                               ;   in Loop: Header=BB216_36 Depth=3
	s_lshl_b32 s14, s35, 4
	v_add_u32_e32 v9, s14, v7
	buffer_load_dword v2, v9, s[0:3], 0 offen
	buffer_load_dword v3, v9, s[0:3], 0 offen offset:4
	buffer_load_dword v4, v9, s[0:3], 0 offen offset:8
	buffer_load_dword v5, v9, s[0:3], 0 offen offset:12
	s_sub_i32 s39, s17, s35
	s_lshl_b32 s37, s39, 4
	v_mov_b32_e32 v10, 0
	s_mov_b32 s14, 0
	s_mov_b32 s15, s36
.LBB216_38:                             ;   Parent Loop BB216_25 Depth=1
                                        ;     Parent Loop BB216_28 Depth=2
                                        ;       Parent Loop BB216_36 Depth=3
                                        ; =>      This Inner Loop Header: Depth=4
	buffer_load_dword v16, v10, s[0:3], 0 offen offset:8
	buffer_load_dword v17, v10, s[0:3], 0 offen offset:12
	buffer_load_dword v18, v10, s[0:3], 0 offen
	buffer_load_dword v19, v10, s[0:3], 0 offen offset:4
	v_mov_b32_e32 v11, s15
	ds_read_b128 v[12:15], v11
	s_add_i32 s14, s14, 1
	s_add_i32 s15, s15, -16
	v_add_u32_e32 v10, 16, v10
	s_cmp_ge_u32 s14, s35
	s_waitcnt vmcnt(2) lgkmcnt(0)
	v_mul_f64 v[20:21], v[14:15], v[16:17]
	v_mul_f64 v[16:17], v[12:13], v[16:17]
	s_waitcnt vmcnt(0)
	v_fma_f64 v[12:13], v[12:13], v[18:19], -v[20:21]
	v_fmac_f64_e32 v[16:17], v[14:15], v[18:19]
	v_add_f64 v[2:3], v[2:3], -v[12:13]
	v_add_f64 v[4:5], v[4:5], -v[16:17]
	buffer_store_dword v2, v9, s[0:3], 0 offen
	buffer_store_dword v3, v9, s[0:3], 0 offen offset:4
	buffer_store_dword v4, v9, s[0:3], 0 offen offset:8
	;; [unrolled: 1-line block ×3, first 2 shown]
	s_cbranch_scc0 .LBB216_38
; %bb.39:                               ;   in Loop: Header=BB216_36 Depth=3
	s_branch .LBB216_35
.LBB216_40:                             ;   in Loop: Header=BB216_36 Depth=3
                                        ; implicit-def: $vgpr2_vgpr3
                                        ; implicit-def: $vgpr4_vgpr5
                                        ; implicit-def: $sgpr39
                                        ; implicit-def: $sgpr37
	s_cbranch_execz .LBB216_35
; %bb.41:                               ;   in Loop: Header=BB216_36 Depth=3
	buffer_load_dword v2, off, s[0:3], 0
	buffer_load_dword v3, off, s[0:3], 0 offset:4
	buffer_load_dword v4, off, s[0:3], 0 offset:8
	;; [unrolled: 1-line block ×3, first 2 shown]
	s_mov_b32 s37, s34
	s_mov_b32 s39, s17
	s_branch .LBB216_35
.LBB216_42:
	s_mov_b64 s[12:13], 0
.LBB216_43:
	s_and_b64 vcc, exec, s[12:13]
	s_cbranch_vccz .LBB216_64
; %bb.44:
	v_mov_b32_e32 v1, 0x1000
	s_mov_b32 s13, 0
	v_lshl_or_b32 v1, v0, 4, v1
	v_lshlrev_b32_e32 v6, 4, v0
	v_mov_b32_e32 v7, 0
	s_mov_b32 s12, s13
	s_mov_b32 s16, s13
	s_branch .LBB216_46
.LBB216_45:                             ;   in Loop: Header=BB216_46 Depth=1
	s_cmp_ge_i32 s16, s33
	s_cselect_b64 s[14:15], -1, 0
	s_add_i32 s12, s12, 1
	s_cmp_eq_u32 s12, 3
	s_cselect_b64 s[18:19], -1, 0
	s_or_b64 s[14:15], s[14:15], s[18:19]
	s_and_b64 vcc, exec, s[14:15]
	s_cbranch_vccnz .LBB216_64
.LBB216_46:                             ; =>This Loop Header: Depth=1
                                        ;     Child Loop BB216_49 Depth 2
                                        ;       Child Loop BB216_50 Depth 3
                                        ;       Child Loop BB216_53 Depth 3
                                        ;         Child Loop BB216_54 Depth 4
                                        ;       Child Loop BB216_58 Depth 3
                                        ;         Child Loop BB216_60 Depth 4
	s_lshl_b64 s[14:15], s[12:13], 2
	s_getpc_b64 s[18:19]
	s_add_u32 s18, s18, __const._ZL38rocblas_trsm_small_left_device_sharedBILi16ELi16ELb1E19rocblas_complex_numIdES1_PKS1_PS1_Ev13rocblas_fill_18rocblas_operation_17rocblas_diagonal_iiT3_T4_lilT5_lili.step_sizes@rel32@lo+4
	s_addc_u32 s19, s19, __const._ZL38rocblas_trsm_small_left_device_sharedBILi16ELi16ELb1E19rocblas_complex_numIdES1_PKS1_PS1_Ev13rocblas_fill_18rocblas_operation_17rocblas_diagonal_iiT3_T4_lilT5_lili.step_sizes@rel32@hi+12
	s_add_u32 s14, s14, s18
	s_addc_u32 s15, s15, s19
	s_load_dword s17, s[14:15], 0x0
	s_waitcnt lgkmcnt(0)
	s_add_i32 s18, s17, -1
	s_add_i32 s14, s18, s16
	s_cmp_ge_i32 s14, s33
	s_cbranch_scc1 .LBB216_45
; %bb.47:                               ;   in Loop: Header=BB216_46 Depth=1
	s_max_i32 s19, s17, 1
	v_lshl_add_u32 v8, s16, 8, v1
	s_lshl_b32 s20, s17, 8
	s_lshl_b32 s21, s16, 4
	;; [unrolled: 1-line block ×3, first 2 shown]
	s_mul_i32 s30, s16, 0x110
	s_mul_i32 s31, s17, 0x110
	s_branch .LBB216_49
.LBB216_48:                             ;   in Loop: Header=BB216_49 Depth=2
	s_add_i32 s16, s16, s17
	s_add_i32 s14, s18, s16
	;; [unrolled: 1-line block ×4, first 2 shown]
	s_cmp_ge_i32 s14, s33
	v_add_u32_e32 v8, s20, v8
	s_cbranch_scc1 .LBB216_45
.LBB216_49:                             ;   Parent Loop BB216_46 Depth=1
                                        ; =>  This Loop Header: Depth=2
                                        ;       Child Loop BB216_50 Depth 3
                                        ;       Child Loop BB216_53 Depth 3
                                        ;         Child Loop BB216_54 Depth 4
                                        ;       Child Loop BB216_58 Depth 3
                                        ;         Child Loop BB216_60 Depth 4
	v_mov_b32_e32 v2, 0
	v_mov_b32_e32 v3, v8
	s_mov_b32 s14, s19
.LBB216_50:                             ;   Parent Loop BB216_46 Depth=1
                                        ;     Parent Loop BB216_49 Depth=2
                                        ; =>    This Inner Loop Header: Depth=3
	ds_read_b128 v[10:13], v3
	s_add_i32 s14, s14, -1
	v_add_u32_e32 v3, 0x100, v3
	s_cmp_eq_u32 s14, 0
	s_waitcnt lgkmcnt(0)
	buffer_store_dword v13, v2, s[0:3], 0 offen offset:12
	buffer_store_dword v12, v2, s[0:3], 0 offen offset:8
	;; [unrolled: 1-line block ×3, first 2 shown]
	buffer_store_dword v10, v2, s[0:3], 0 offen
	v_add_u32_e32 v2, 16, v2
	s_cbranch_scc0 .LBB216_50
; %bb.51:                               ;   in Loop: Header=BB216_49 Depth=2
	s_cmp_lt_i32 s16, 1
	s_cbranch_scc1 .LBB216_56
; %bb.52:                               ;   in Loop: Header=BB216_49 Depth=2
	s_mov_b32 s14, 0
	s_mov_b32 s15, s21
.LBB216_53:                             ;   Parent Loop BB216_46 Depth=1
                                        ;     Parent Loop BB216_49 Depth=2
                                        ; =>    This Loop Header: Depth=3
                                        ;         Child Loop BB216_54 Depth 4
	v_lshl_or_b32 v2, s14, 8, v6
	ds_read_b128 v[2:5], v2 offset:4096
	v_mov_b32_e32 v9, 0
	s_mov_b32 s34, s15
	s_mov_b32 s35, s19
.LBB216_54:                             ;   Parent Loop BB216_46 Depth=1
                                        ;     Parent Loop BB216_49 Depth=2
                                        ;       Parent Loop BB216_53 Depth=3
                                        ; =>      This Inner Loop Header: Depth=4
	buffer_load_dword v14, v9, s[0:3], 0 offen
	buffer_load_dword v15, v9, s[0:3], 0 offen offset:4
	buffer_load_dword v16, v9, s[0:3], 0 offen offset:8
	;; [unrolled: 1-line block ×3, first 2 shown]
	v_mov_b32_e32 v10, s34
	ds_read_b128 v[10:13], v10
	s_add_i32 s35, s35, -1
	s_add_i32 s34, s34, 16
	s_cmp_eq_u32 s35, 0
	s_waitcnt lgkmcnt(0)
	v_mul_f64 v[18:19], v[4:5], v[12:13]
	v_mul_f64 v[12:13], v[2:3], v[12:13]
	v_fma_f64 v[18:19], v[2:3], v[10:11], -v[18:19]
	v_fmac_f64_e32 v[12:13], v[4:5], v[10:11]
	s_waitcnt vmcnt(2)
	v_add_f64 v[10:11], v[14:15], -v[18:19]
	s_waitcnt vmcnt(0)
	v_add_f64 v[12:13], v[16:17], -v[12:13]
	buffer_store_dword v10, v9, s[0:3], 0 offen
	buffer_store_dword v11, v9, s[0:3], 0 offen offset:4
	buffer_store_dword v12, v9, s[0:3], 0 offen offset:8
	;; [unrolled: 1-line block ×3, first 2 shown]
	v_add_u32_e32 v9, 16, v9
	s_cbranch_scc0 .LBB216_54
; %bb.55:                               ;   in Loop: Header=BB216_53 Depth=3
	s_add_i32 s14, s14, 1
	s_addk_i32 s15, 0x100
	s_cmp_ge_i32 s14, s16
	s_cbranch_scc0 .LBB216_53
.LBB216_56:                             ;   in Loop: Header=BB216_49 Depth=2
	s_mov_b32 s34, 0
	s_mov_b32 s35, s30
	s_branch .LBB216_58
.LBB216_57:                             ;   in Loop: Header=BB216_58 Depth=3
	s_mul_i32 s14, s36, 0x110
	v_mov_b32_e32 v9, s14
	ds_read_b128 v[10:13], v9
	s_lshl_b32 s14, s34, 4
	s_add_i32 s34, s34, 1
	s_add_i32 s35, s35, 16
	v_add_u32_e32 v9, s14, v7
	s_waitcnt vmcnt(0) lgkmcnt(0)
	v_mul_f64 v[14:15], v[12:13], v[4:5]
	v_mul_f64 v[16:17], v[10:11], v[4:5]
	v_fma_f64 v[14:15], v[10:11], v[2:3], -v[14:15]
	v_fmac_f64_e32 v[16:17], v[12:13], v[2:3]
	v_lshl_or_b32 v2, s36, 8, v6
	s_cmp_eq_u32 s34, s19
	buffer_store_dword v15, v9, s[0:3], 0 offen offset:4
	buffer_store_dword v14, v9, s[0:3], 0 offen
	buffer_store_dword v17, v9, s[0:3], 0 offen offset:12
	buffer_store_dword v16, v9, s[0:3], 0 offen offset:8
	ds_write_b128 v2, v[14:17] offset:4096
	s_cbranch_scc1 .LBB216_48
.LBB216_58:                             ;   Parent Loop BB216_46 Depth=1
                                        ;     Parent Loop BB216_49 Depth=2
                                        ; =>    This Loop Header: Depth=3
                                        ;         Child Loop BB216_60 Depth 4
	s_cmp_lg_u32 s34, 0
	s_cbranch_scc0 .LBB216_62
; %bb.59:                               ;   in Loop: Header=BB216_58 Depth=3
	s_lshl_b32 s14, s34, 4
	v_add_u32_e32 v9, s14, v7
	buffer_load_dword v2, v9, s[0:3], 0 offen
	buffer_load_dword v3, v9, s[0:3], 0 offen offset:4
	buffer_load_dword v4, v9, s[0:3], 0 offen offset:8
	;; [unrolled: 1-line block ×3, first 2 shown]
	s_add_i32 s36, s34, s16
	v_mov_b32_e32 v10, 0
	s_mov_b32 s14, 0
	s_mov_b32 s15, s35
.LBB216_60:                             ;   Parent Loop BB216_46 Depth=1
                                        ;     Parent Loop BB216_49 Depth=2
                                        ;       Parent Loop BB216_58 Depth=3
                                        ; =>      This Inner Loop Header: Depth=4
	buffer_load_dword v16, v10, s[0:3], 0 offen offset:8
	buffer_load_dword v17, v10, s[0:3], 0 offen offset:12
	buffer_load_dword v18, v10, s[0:3], 0 offen
	buffer_load_dword v19, v10, s[0:3], 0 offen offset:4
	v_mov_b32_e32 v11, s15
	ds_read_b128 v[12:15], v11
	s_add_i32 s14, s14, 1
	s_addk_i32 s15, 0x100
	v_add_u32_e32 v10, 16, v10
	s_cmp_ge_u32 s14, s34
	s_waitcnt vmcnt(2) lgkmcnt(0)
	v_mul_f64 v[20:21], v[14:15], v[16:17]
	v_mul_f64 v[16:17], v[12:13], v[16:17]
	s_waitcnt vmcnt(0)
	v_fma_f64 v[12:13], v[12:13], v[18:19], -v[20:21]
	v_fmac_f64_e32 v[16:17], v[14:15], v[18:19]
	v_add_f64 v[2:3], v[2:3], -v[12:13]
	v_add_f64 v[4:5], v[4:5], -v[16:17]
	buffer_store_dword v2, v9, s[0:3], 0 offen
	buffer_store_dword v3, v9, s[0:3], 0 offen offset:4
	buffer_store_dword v4, v9, s[0:3], 0 offen offset:8
	;; [unrolled: 1-line block ×3, first 2 shown]
	s_cbranch_scc0 .LBB216_60
; %bb.61:                               ;   in Loop: Header=BB216_58 Depth=3
	s_branch .LBB216_57
.LBB216_62:                             ;   in Loop: Header=BB216_58 Depth=3
                                        ; implicit-def: $vgpr2_vgpr3
                                        ; implicit-def: $vgpr4_vgpr5
                                        ; implicit-def: $sgpr36
	s_cbranch_execz .LBB216_57
; %bb.63:                               ;   in Loop: Header=BB216_58 Depth=3
	buffer_load_dword v2, off, s[0:3], 0
	buffer_load_dword v3, off, s[0:3], 0 offset:4
	buffer_load_dword v4, off, s[0:3], 0 offset:8
	;; [unrolled: 1-line block ×3, first 2 shown]
	s_mov_b32 s36, s16
	s_branch .LBB216_57
.LBB216_64:
	s_waitcnt lgkmcnt(0)
	; wave barrier
	s_waitcnt lgkmcnt(0)
	s_and_saveexec_b64 s[12:13], s[8:9]
	s_cbranch_execz .LBB216_71
; %bb.65:
	s_cmp_lt_i32 s26, 8
	s_mov_b32 s8, 0
	s_cbranch_scc1 .LBB216_68
; %bb.66:
	v_mad_i64_i32 v[2:3], s[8:9], s25, v0, 0
	v_lshlrev_b64 v[2:3], 4, v[2:3]
	v_mov_b32_e32 v4, s29
	v_add_co_u32_e32 v1, vcc, s27, v2
	v_addc_co_u32_e32 v2, vcc, v4, v3, vcc
	v_mov_b32_e32 v3, 0x1000
	s_lshl_b32 s8, s33, 4
	v_lshl_or_b32 v3, v0, 4, v3
	s_and_b32 s9, s8, 0x180
	s_mov_b32 s8, 0
	s_mov_b64 s[12:13], 0
.LBB216_67:                             ; =>This Inner Loop Header: Depth=1
	ds_read2_b64 v[4:7], v3 offset1:1
	ds_read2_b64 v[8:11], v3 offset0:32 offset1:33
	ds_read2_b64 v[12:15], v3 offset0:64 offset1:65
	;; [unrolled: 1-line block ×7, first 2 shown]
	s_add_i32 s8, s8, 8
	v_add_co_u32_e32 v36, vcc, s12, v1
	s_add_u32 s12, s12, 0x80
	v_mov_b32_e32 v37, s13
	s_addc_u32 s13, s13, 0
	v_add_u32_e32 v3, 0x800, v3
	v_addc_co_u32_e32 v37, vcc, v2, v37, vcc
	s_cmp_lg_u32 s9, s12
	s_waitcnt lgkmcnt(7)
	global_store_dwordx4 v[36:37], v[4:7], off
	s_waitcnt lgkmcnt(6)
	global_store_dwordx4 v[36:37], v[8:11], off offset:16
	s_waitcnt lgkmcnt(5)
	global_store_dwordx4 v[36:37], v[12:15], off offset:32
	;; [unrolled: 2-line block ×7, first 2 shown]
	s_cbranch_scc1 .LBB216_67
.LBB216_68:
	s_and_b32 s12, s33, 7
	s_cmp_eq_u32 s12, 0
	s_mov_b32 s9, 0
	s_cbranch_scc1 .LBB216_71
; %bb.69:
	s_lshl_b64 s[10:11], s[10:11], 4
	v_lshlrev_b32_e32 v2, 4, v0
	v_mov_b32_e32 v0, s11
	v_add_co_u32_e32 v3, vcc, s10, v2
	s_lshl_b64 s[10:11], s[8:9], 4
	s_add_u32 s9, s22, s10
	s_addc_u32 s10, s23, s11
	s_add_u32 s6, s9, s6
	s_addc_u32 s7, s10, s7
	s_add_u32 s4, s6, s4
	s_addc_u32 s5, s7, s5
	v_addc_co_u32_e32 v4, vcc, 0, v0, vcc
	v_pk_mov_b32 v[0:1], s[4:5], s[4:5] op_sel:[0,1]
	v_mad_u64_u32 v[0:1], s[4:5], v3, s25, v[0:1]
	v_mul_lo_u32 v3, v3, s28
	v_mul_lo_u32 v4, v4, s25
	v_lshl_or_b32 v2, s8, 8, v2
	v_add3_u32 v1, v4, v1, v3
	v_add_u32_e32 v2, 0x1000, v2
.LBB216_70:                             ; =>This Inner Loop Header: Depth=1
	ds_read2_b64 v[4:7], v2 offset1:1
	s_add_i32 s12, s12, -1
	v_add_u32_e32 v2, 0x100, v2
	s_cmp_lg_u32 s12, 0
	s_waitcnt lgkmcnt(0)
	global_store_dwordx4 v[0:1], v[4:7], off
	v_add_co_u32_e32 v0, vcc, 16, v0
	v_addc_co_u32_e32 v1, vcc, 0, v1, vcc
	s_cbranch_scc1 .LBB216_70
.LBB216_71:
	s_endpgm
	.section	.rodata,"a",@progbits
	.p2align	6, 0x0
	.amdhsa_kernel _ZL38rocblas_trsm_small_left_device_sharedBILi16ELi16ELb1E19rocblas_complex_numIdES1_PKS1_PS1_Ev13rocblas_fill_18rocblas_operation_17rocblas_diagonal_iiT3_T4_lilT5_lili
		.amdhsa_group_segment_fixed_size 8192
		.amdhsa_private_segment_fixed_size 272
		.amdhsa_kernarg_size 368
		.amdhsa_user_sgpr_count 8
		.amdhsa_user_sgpr_private_segment_buffer 1
		.amdhsa_user_sgpr_dispatch_ptr 0
		.amdhsa_user_sgpr_queue_ptr 0
		.amdhsa_user_sgpr_kernarg_segment_ptr 1
		.amdhsa_user_sgpr_dispatch_id 0
		.amdhsa_user_sgpr_flat_scratch_init 1
		.amdhsa_user_sgpr_kernarg_preload_length 0
		.amdhsa_user_sgpr_kernarg_preload_offset 0
		.amdhsa_user_sgpr_private_segment_size 0
		.amdhsa_uses_dynamic_stack 0
		.amdhsa_system_sgpr_private_segment_wavefront_offset 1
		.amdhsa_system_sgpr_workgroup_id_x 1
		.amdhsa_system_sgpr_workgroup_id_y 0
		.amdhsa_system_sgpr_workgroup_id_z 1
		.amdhsa_system_sgpr_workgroup_info 0
		.amdhsa_system_vgpr_workitem_id 0
		.amdhsa_next_free_vgpr 54
		.amdhsa_next_free_sgpr 43
		.amdhsa_accum_offset 56
		.amdhsa_reserve_vcc 1
		.amdhsa_reserve_flat_scratch 0
		.amdhsa_float_round_mode_32 0
		.amdhsa_float_round_mode_16_64 0
		.amdhsa_float_denorm_mode_32 3
		.amdhsa_float_denorm_mode_16_64 3
		.amdhsa_dx10_clamp 1
		.amdhsa_ieee_mode 1
		.amdhsa_fp16_overflow 0
		.amdhsa_tg_split 0
		.amdhsa_exception_fp_ieee_invalid_op 0
		.amdhsa_exception_fp_denorm_src 0
		.amdhsa_exception_fp_ieee_div_zero 0
		.amdhsa_exception_fp_ieee_overflow 0
		.amdhsa_exception_fp_ieee_underflow 0
		.amdhsa_exception_fp_ieee_inexact 0
		.amdhsa_exception_int_div_zero 0
	.end_amdhsa_kernel
	.section	.text._ZL38rocblas_trsm_small_left_device_sharedBILi16ELi16ELb1E19rocblas_complex_numIdES1_PKS1_PS1_Ev13rocblas_fill_18rocblas_operation_17rocblas_diagonal_iiT3_T4_lilT5_lili,"axG",@progbits,_ZL38rocblas_trsm_small_left_device_sharedBILi16ELi16ELb1E19rocblas_complex_numIdES1_PKS1_PS1_Ev13rocblas_fill_18rocblas_operation_17rocblas_diagonal_iiT3_T4_lilT5_lili,comdat
.Lfunc_end216:
	.size	_ZL38rocblas_trsm_small_left_device_sharedBILi16ELi16ELb1E19rocblas_complex_numIdES1_PKS1_PS1_Ev13rocblas_fill_18rocblas_operation_17rocblas_diagonal_iiT3_T4_lilT5_lili, .Lfunc_end216-_ZL38rocblas_trsm_small_left_device_sharedBILi16ELi16ELb1E19rocblas_complex_numIdES1_PKS1_PS1_Ev13rocblas_fill_18rocblas_operation_17rocblas_diagonal_iiT3_T4_lilT5_lili
                                        ; -- End function
	.section	.AMDGPU.csdata,"",@progbits
; Kernel info:
; codeLenInByte = 4272
; NumSgprs: 47
; NumVgprs: 54
; NumAgprs: 0
; TotalNumVgprs: 54
; ScratchSize: 272
; MemoryBound: 0
; FloatMode: 240
; IeeeMode: 1
; LDSByteSize: 8192 bytes/workgroup (compile time only)
; SGPRBlocks: 5
; VGPRBlocks: 6
; NumSGPRsForWavesPerEU: 47
; NumVGPRsForWavesPerEU: 54
; AccumOffset: 56
; Occupancy: 2
; WaveLimiterHint : 0
; COMPUTE_PGM_RSRC2:SCRATCH_EN: 1
; COMPUTE_PGM_RSRC2:USER_SGPR: 8
; COMPUTE_PGM_RSRC2:TRAP_HANDLER: 0
; COMPUTE_PGM_RSRC2:TGID_X_EN: 1
; COMPUTE_PGM_RSRC2:TGID_Y_EN: 0
; COMPUTE_PGM_RSRC2:TGID_Z_EN: 1
; COMPUTE_PGM_RSRC2:TIDIG_COMP_CNT: 0
; COMPUTE_PGM_RSRC3_GFX90A:ACCUM_OFFSET: 13
; COMPUTE_PGM_RSRC3_GFX90A:TG_SPLIT: 0
	.section	.text._ZL30rocblas_trsm_small_left_deviceILi16ELi16ELb1E19rocblas_complex_numIdES1_PKS1_PS1_Ev13rocblas_fill_18rocblas_operation_17rocblas_diagonal_iiT3_T4_lilT5_lili,"axG",@progbits,_ZL30rocblas_trsm_small_left_deviceILi16ELi16ELb1E19rocblas_complex_numIdES1_PKS1_PS1_Ev13rocblas_fill_18rocblas_operation_17rocblas_diagonal_iiT3_T4_lilT5_lili,comdat
	.globl	_ZL30rocblas_trsm_small_left_deviceILi16ELi16ELb1E19rocblas_complex_numIdES1_PKS1_PS1_Ev13rocblas_fill_18rocblas_operation_17rocblas_diagonal_iiT3_T4_lilT5_lili ; -- Begin function _ZL30rocblas_trsm_small_left_deviceILi16ELi16ELb1E19rocblas_complex_numIdES1_PKS1_PS1_Ev13rocblas_fill_18rocblas_operation_17rocblas_diagonal_iiT3_T4_lilT5_lili
	.p2align	8
	.type	_ZL30rocblas_trsm_small_left_deviceILi16ELi16ELb1E19rocblas_complex_numIdES1_PKS1_PS1_Ev13rocblas_fill_18rocblas_operation_17rocblas_diagonal_iiT3_T4_lilT5_lili,@function
_ZL30rocblas_trsm_small_left_deviceILi16ELi16ELb1E19rocblas_complex_numIdES1_PKS1_PS1_Ev13rocblas_fill_18rocblas_operation_17rocblas_diagonal_iiT3_T4_lilT5_lili: ; @_ZL30rocblas_trsm_small_left_deviceILi16ELi16ELb1E19rocblas_complex_numIdES1_PKS1_PS1_Ev13rocblas_fill_18rocblas_operation_17rocblas_diagonal_iiT3_T4_lilT5_lili
; %bb.0:
	s_add_u32 s0, s0, s10
	s_load_dwordx4 s[24:27], s[4:5], 0x4
	s_load_dwordx8 s[12:19], s[4:5], 0x18
	s_load_dwordx4 s[20:23], s[4:5], 0x40
	s_load_dwordx2 s[10:11], s[4:5], 0x50
	s_load_dword s38, s[4:5], 0x70
	s_addc_u32 s1, s1, 0
	s_waitcnt lgkmcnt(0)
	s_min_i32 s26, s26, 16
	s_mov_b32 s39, 0
	s_add_i32 s33, s26, -1
	v_cmp_gt_i32_e32 vcc, s26, v0
	s_and_saveexec_b64 s[28:29], vcc
	s_cbranch_execz .LBB217_15
; %bb.1:
	s_load_dword s30, s[4:5], 0x38
	v_lshlrev_b32_e32 v1, 4, v0
	s_mul_i32 s40, s21, s9
	s_mul_hi_u32 s41, s20, s9
	s_mul_i32 s20, s20, s9
	s_waitcnt lgkmcnt(0)
	s_ashr_i32 s31, s30, 31
	s_cmpk_eq_i32 s24, 0x71
	s_cselect_b64 vcc, -1, 0
	s_cmp_lt_u32 s33, 3
	s_cbranch_scc1 .LBB217_4
; %bb.2:
	s_add_i32 s21, s41, s40
	s_and_b32 s39, s26, -4
	s_lshl_b64 s[6:7], s[20:21], 4
	s_lshl_b64 s[34:35], s[18:19], 4
	s_add_u32 s6, s6, s34
	s_addc_u32 s7, s7, s35
	s_add_u32 s6, s16, s6
	v_lshlrev_b32_e32 v2, 4, v0
	s_addc_u32 s7, s17, s7
	v_mov_b32_e32 v3, s7
	v_add_co_u32_e64 v2, s[6:7], s6, v2
	v_addc_co_u32_e64 v3, s[6:7], 0, v3, s[6:7]
	v_add_co_u32_e64 v2, s[6:7], 8, v2
	s_lshl_b64 s[34:35], s[30:31], 6
	s_lshl_b64 s[36:37], s[30:31], 4
	v_addc_co_u32_e64 v3, s[6:7], 0, v3, s[6:7]
	s_mov_b32 s21, 0
	v_mov_b32_e32 v4, s37
	v_mov_b32_e32 v5, s35
	;; [unrolled: 1-line block ×3, first 2 shown]
.LBB217_3:                              ; =>This Inner Loop Header: Depth=1
	v_add_co_u32_e64 v20, s[6:7], s36, v2
	v_addc_co_u32_e64 v21, s[6:7], v3, v4, s[6:7]
	v_add_co_u32_e64 v22, s[6:7], s36, v20
	global_load_dwordx4 v[8:11], v[2:3], off offset:-8
	v_addc_co_u32_e64 v23, s[6:7], v21, v4, s[6:7]
	global_load_dwordx4 v[12:15], v[20:21], off offset:-8
	global_load_dwordx4 v[16:19], v[22:23], off offset:-8
	v_add_co_u32_e64 v20, s[6:7], s36, v22
	v_addc_co_u32_e64 v21, s[6:7], v23, v4, s[6:7]
	global_load_dwordx4 v[20:23], v[20:21], off offset:-8
	s_add_i32 s21, s21, 4
	v_add_co_u32_e64 v2, s[6:7], s34, v2
	s_cmp_eq_u32 s39, s21
	v_addc_co_u32_e64 v3, s[6:7], v3, v5, s[6:7]
	s_waitcnt vmcnt(3)
	v_xor_b32_e32 v7, 0x80000000, v11
	v_cndmask_b32_e32 v11, v11, v7, vcc
	s_waitcnt vmcnt(2)
	v_xor_b32_e32 v7, 0x80000000, v15
	v_cndmask_b32_e32 v15, v15, v7, vcc
	;; [unrolled: 3-line block ×3, first 2 shown]
	ds_write_b128 v6, v[8:11]
	ds_write_b128 v6, v[12:15] offset:256
	s_waitcnt vmcnt(0)
	v_xor_b32_e32 v7, 0x80000000, v23
	v_cndmask_b32_e32 v23, v23, v7, vcc
	ds_write_b128 v6, v[16:19] offset:512
	ds_write_b128 v6, v[20:23] offset:768
	v_add_u32_e32 v6, 0x400, v6
	s_cbranch_scc0 .LBB217_3
.LBB217_4:
	s_and_b32 s34, s26, 3
	s_cmp_eq_u32 s34, 0
	s_cbranch_scc1 .LBB217_7
; %bb.5:
	s_add_i32 s21, s41, s40
	s_lshl_b64 s[6:7], s[20:21], 4
	s_mul_i32 s20, s31, s39
	s_mul_hi_u32 s21, s30, s39
	s_add_i32 s21, s21, s20
	s_mul_i32 s20, s30, s39
	s_lshl_b64 s[20:21], s[20:21], 4
	s_add_u32 s20, s6, s20
	s_addc_u32 s21, s7, s21
	s_lshl_b64 s[6:7], s[18:19], 4
	s_add_u32 s6, s20, s6
	s_addc_u32 s7, s21, s7
	s_add_u32 s6, s16, s6
	s_addc_u32 s7, s17, s7
	v_lshl_or_b32 v4, s39, 8, v1
	v_mov_b32_e32 v2, s7
	v_add_co_u32_e64 v1, s[6:7], s6, v1
	v_addc_co_u32_e64 v3, s[6:7], 0, v2, s[6:7]
	v_add_co_u32_e64 v2, s[6:7], 8, v1
	s_lshl_b64 s[16:17], s[30:31], 4
	v_addc_co_u32_e64 v3, s[6:7], 0, v3, s[6:7]
	v_mov_b32_e32 v1, s17
.LBB217_6:                              ; =>This Inner Loop Header: Depth=1
	global_load_dwordx4 v[6:9], v[2:3], off offset:-8
	v_add_co_u32_e64 v2, s[6:7], s16, v2
	s_add_i32 s34, s34, -1
	v_addc_co_u32_e64 v3, s[6:7], v3, v1, s[6:7]
	s_cmp_lg_u32 s34, 0
	s_waitcnt vmcnt(0)
	v_xor_b32_e32 v5, 0x80000000, v9
	v_cndmask_b32_e32 v9, v9, v5, vcc
	ds_write_b128 v4, v[6:9]
	v_add_u32_e32 v4, 0x100, v4
	s_cbranch_scc1 .LBB217_6
.LBB217_7:
	v_mul_u32_u24_e32 v1, 17, v0
	s_cmpk_lg_i32 s25, 0x84
	v_lshlrev_b32_e32 v1, 4, v1
	s_cbranch_scc0 .LBB217_13
; %bb.8:
	ds_read_b128 v[2:5], v1
	s_waitcnt lgkmcnt(0)
	v_xor_b32_e32 v7, 0x80000000, v3
	v_cmp_gt_f64_e32 vcc, 0, v[2:3]
	v_xor_b32_e32 v8, 0x80000000, v5
	v_cndmask_b32_e32 v7, v3, v7, vcc
	v_cmp_gt_f64_e32 vcc, 0, v[4:5]
	v_mov_b32_e32 v6, v2
	v_cndmask_b32_e32 v9, v5, v8, vcc
	v_mov_b32_e32 v8, v4
	v_cmp_ngt_f64_e32 vcc, v[6:7], v[8:9]
                                        ; implicit-def: $vgpr8_vgpr9
	s_and_saveexec_b64 s[6:7], vcc
	s_xor_b64 s[6:7], exec, s[6:7]
	s_cbranch_execz .LBB217_10
; %bb.9:
	v_div_scale_f64 v[6:7], s[16:17], v[4:5], v[4:5], v[2:3]
	v_rcp_f64_e32 v[8:9], v[6:7]
	v_div_scale_f64 v[10:11], vcc, v[2:3], v[4:5], v[2:3]
	v_fma_f64 v[12:13], -v[6:7], v[8:9], 1.0
	v_fmac_f64_e32 v[8:9], v[8:9], v[12:13]
	v_fma_f64 v[12:13], -v[6:7], v[8:9], 1.0
	v_fmac_f64_e32 v[8:9], v[8:9], v[12:13]
	v_mul_f64 v[12:13], v[10:11], v[8:9]
	v_fma_f64 v[6:7], -v[6:7], v[12:13], v[10:11]
	v_div_fmas_f64 v[6:7], v[6:7], v[8:9], v[12:13]
	v_div_fixup_f64 v[8:9], v[6:7], v[4:5], v[2:3]
	v_fmac_f64_e32 v[4:5], v[2:3], v[8:9]
	v_div_scale_f64 v[2:3], s[16:17], v[4:5], v[4:5], 1.0
	v_rcp_f64_e32 v[6:7], v[2:3]
	v_fma_f64 v[10:11], -v[2:3], v[6:7], 1.0
	v_fmac_f64_e32 v[6:7], v[6:7], v[10:11]
	v_fma_f64 v[10:11], -v[2:3], v[6:7], 1.0
	v_fmac_f64_e32 v[6:7], v[6:7], v[10:11]
	v_div_scale_f64 v[10:11], vcc, 1.0, v[4:5], 1.0
	v_mul_f64 v[12:13], v[10:11], v[6:7]
	v_fma_f64 v[2:3], -v[2:3], v[12:13], v[10:11]
	s_nop 1
	v_div_fmas_f64 v[2:3], v[2:3], v[6:7], v[12:13]
	v_div_fixup_f64 v[2:3], v[2:3], v[4:5], 1.0
	v_add_f64 v[4:5], v[8:9], 0
	v_mul_f64 v[6:7], v[4:5], v[2:3]
	v_fma_f64 v[4:5], v[8:9], 0, -1.0
	v_mul_f64 v[8:9], v[4:5], v[2:3]
                                        ; implicit-def: $vgpr2_vgpr3
.LBB217_10:
	s_andn2_saveexec_b64 s[6:7], s[6:7]
	s_cbranch_execz .LBB217_12
; %bb.11:
	v_div_scale_f64 v[6:7], s[16:17], v[2:3], v[2:3], v[4:5]
	v_rcp_f64_e32 v[8:9], v[6:7]
	v_div_scale_f64 v[10:11], vcc, v[4:5], v[2:3], v[4:5]
	v_fma_f64 v[12:13], -v[6:7], v[8:9], 1.0
	v_fmac_f64_e32 v[8:9], v[8:9], v[12:13]
	v_fma_f64 v[12:13], -v[6:7], v[8:9], 1.0
	v_fmac_f64_e32 v[8:9], v[8:9], v[12:13]
	v_mul_f64 v[12:13], v[10:11], v[8:9]
	v_fma_f64 v[6:7], -v[6:7], v[12:13], v[10:11]
	v_div_fmas_f64 v[6:7], v[6:7], v[8:9], v[12:13]
	v_div_fixup_f64 v[8:9], v[6:7], v[2:3], v[4:5]
	v_fmac_f64_e32 v[2:3], v[4:5], v[8:9]
	v_div_scale_f64 v[4:5], s[16:17], v[2:3], v[2:3], 1.0
	v_rcp_f64_e32 v[6:7], v[4:5]
	v_fma_f64 v[10:11], -v[4:5], v[6:7], 1.0
	v_fmac_f64_e32 v[6:7], v[6:7], v[10:11]
	v_fma_f64 v[10:11], -v[4:5], v[6:7], 1.0
	v_fmac_f64_e32 v[6:7], v[6:7], v[10:11]
	v_div_scale_f64 v[10:11], vcc, 1.0, v[2:3], 1.0
	v_mul_f64 v[12:13], v[10:11], v[6:7]
	v_fma_f64 v[4:5], -v[4:5], v[12:13], v[10:11]
	s_nop 1
	v_div_fmas_f64 v[4:5], v[4:5], v[6:7], v[12:13]
	v_div_fixup_f64 v[2:3], v[4:5], v[2:3], 1.0
	v_fma_f64 v[4:5], v[8:9], 0, 1.0
	v_mul_f64 v[6:7], v[4:5], v[2:3]
	v_add_f64 v[4:5], -v[8:9], 0
	v_mul_f64 v[8:9], v[4:5], v[2:3]
.LBB217_12:
	s_or_b64 exec, exec, s[6:7]
	s_branch .LBB217_14
.LBB217_13:
	v_mov_b32_e32 v6, 0
	v_mov_b32_e32 v7, 0x3ff00000
	v_pk_mov_b32 v[8:9], 0, 0
.LBB217_14:
	ds_write_b128 v1, v[6:9]
.LBB217_15:
	s_or_b64 exec, exec, s[28:29]
	s_lshl_b32 s16, s8, 4
	s_add_i32 s38, s38, -1
	s_sub_i32 s6, s27, s16
	s_cmp_ge_u32 s8, s38
	s_cselect_b32 s6, s6, 16
	v_cmp_gt_i32_e32 vcc, s6, v0
	s_waitcnt lgkmcnt(0)
	; wave barrier
	s_waitcnt lgkmcnt(0)
	s_and_saveexec_b64 s[6:7], vcc
	s_cbranch_execz .LBB217_58
; %bb.16:
	s_load_dwordx2 s[6:7], s[4:5], 0x60
	s_load_dword s8, s[4:5], 0x58
	v_add_u32_e32 v0, s16, v0
	s_waitcnt lgkmcnt(0)
	s_mul_i32 s5, s9, s7
	s_mul_hi_u32 s7, s9, s6
	s_mul_i32 s4, s9, s6
	s_add_i32 s5, s7, s5
	s_lshl_b64 s[4:5], s[4:5], 4
	s_add_u32 s9, s22, s4
	s_addc_u32 s17, s23, s5
	s_lshl_b64 s[6:7], s[10:11], 4
	s_add_u32 s10, s9, s6
	v_mad_i64_i32 v[0:1], s[8:9], s8, v0, 0
	s_addc_u32 s11, s17, s7
	v_lshlrev_b64 v[4:5], 4, v[0:1]
	v_mov_b32_e32 v0, s11
	v_add_co_u32_e32 v6, vcc, s10, v4
	v_addc_co_u32_e32 v7, vcc, v0, v5, vcc
	s_cmpk_eq_i32 s24, 0x6f
	s_mov_b64 s[8:9], -1
	s_cbranch_scc1 .LBB217_37
; %bb.17:
	s_add_u32 s8, s22, s6
	s_addc_u32 s9, s23, s7
	s_add_u32 s8, s8, s4
	s_addc_u32 s9, s9, s5
	v_mov_b32_e32 v0, s9
	v_add_co_u32_e32 v1, vcc, s8, v4
	v_addc_co_u32_e32 v0, vcc, v0, v5, vcc
	v_add_co_u32_e32 v8, vcc, 8, v1
	s_lshl_b32 s24, s26, 4
	s_mov_b32 s9, 0
	v_addc_co_u32_e32 v9, vcc, 0, v0, vcc
	s_add_i32 s24, s24, -16
	v_mov_b32_e32 v10, 0
	s_mov_b32 s8, s9
	s_mov_b32 s10, s33
	s_branch .LBB217_19
.LBB217_18:                             ;   in Loop: Header=BB217_19 Depth=1
	s_cmp_lt_i32 s10, 0
	s_cselect_b64 s[16:17], -1, 0
	s_add_i32 s8, s8, 1
	s_cmp_eq_u32 s8, 3
	s_cselect_b64 s[18:19], -1, 0
	s_or_b64 s[16:17], s[16:17], s[18:19]
	s_andn2_b64 vcc, exec, s[16:17]
	s_cbranch_vccz .LBB217_36
.LBB217_19:                             ; =>This Loop Header: Depth=1
                                        ;     Child Loop BB217_22 Depth 2
                                        ;       Child Loop BB217_23 Depth 3
                                        ;       Child Loop BB217_25 Depth 3
                                        ;         Child Loop BB217_26 Depth 4
                                        ;       Child Loop BB217_30 Depth 3
                                        ;         Child Loop BB217_32 Depth 4
	s_lshl_b64 s[16:17], s[8:9], 2
	s_getpc_b64 s[18:19]
	s_add_u32 s18, s18, __const._ZL30rocblas_trsm_small_left_deviceILi16ELi16ELb1E19rocblas_complex_numIdES1_PKS1_PS1_Ev13rocblas_fill_18rocblas_operation_17rocblas_diagonal_iiT3_T4_lilT5_lili.step_sizes@rel32@lo+4
	s_addc_u32 s19, s19, __const._ZL30rocblas_trsm_small_left_deviceILi16ELi16ELb1E19rocblas_complex_numIdES1_PKS1_PS1_Ev13rocblas_fill_18rocblas_operation_17rocblas_diagonal_iiT3_T4_lilT5_lili.step_sizes@rel32@hi+12
	s_add_u32 s16, s16, s18
	s_addc_u32 s17, s17, s19
	s_load_dword s25, s[16:17], 0x0
	s_waitcnt lgkmcnt(0)
	s_add_i32 s27, s25, -1
	s_cmp_lt_i32 s10, s27
	s_cbranch_scc1 .LBB217_18
; %bb.20:                               ;   in Loop: Header=BB217_19 Depth=1
	s_lshl_b32 s11, s10, 8
	s_add_i32 s29, s24, s11
	s_lshl_b32 s11, s25, 8
	s_max_i32 s28, s25, 1
	s_sub_i32 s30, 0, s11
	s_mul_i32 s31, s10, 0x110
	s_mul_i32 s34, s25, 0xfffffef0
	s_branch .LBB217_22
.LBB217_21:                             ;   in Loop: Header=BB217_22 Depth=2
	s_sub_i32 s10, s10, s25
	s_add_i32 s29, s29, s30
	s_add_i32 s31, s31, s34
	s_cmp_lt_i32 s10, s27
	s_cbranch_scc1 .LBB217_18
.LBB217_22:                             ;   Parent Loop BB217_19 Depth=1
                                        ; =>  This Loop Header: Depth=2
                                        ;       Child Loop BB217_23 Depth 3
                                        ;       Child Loop BB217_25 Depth 3
                                        ;         Child Loop BB217_26 Depth 4
                                        ;       Child Loop BB217_30 Depth 3
                                        ;         Child Loop BB217_32 Depth 4
	s_ashr_i32 s11, s10, 31
	s_lshl_b64 s[16:17], s[10:11], 4
	v_mov_b32_e32 v1, s17
	v_add_co_u32_e32 v0, vcc, s16, v8
	v_addc_co_u32_e32 v1, vcc, v9, v1, vcc
	v_mov_b32_e32 v2, 0
	s_mov_b32 s16, s28
.LBB217_23:                             ;   Parent Loop BB217_19 Depth=1
                                        ;     Parent Loop BB217_22 Depth=2
                                        ; =>    This Inner Loop Header: Depth=3
	global_load_dwordx4 v[12:15], v[0:1], off offset:-8
	s_add_i32 s16, s16, -1
	v_add_co_u32_e32 v0, vcc, -16, v0
	v_addc_co_u32_e32 v1, vcc, -1, v1, vcc
	s_cmp_eq_u32 s16, 0
	s_waitcnt vmcnt(0)
	v_mul_f64 v[16:17], s[14:15], v[14:15]
	v_mul_f64 v[14:15], s[12:13], v[14:15]
	v_fma_f64 v[16:17], s[12:13], v[12:13], -v[16:17]
	v_fmac_f64_e32 v[14:15], s[14:15], v[12:13]
	buffer_store_dword v17, v2, s[0:3], 0 offen offset:4
	buffer_store_dword v16, v2, s[0:3], 0 offen
	buffer_store_dword v15, v2, s[0:3], 0 offen offset:12
	buffer_store_dword v14, v2, s[0:3], 0 offen offset:8
	v_add_u32_e32 v2, 16, v2
	s_cbranch_scc0 .LBB217_23
; %bb.24:                               ;   in Loop: Header=BB217_22 Depth=2
	s_cmp_le_i32 s33, s10
	s_mov_b32 s18, s29
	s_mov_b32 s16, s33
	s_cbranch_scc1 .LBB217_28
.LBB217_25:                             ;   Parent Loop BB217_19 Depth=1
                                        ;     Parent Loop BB217_22 Depth=2
                                        ; =>    This Loop Header: Depth=3
                                        ;         Child Loop BB217_26 Depth 4
	s_ashr_i32 s17, s16, 31
	s_lshl_b64 s[20:21], s[16:17], 4
	v_mov_b32_e32 v1, s21
	v_add_co_u32_e32 v0, vcc, s20, v6
	v_addc_co_u32_e32 v1, vcc, v7, v1, vcc
	global_load_dwordx4 v[0:3], v[0:1], off
	v_mov_b32_e32 v11, 0
	s_mov_b32 s17, s18
	s_mov_b32 s19, s28
.LBB217_26:                             ;   Parent Loop BB217_19 Depth=1
                                        ;     Parent Loop BB217_22 Depth=2
                                        ;       Parent Loop BB217_25 Depth=3
                                        ; =>      This Inner Loop Header: Depth=4
	buffer_load_dword v16, v11, s[0:3], 0 offen
	buffer_load_dword v17, v11, s[0:3], 0 offen offset:4
	buffer_load_dword v18, v11, s[0:3], 0 offen offset:8
	;; [unrolled: 1-line block ×3, first 2 shown]
	v_mov_b32_e32 v12, s17
	ds_read_b128 v[12:15], v12
	s_add_i32 s19, s19, -1
	s_addk_i32 s17, 0xff00
	s_cmp_eq_u32 s19, 0
	s_waitcnt vmcnt(4) lgkmcnt(0)
	v_mul_f64 v[20:21], v[2:3], v[14:15]
	v_mul_f64 v[14:15], v[0:1], v[14:15]
	v_fma_f64 v[20:21], v[0:1], v[12:13], -v[20:21]
	v_fmac_f64_e32 v[14:15], v[2:3], v[12:13]
	s_waitcnt vmcnt(2)
	v_add_f64 v[12:13], v[16:17], -v[20:21]
	s_waitcnt vmcnt(0)
	v_add_f64 v[14:15], v[18:19], -v[14:15]
	buffer_store_dword v12, v11, s[0:3], 0 offen
	buffer_store_dword v13, v11, s[0:3], 0 offen offset:4
	buffer_store_dword v14, v11, s[0:3], 0 offen offset:8
	;; [unrolled: 1-line block ×3, first 2 shown]
	v_add_u32_e32 v11, 16, v11
	s_cbranch_scc0 .LBB217_26
; %bb.27:                               ;   in Loop: Header=BB217_25 Depth=3
	s_add_i32 s16, s16, -1
	s_add_i32 s18, s18, -16
	s_cmp_le_i32 s16, s10
	s_cbranch_scc0 .LBB217_25
.LBB217_28:                             ;   in Loop: Header=BB217_22 Depth=2
	s_mov_b32 s35, 0
	s_mov_b32 s36, s31
	s_branch .LBB217_30
.LBB217_29:                             ;   in Loop: Header=BB217_30 Depth=3
	s_mulk_i32 s18, 0x110
	v_mov_b32_e32 v11, s18
	ds_read_b128 v[12:15], v11
	s_lshl_b64 s[16:17], s[16:17], 4
	s_lshl_b32 s18, s35, 4
	s_add_i32 s35, s35, 1
	s_addk_i32 s36, 0xff00
	s_waitcnt vmcnt(0) lgkmcnt(0)
	v_mul_f64 v[16:17], v[14:15], v[2:3]
	v_mul_f64 v[18:19], v[12:13], v[2:3]
	v_fma_f64 v[16:17], v[12:13], v[0:1], -v[16:17]
	v_fmac_f64_e32 v[18:19], v[14:15], v[0:1]
	v_mov_b32_e32 v1, s17
	v_add_co_u32_e32 v0, vcc, s16, v6
	v_add_u32_e32 v11, s18, v10
	v_addc_co_u32_e32 v1, vcc, v7, v1, vcc
	s_cmp_eq_u32 s35, s28
	buffer_store_dword v17, v11, s[0:3], 0 offen offset:4
	buffer_store_dword v16, v11, s[0:3], 0 offen
	buffer_store_dword v19, v11, s[0:3], 0 offen offset:12
	buffer_store_dword v18, v11, s[0:3], 0 offen offset:8
	global_store_dwordx4 v[0:1], v[16:19], off
	s_cbranch_scc1 .LBB217_21
.LBB217_30:                             ;   Parent Loop BB217_19 Depth=1
                                        ;     Parent Loop BB217_22 Depth=2
                                        ; =>    This Loop Header: Depth=3
                                        ;         Child Loop BB217_32 Depth 4
	s_cmp_lg_u32 s35, 0
	s_cbranch_scc0 .LBB217_34
; %bb.31:                               ;   in Loop: Header=BB217_30 Depth=3
	s_lshl_b32 s16, s35, 4
	v_add_u32_e32 v11, s16, v10
	buffer_load_dword v0, v11, s[0:3], 0 offen
	buffer_load_dword v1, v11, s[0:3], 0 offen offset:4
	buffer_load_dword v2, v11, s[0:3], 0 offen offset:8
	;; [unrolled: 1-line block ×3, first 2 shown]
	v_mov_b32_e32 v12, 0
	s_mov_b32 s16, 0
	s_mov_b32 s17, s36
.LBB217_32:                             ;   Parent Loop BB217_19 Depth=1
                                        ;     Parent Loop BB217_22 Depth=2
                                        ;       Parent Loop BB217_30 Depth=3
                                        ; =>      This Inner Loop Header: Depth=4
	buffer_load_dword v18, v12, s[0:3], 0 offen offset:8
	buffer_load_dword v19, v12, s[0:3], 0 offen offset:12
	buffer_load_dword v20, v12, s[0:3], 0 offen
	buffer_load_dword v21, v12, s[0:3], 0 offen offset:4
	v_mov_b32_e32 v13, s17
	ds_read_b128 v[14:17], v13
	s_add_i32 s16, s16, 1
	s_add_i32 s17, s17, -16
	v_add_u32_e32 v12, 16, v12
	s_cmp_ge_u32 s16, s35
	s_waitcnt vmcnt(2) lgkmcnt(0)
	v_mul_f64 v[22:23], v[16:17], v[18:19]
	v_mul_f64 v[18:19], v[14:15], v[18:19]
	s_waitcnt vmcnt(0)
	v_fma_f64 v[14:15], v[14:15], v[20:21], -v[22:23]
	v_fmac_f64_e32 v[18:19], v[16:17], v[20:21]
	v_add_f64 v[0:1], v[0:1], -v[14:15]
	v_add_f64 v[2:3], v[2:3], -v[18:19]
	buffer_store_dword v0, v11, s[0:3], 0 offen
	buffer_store_dword v1, v11, s[0:3], 0 offen offset:4
	buffer_store_dword v2, v11, s[0:3], 0 offen offset:8
	;; [unrolled: 1-line block ×3, first 2 shown]
	s_cbranch_scc0 .LBB217_32
; %bb.33:                               ;   in Loop: Header=BB217_30 Depth=3
	s_sub_i32 s18, s10, s35
	s_ashr_i32 s19, s18, 31
	s_mov_b64 s[16:17], s[18:19]
	s_branch .LBB217_29
.LBB217_34:                             ;   in Loop: Header=BB217_30 Depth=3
                                        ; implicit-def: $vgpr0_vgpr1
                                        ; implicit-def: $vgpr2_vgpr3
                                        ; implicit-def: $sgpr18
                                        ; implicit-def: $sgpr16_sgpr17
	s_cbranch_execz .LBB217_29
; %bb.35:                               ;   in Loop: Header=BB217_30 Depth=3
	buffer_load_dword v0, off, s[0:3], 0
	buffer_load_dword v1, off, s[0:3], 0 offset:4
	buffer_load_dword v2, off, s[0:3], 0 offset:8
	buffer_load_dword v3, off, s[0:3], 0 offset:12
	s_mov_b64 s[16:17], s[10:11]
	s_mov_b32 s18, s10
	s_branch .LBB217_29
.LBB217_36:
	s_mov_b64 s[8:9], 0
.LBB217_37:
	s_and_b64 vcc, exec, s[8:9]
	s_cbranch_vccz .LBB217_58
; %bb.38:
	s_add_u32 s6, s22, s6
	s_addc_u32 s7, s23, s7
	s_add_u32 s4, s6, s4
	s_addc_u32 s5, s7, s5
	v_mov_b32_e32 v0, s5
	v_add_co_u32_e32 v1, vcc, s4, v4
	v_addc_co_u32_e32 v0, vcc, v0, v5, vcc
	v_add_co_u32_e32 v8, vcc, 8, v1
	s_mov_b32 s5, 0
	v_addc_co_u32_e32 v9, vcc, 0, v0, vcc
	v_mov_b32_e32 v10, 0
	s_mov_b32 s6, s5
	s_mov_b32 s8, s5
	s_branch .LBB217_40
.LBB217_39:                             ;   in Loop: Header=BB217_40 Depth=1
	s_cmp_ge_i32 s6, s26
	s_cselect_b64 s[10:11], -1, 0
	s_add_i32 s8, s8, 1
	s_cmp_eq_u32 s8, 3
	s_cselect_b64 s[16:17], -1, 0
	s_or_b64 s[10:11], s[10:11], s[16:17]
	s_and_b64 vcc, exec, s[10:11]
	s_cbranch_vccnz .LBB217_58
.LBB217_40:                             ; =>This Loop Header: Depth=1
                                        ;     Child Loop BB217_43 Depth 2
                                        ;       Child Loop BB217_44 Depth 3
                                        ;       Child Loop BB217_47 Depth 3
                                        ;         Child Loop BB217_48 Depth 4
                                        ;       Child Loop BB217_52 Depth 3
                                        ;         Child Loop BB217_54 Depth 4
	s_mov_b32 s9, s5
	s_lshl_b64 s[10:11], s[8:9], 2
	s_getpc_b64 s[16:17]
	s_add_u32 s16, s16, __const._ZL30rocblas_trsm_small_left_deviceILi16ELi16ELb1E19rocblas_complex_numIdES1_PKS1_PS1_Ev13rocblas_fill_18rocblas_operation_17rocblas_diagonal_iiT3_T4_lilT5_lili.step_sizes@rel32@lo+4
	s_addc_u32 s17, s17, __const._ZL30rocblas_trsm_small_left_deviceILi16ELi16ELb1E19rocblas_complex_numIdES1_PKS1_PS1_Ev13rocblas_fill_18rocblas_operation_17rocblas_diagonal_iiT3_T4_lilT5_lili.step_sizes@rel32@hi+12
	s_add_u32 s10, s10, s16
	s_addc_u32 s11, s11, s17
	s_load_dword s10, s[10:11], 0x0
	s_waitcnt lgkmcnt(0)
	s_add_i32 s9, s10, -1
	s_add_i32 s4, s9, s6
	s_cmp_ge_i32 s4, s26
	s_cbranch_scc1 .LBB217_39
; %bb.41:                               ;   in Loop: Header=BB217_40 Depth=1
	s_ashr_i32 s7, s6, 31
	s_lshl_b64 s[16:17], s[6:7], 4
	s_ashr_i32 s11, s10, 31
	v_mov_b32_e32 v0, s17
	v_add_co_u32_e32 v4, vcc, s16, v8
	s_lshl_b64 s[16:17], s[10:11], 4
	s_max_i32 s22, s10, 1
	v_addc_co_u32_e32 v5, vcc, v9, v0, vcc
	s_lshl_b32 s7, s6, 4
	s_lshl_b32 s11, s10, 4
	s_mul_i32 s23, s6, 0x110
	s_mul_i32 s24, s10, 0x110
	v_mov_b32_e32 v11, s17
	s_branch .LBB217_43
.LBB217_42:                             ;   in Loop: Header=BB217_43 Depth=2
	s_add_i32 s6, s6, s10
	s_add_i32 s4, s9, s6
	;; [unrolled: 1-line block ×4, first 2 shown]
	v_add_co_u32_e32 v4, vcc, s16, v4
	s_cmp_ge_i32 s4, s26
	v_addc_co_u32_e32 v5, vcc, v5, v11, vcc
	s_cbranch_scc1 .LBB217_39
.LBB217_43:                             ;   Parent Loop BB217_40 Depth=1
                                        ; =>  This Loop Header: Depth=2
                                        ;       Child Loop BB217_44 Depth 3
                                        ;       Child Loop BB217_47 Depth 3
                                        ;         Child Loop BB217_48 Depth 4
                                        ;       Child Loop BB217_52 Depth 3
                                        ;         Child Loop BB217_54 Depth 4
	v_mov_b32_e32 v2, 0
	v_pk_mov_b32 v[0:1], v[4:5], v[4:5] op_sel:[0,1]
	s_mov_b32 s4, s22
.LBB217_44:                             ;   Parent Loop BB217_40 Depth=1
                                        ;     Parent Loop BB217_43 Depth=2
                                        ; =>    This Inner Loop Header: Depth=3
	global_load_dwordx4 v[12:15], v[0:1], off offset:-8
	s_add_i32 s4, s4, -1
	v_add_co_u32_e32 v0, vcc, 16, v0
	v_addc_co_u32_e32 v1, vcc, 0, v1, vcc
	s_cmp_eq_u32 s4, 0
	s_waitcnt vmcnt(0)
	v_mul_f64 v[16:17], s[14:15], v[14:15]
	v_mul_f64 v[14:15], s[12:13], v[14:15]
	v_fma_f64 v[16:17], s[12:13], v[12:13], -v[16:17]
	v_fmac_f64_e32 v[14:15], s[14:15], v[12:13]
	buffer_store_dword v17, v2, s[0:3], 0 offen offset:4
	buffer_store_dword v16, v2, s[0:3], 0 offen
	buffer_store_dword v15, v2, s[0:3], 0 offen offset:12
	buffer_store_dword v14, v2, s[0:3], 0 offen offset:8
	v_add_u32_e32 v2, 16, v2
	s_cbranch_scc0 .LBB217_44
; %bb.45:                               ;   in Loop: Header=BB217_43 Depth=2
	s_cmp_lt_i32 s6, 1
	s_cbranch_scc1 .LBB217_50
; %bb.46:                               ;   in Loop: Header=BB217_43 Depth=2
	s_mov_b32 s4, 0
	s_mov_b32 s17, s7
.LBB217_47:                             ;   Parent Loop BB217_40 Depth=1
                                        ;     Parent Loop BB217_43 Depth=2
                                        ; =>    This Loop Header: Depth=3
                                        ;         Child Loop BB217_48 Depth 4
	s_lshl_b64 s[18:19], s[4:5], 4
	v_mov_b32_e32 v1, s19
	v_add_co_u32_e32 v0, vcc, s18, v6
	v_addc_co_u32_e32 v1, vcc, v7, v1, vcc
	global_load_dwordx4 v[0:3], v[0:1], off
	v_mov_b32_e32 v12, 0
	s_mov_b32 s18, s17
	s_mov_b32 s19, s22
.LBB217_48:                             ;   Parent Loop BB217_40 Depth=1
                                        ;     Parent Loop BB217_43 Depth=2
                                        ;       Parent Loop BB217_47 Depth=3
                                        ; =>      This Inner Loop Header: Depth=4
	buffer_load_dword v18, v12, s[0:3], 0 offen
	buffer_load_dword v19, v12, s[0:3], 0 offen offset:4
	buffer_load_dword v20, v12, s[0:3], 0 offen offset:8
	;; [unrolled: 1-line block ×3, first 2 shown]
	v_mov_b32_e32 v13, s18
	ds_read_b128 v[14:17], v13
	s_add_i32 s19, s19, -1
	s_add_i32 s18, s18, 16
	s_cmp_eq_u32 s19, 0
	s_waitcnt vmcnt(4) lgkmcnt(0)
	v_mul_f64 v[22:23], v[2:3], v[16:17]
	v_mul_f64 v[16:17], v[0:1], v[16:17]
	v_fma_f64 v[22:23], v[0:1], v[14:15], -v[22:23]
	v_fmac_f64_e32 v[16:17], v[2:3], v[14:15]
	s_waitcnt vmcnt(2)
	v_add_f64 v[14:15], v[18:19], -v[22:23]
	s_waitcnt vmcnt(0)
	v_add_f64 v[16:17], v[20:21], -v[16:17]
	buffer_store_dword v14, v12, s[0:3], 0 offen
	buffer_store_dword v15, v12, s[0:3], 0 offen offset:4
	buffer_store_dword v16, v12, s[0:3], 0 offen offset:8
	;; [unrolled: 1-line block ×3, first 2 shown]
	v_add_u32_e32 v12, 16, v12
	s_cbranch_scc0 .LBB217_48
; %bb.49:                               ;   in Loop: Header=BB217_47 Depth=3
	s_add_i32 s4, s4, 1
	s_addk_i32 s17, 0x100
	s_cmp_ge_i32 s4, s6
	s_cbranch_scc0 .LBB217_47
.LBB217_50:                             ;   in Loop: Header=BB217_43 Depth=2
	s_mov_b32 s4, 0
	s_mov_b32 s17, s23
	s_branch .LBB217_52
.LBB217_51:                             ;   in Loop: Header=BB217_52 Depth=3
	s_mul_i32 s19, s18, 0x110
	v_mov_b32_e32 v12, s19
	ds_read_b128 v[12:15], v12
	s_lshl_b32 s19, s4, 4
	v_add_u32_e32 v20, s19, v10
	s_ashr_i32 s19, s18, 31
	s_lshl_b64 s[18:19], s[18:19], 4
	s_waitcnt vmcnt(0) lgkmcnt(0)
	v_mul_f64 v[16:17], v[14:15], v[2:3]
	v_mul_f64 v[18:19], v[12:13], v[2:3]
	v_fma_f64 v[16:17], v[12:13], v[0:1], -v[16:17]
	v_fmac_f64_e32 v[18:19], v[14:15], v[0:1]
	v_mov_b32_e32 v1, s19
	v_add_co_u32_e32 v0, vcc, s18, v6
	s_add_i32 s4, s4, 1
	s_add_i32 s17, s17, 16
	v_addc_co_u32_e32 v1, vcc, v7, v1, vcc
	s_cmp_eq_u32 s4, s22
	buffer_store_dword v17, v20, s[0:3], 0 offen offset:4
	buffer_store_dword v16, v20, s[0:3], 0 offen
	buffer_store_dword v19, v20, s[0:3], 0 offen offset:12
	buffer_store_dword v18, v20, s[0:3], 0 offen offset:8
	global_store_dwordx4 v[0:1], v[16:19], off
	s_cbranch_scc1 .LBB217_42
.LBB217_52:                             ;   Parent Loop BB217_40 Depth=1
                                        ;     Parent Loop BB217_43 Depth=2
                                        ; =>    This Loop Header: Depth=3
                                        ;         Child Loop BB217_54 Depth 4
	s_cmp_lg_u32 s4, 0
	s_cbranch_scc0 .LBB217_56
; %bb.53:                               ;   in Loop: Header=BB217_52 Depth=3
	s_lshl_b32 s18, s4, 4
	v_add_u32_e32 v12, s18, v10
	buffer_load_dword v0, v12, s[0:3], 0 offen
	buffer_load_dword v1, v12, s[0:3], 0 offen offset:4
	buffer_load_dword v2, v12, s[0:3], 0 offen offset:8
	;; [unrolled: 1-line block ×3, first 2 shown]
	s_add_i32 s18, s4, s6
	v_mov_b32_e32 v13, 0
	s_mov_b32 s19, 0
	s_mov_b32 s20, s17
.LBB217_54:                             ;   Parent Loop BB217_40 Depth=1
                                        ;     Parent Loop BB217_43 Depth=2
                                        ;       Parent Loop BB217_52 Depth=3
                                        ; =>      This Inner Loop Header: Depth=4
	buffer_load_dword v18, v13, s[0:3], 0 offen offset:8
	buffer_load_dword v19, v13, s[0:3], 0 offen offset:12
	buffer_load_dword v20, v13, s[0:3], 0 offen
	buffer_load_dword v21, v13, s[0:3], 0 offen offset:4
	v_mov_b32_e32 v14, s20
	ds_read_b128 v[14:17], v14
	s_add_i32 s19, s19, 1
	s_addk_i32 s20, 0x100
	v_add_u32_e32 v13, 16, v13
	s_cmp_ge_u32 s19, s4
	s_waitcnt vmcnt(2) lgkmcnt(0)
	v_mul_f64 v[22:23], v[16:17], v[18:19]
	v_mul_f64 v[18:19], v[14:15], v[18:19]
	s_waitcnt vmcnt(0)
	v_fma_f64 v[14:15], v[14:15], v[20:21], -v[22:23]
	v_fmac_f64_e32 v[18:19], v[16:17], v[20:21]
	v_add_f64 v[0:1], v[0:1], -v[14:15]
	v_add_f64 v[2:3], v[2:3], -v[18:19]
	buffer_store_dword v0, v12, s[0:3], 0 offen
	buffer_store_dword v1, v12, s[0:3], 0 offen offset:4
	buffer_store_dword v2, v12, s[0:3], 0 offen offset:8
	;; [unrolled: 1-line block ×3, first 2 shown]
	s_cbranch_scc0 .LBB217_54
; %bb.55:                               ;   in Loop: Header=BB217_52 Depth=3
	s_branch .LBB217_51
.LBB217_56:                             ;   in Loop: Header=BB217_52 Depth=3
                                        ; implicit-def: $vgpr0_vgpr1
                                        ; implicit-def: $vgpr2_vgpr3
                                        ; implicit-def: $sgpr18
	s_cbranch_execz .LBB217_51
; %bb.57:                               ;   in Loop: Header=BB217_52 Depth=3
	buffer_load_dword v0, off, s[0:3], 0
	buffer_load_dword v1, off, s[0:3], 0 offset:4
	buffer_load_dword v2, off, s[0:3], 0 offset:8
	;; [unrolled: 1-line block ×3, first 2 shown]
	s_mov_b32 s18, s6
	s_branch .LBB217_51
.LBB217_58:
	s_endpgm
	.section	.rodata,"a",@progbits
	.p2align	6, 0x0
	.amdhsa_kernel _ZL30rocblas_trsm_small_left_deviceILi16ELi16ELb1E19rocblas_complex_numIdES1_PKS1_PS1_Ev13rocblas_fill_18rocblas_operation_17rocblas_diagonal_iiT3_T4_lilT5_lili
		.amdhsa_group_segment_fixed_size 4096
		.amdhsa_private_segment_fixed_size 272
		.amdhsa_kernarg_size 368
		.amdhsa_user_sgpr_count 8
		.amdhsa_user_sgpr_private_segment_buffer 1
		.amdhsa_user_sgpr_dispatch_ptr 0
		.amdhsa_user_sgpr_queue_ptr 0
		.amdhsa_user_sgpr_kernarg_segment_ptr 1
		.amdhsa_user_sgpr_dispatch_id 0
		.amdhsa_user_sgpr_flat_scratch_init 1
		.amdhsa_user_sgpr_kernarg_preload_length 0
		.amdhsa_user_sgpr_kernarg_preload_offset 0
		.amdhsa_user_sgpr_private_segment_size 0
		.amdhsa_uses_dynamic_stack 0
		.amdhsa_system_sgpr_private_segment_wavefront_offset 1
		.amdhsa_system_sgpr_workgroup_id_x 1
		.amdhsa_system_sgpr_workgroup_id_y 0
		.amdhsa_system_sgpr_workgroup_id_z 1
		.amdhsa_system_sgpr_workgroup_info 0
		.amdhsa_system_vgpr_workitem_id 0
		.amdhsa_next_free_vgpr 24
		.amdhsa_next_free_sgpr 42
		.amdhsa_accum_offset 24
		.amdhsa_reserve_vcc 1
		.amdhsa_reserve_flat_scratch 0
		.amdhsa_float_round_mode_32 0
		.amdhsa_float_round_mode_16_64 0
		.amdhsa_float_denorm_mode_32 3
		.amdhsa_float_denorm_mode_16_64 3
		.amdhsa_dx10_clamp 1
		.amdhsa_ieee_mode 1
		.amdhsa_fp16_overflow 0
		.amdhsa_tg_split 0
		.amdhsa_exception_fp_ieee_invalid_op 0
		.amdhsa_exception_fp_denorm_src 0
		.amdhsa_exception_fp_ieee_div_zero 0
		.amdhsa_exception_fp_ieee_overflow 0
		.amdhsa_exception_fp_ieee_underflow 0
		.amdhsa_exception_fp_ieee_inexact 0
		.amdhsa_exception_int_div_zero 0
	.end_amdhsa_kernel
	.section	.text._ZL30rocblas_trsm_small_left_deviceILi16ELi16ELb1E19rocblas_complex_numIdES1_PKS1_PS1_Ev13rocblas_fill_18rocblas_operation_17rocblas_diagonal_iiT3_T4_lilT5_lili,"axG",@progbits,_ZL30rocblas_trsm_small_left_deviceILi16ELi16ELb1E19rocblas_complex_numIdES1_PKS1_PS1_Ev13rocblas_fill_18rocblas_operation_17rocblas_diagonal_iiT3_T4_lilT5_lili,comdat
.Lfunc_end217:
	.size	_ZL30rocblas_trsm_small_left_deviceILi16ELi16ELb1E19rocblas_complex_numIdES1_PKS1_PS1_Ev13rocblas_fill_18rocblas_operation_17rocblas_diagonal_iiT3_T4_lilT5_lili, .Lfunc_end217-_ZL30rocblas_trsm_small_left_deviceILi16ELi16ELb1E19rocblas_complex_numIdES1_PKS1_PS1_Ev13rocblas_fill_18rocblas_operation_17rocblas_diagonal_iiT3_T4_lilT5_lili
                                        ; -- End function
	.section	.AMDGPU.csdata,"",@progbits
; Kernel info:
; codeLenInByte = 3256
; NumSgprs: 46
; NumVgprs: 24
; NumAgprs: 0
; TotalNumVgprs: 24
; ScratchSize: 272
; MemoryBound: 0
; FloatMode: 240
; IeeeMode: 1
; LDSByteSize: 4096 bytes/workgroup (compile time only)
; SGPRBlocks: 5
; VGPRBlocks: 2
; NumSGPRsForWavesPerEU: 46
; NumVGPRsForWavesPerEU: 24
; AccumOffset: 24
; Occupancy: 4
; WaveLimiterHint : 0
; COMPUTE_PGM_RSRC2:SCRATCH_EN: 1
; COMPUTE_PGM_RSRC2:USER_SGPR: 8
; COMPUTE_PGM_RSRC2:TRAP_HANDLER: 0
; COMPUTE_PGM_RSRC2:TGID_X_EN: 1
; COMPUTE_PGM_RSRC2:TGID_Y_EN: 0
; COMPUTE_PGM_RSRC2:TGID_Z_EN: 1
; COMPUTE_PGM_RSRC2:TIDIG_COMP_CNT: 0
; COMPUTE_PGM_RSRC3_GFX90A:ACCUM_OFFSET: 5
; COMPUTE_PGM_RSRC3_GFX90A:TG_SPLIT: 0
	.section	.text._ZL31rocblas_trsm_small_right_deviceI19rocblas_complex_numIdES1_PKS1_PS1_Li16EEv13rocblas_fill_18rocblas_operation_17rocblas_diagonal_iiT0_T1_lilT2_lili,"axG",@progbits,_ZL31rocblas_trsm_small_right_deviceI19rocblas_complex_numIdES1_PKS1_PS1_Li16EEv13rocblas_fill_18rocblas_operation_17rocblas_diagonal_iiT0_T1_lilT2_lili,comdat
	.globl	_ZL31rocblas_trsm_small_right_deviceI19rocblas_complex_numIdES1_PKS1_PS1_Li16EEv13rocblas_fill_18rocblas_operation_17rocblas_diagonal_iiT0_T1_lilT2_lili ; -- Begin function _ZL31rocblas_trsm_small_right_deviceI19rocblas_complex_numIdES1_PKS1_PS1_Li16EEv13rocblas_fill_18rocblas_operation_17rocblas_diagonal_iiT0_T1_lilT2_lili
	.p2align	8
	.type	_ZL31rocblas_trsm_small_right_deviceI19rocblas_complex_numIdES1_PKS1_PS1_Li16EEv13rocblas_fill_18rocblas_operation_17rocblas_diagonal_iiT0_T1_lilT2_lili,@function
_ZL31rocblas_trsm_small_right_deviceI19rocblas_complex_numIdES1_PKS1_PS1_Li16EEv13rocblas_fill_18rocblas_operation_17rocblas_diagonal_iiT0_T1_lilT2_lili: ; @_ZL31rocblas_trsm_small_right_deviceI19rocblas_complex_numIdES1_PKS1_PS1_Li16EEv13rocblas_fill_18rocblas_operation_17rocblas_diagonal_iiT0_T1_lilT2_lili
; %bb.0:
	s_load_dwordx4 s[16:19], s[4:5], 0x0
	s_load_dword s33, s[4:5], 0x10
	s_load_dwordx8 s[8:15], s[4:5], 0x18
	s_load_dwordx2 s[20:21], s[4:5], 0x50
	s_load_dwordx4 s[0:3], s[4:5], 0x40
	s_mov_b32 s36, 0
	s_waitcnt lgkmcnt(0)
	s_min_i32 s34, s33, 16
	s_add_i32 s35, s34, -1
	v_cmp_gt_i32_e32 vcc, s34, v0
	s_and_saveexec_b64 s[22:23], vcc
	s_cbranch_execz .LBB218_9
; %bb.1:
	s_load_dword s24, s[4:5], 0x38
	s_mul_i32 s37, s1, s7
	s_mul_hi_u32 s38, s0, s7
	s_mul_i32 s26, s0, s7
	s_waitcnt lgkmcnt(0)
	s_ashr_i32 s25, s24, 31
	s_cmpk_eq_i32 s17, 0x71
	s_cselect_b64 vcc, -1, 0
	s_cmp_lt_u32 s35, 3
	s_cbranch_scc1 .LBB218_4
; %bb.2:
	s_add_i32 s27, s38, s37
	s_and_b32 s36, s34, -4
	s_lshl_b64 s[0:1], s[26:27], 4
	s_lshl_b64 s[28:29], s[14:15], 4
	s_add_u32 s0, s0, s28
	s_addc_u32 s1, s1, s29
	s_add_u32 s0, s12, s0
	v_lshlrev_b32_e32 v2, 4, v0
	s_addc_u32 s1, s13, s1
	v_mov_b32_e32 v3, s1
	v_add_co_u32_e64 v2, s[0:1], s0, v2
	v_addc_co_u32_e64 v3, s[0:1], 0, v3, s[0:1]
	v_add_co_u32_e64 v2, s[0:1], 8, v2
	s_lshl_b64 s[28:29], s[24:25], 6
	s_lshl_b64 s[30:31], s[24:25], 4
	v_lshlrev_b32_e32 v1, 4, v0
	v_addc_co_u32_e64 v3, s[0:1], 0, v3, s[0:1]
	s_mov_b32 s27, 0
	v_mov_b32_e32 v4, s31
	v_mov_b32_e32 v5, s29
.LBB218_3:                              ; =>This Inner Loop Header: Depth=1
	v_add_co_u32_e64 v18, s[0:1], s30, v2
	v_addc_co_u32_e64 v19, s[0:1], v3, v4, s[0:1]
	v_add_co_u32_e64 v20, s[0:1], s30, v18
	global_load_dwordx4 v[6:9], v[2:3], off offset:-8
	v_addc_co_u32_e64 v21, s[0:1], v19, v4, s[0:1]
	global_load_dwordx4 v[10:13], v[18:19], off offset:-8
	global_load_dwordx4 v[14:17], v[20:21], off offset:-8
	v_add_co_u32_e64 v18, s[0:1], s30, v20
	v_addc_co_u32_e64 v19, s[0:1], v21, v4, s[0:1]
	global_load_dwordx4 v[18:21], v[18:19], off offset:-8
	s_add_i32 s27, s27, 4
	v_add_co_u32_e64 v2, s[0:1], s28, v2
	s_cmp_eq_u32 s36, s27
	v_addc_co_u32_e64 v3, s[0:1], v3, v5, s[0:1]
	s_waitcnt vmcnt(3)
	v_xor_b32_e32 v22, 0x80000000, v9
	v_cndmask_b32_e32 v9, v9, v22, vcc
	ds_write_b128 v1, v[6:9]
	s_waitcnt vmcnt(1)
	v_xor_b32_e32 v6, 0x80000000, v17
	v_xor_b32_e32 v22, 0x80000000, v13
	v_cndmask_b32_e32 v17, v17, v6, vcc
	v_cndmask_b32_e32 v13, v13, v22, vcc
	ds_write_b128 v1, v[10:13] offset:256
	s_waitcnt vmcnt(0)
	v_xor_b32_e32 v6, 0x80000000, v21
	v_cndmask_b32_e32 v21, v21, v6, vcc
	ds_write_b128 v1, v[14:17] offset:512
	ds_write_b128 v1, v[18:21] offset:768
	v_add_u32_e32 v1, 0x400, v1
	s_cbranch_scc0 .LBB218_3
.LBB218_4:
	s_and_b32 s28, s34, 3
	s_cmp_eq_u32 s28, 0
	s_cbranch_scc1 .LBB218_7
; %bb.5:
	s_add_i32 s27, s38, s37
	s_lshl_b64 s[0:1], s[26:27], 4
	s_mul_i32 s26, s25, s36
	s_mul_hi_u32 s27, s24, s36
	s_add_i32 s27, s27, s26
	s_mul_i32 s26, s24, s36
	s_lshl_b64 s[26:27], s[26:27], 4
	s_add_u32 s26, s0, s26
	s_addc_u32 s27, s1, s27
	s_lshl_b64 s[0:1], s[14:15], 4
	s_add_u32 s0, s26, s0
	s_addc_u32 s1, s27, s1
	s_add_u32 s0, s12, s0
	v_lshlrev_b32_e32 v2, 4, v0
	s_addc_u32 s1, s13, s1
	v_lshl_or_b32 v1, s36, 8, v2
	v_mov_b32_e32 v3, s1
	v_add_co_u32_e64 v2, s[0:1], s0, v2
	v_addc_co_u32_e64 v3, s[0:1], 0, v3, s[0:1]
	v_add_co_u32_e64 v2, s[0:1], 8, v2
	s_lshl_b64 s[12:13], s[24:25], 4
	v_addc_co_u32_e64 v3, s[0:1], 0, v3, s[0:1]
	v_mov_b32_e32 v4, s13
.LBB218_6:                              ; =>This Inner Loop Header: Depth=1
	global_load_dwordx4 v[6:9], v[2:3], off offset:-8
	v_add_co_u32_e64 v2, s[0:1], s12, v2
	s_add_i32 s28, s28, -1
	v_addc_co_u32_e64 v3, s[0:1], v3, v4, s[0:1]
	s_cmp_lg_u32 s28, 0
	s_waitcnt vmcnt(0)
	v_xor_b32_e32 v5, 0x80000000, v9
	v_cndmask_b32_e32 v9, v9, v5, vcc
	ds_write_b128 v1, v[6:9]
	v_add_u32_e32 v1, 0x100, v1
	s_cbranch_scc1 .LBB218_6
.LBB218_7:
	s_cmpk_eq_i32 s18, 0x84
	s_cbranch_scc0 .LBB218_9
; %bb.8:
	v_mul_u32_u24_e32 v1, 17, v0
	v_mov_b32_e32 v2, 0
	v_lshlrev_b32_e32 v1, 4, v1
	v_mov_b32_e32 v3, 0x3ff00000
	v_mov_b32_e32 v4, v2
	;; [unrolled: 1-line block ×3, first 2 shown]
	ds_write_b128 v1, v[2:5]
.LBB218_9:
	s_or_b64 exec, exec, s[22:23]
	s_load_dword s1, s[4:5], 0x70
	s_load_dwordx2 s[12:13], s[4:5], 0x60
	s_load_dword s0, s[4:5], 0x58
	s_mov_b32 s26, 0
	s_waitcnt lgkmcnt(0)
	s_mul_i32 s5, s7, s13
	s_mul_hi_u32 s13, s7, s12
	s_mul_i32 s4, s7, s12
	s_add_i32 s5, s13, s5
	s_lshl_b64 s[12:13], s[4:5], 4
	s_add_u32 s7, s2, s12
	s_addc_u32 s14, s3, s13
	s_lshl_b64 s[4:5], s[20:21], 4
	s_add_u32 s15, s7, s4
	s_addc_u32 s14, s14, s5
	s_lshl_b32 s7, s6, 4
	s_add_i32 s1, s1, -1
	s_sub_i32 s7, s19, s7
	s_cmp_ge_u32 s6, s1
	s_cselect_b32 s1, s7, 16
	s_ashr_i32 s7, s6, 31
	s_lshl_b64 s[6:7], s[6:7], 8
	s_add_u32 s24, s15, s6
	s_addc_u32 s25, s14, s7
	s_cmp_gt_i32 s33, 0
	v_cmp_gt_i32_e32 vcc, s1, v0
	s_cselect_b64 s[14:15], -1, 0
	s_and_b64 s[14:15], vcc, s[14:15]
	s_and_saveexec_b64 s[18:19], s[14:15]
	s_cbranch_execz .LBB218_16
; %bb.10:
	s_ashr_i32 s1, s0, 31
	s_cmp_lt_u32 s33, 4
	s_cbranch_scc1 .LBB218_13
; %bb.11:
	v_lshlrev_b32_e32 v1, 4, v0
	v_mov_b32_e32 v3, s25
	v_add_co_u32_e32 v2, vcc, s24, v1
	v_mov_b32_e32 v1, 0x1000
	s_lshl_b64 s[20:21], s[0:1], 6
	s_lshl_b64 s[22:23], s[0:1], 4
	v_addc_co_u32_e32 v3, vcc, 0, v3, vcc
	s_and_b32 s26, s33, 0x7ffffffc
	v_lshl_or_b32 v1, v0, 4, v1
	s_mov_b32 s27, 0
	v_mov_b32_e32 v4, s23
	v_mov_b32_e32 v5, s21
.LBB218_12:                             ; =>This Inner Loop Header: Depth=1
	v_add_co_u32_e32 v14, vcc, s22, v2
	v_addc_co_u32_e32 v15, vcc, v3, v4, vcc
	v_add_co_u32_e32 v18, vcc, s22, v14
	global_load_dwordx4 v[6:9], v[2:3], off
	global_load_dwordx4 v[10:13], v[14:15], off
	v_addc_co_u32_e32 v19, vcc, v15, v4, vcc
	global_load_dwordx4 v[14:17], v[18:19], off
	v_add_co_u32_e32 v18, vcc, s22, v18
	v_addc_co_u32_e32 v19, vcc, v19, v4, vcc
	global_load_dwordx4 v[18:21], v[18:19], off
	s_add_i32 s27, s27, 4
	v_add_co_u32_e32 v2, vcc, s20, v2
	s_cmp_lg_u32 s26, s27
	v_addc_co_u32_e32 v3, vcc, v3, v5, vcc
	s_waitcnt vmcnt(3)
	v_mul_f64 v[22:23], s[10:11], v[8:9]
	v_mul_f64 v[24:25], s[8:9], v[8:9]
	v_fma_f64 v[22:23], s[8:9], v[6:7], -v[22:23]
	v_fmac_f64_e32 v[24:25], s[10:11], v[6:7]
	s_waitcnt vmcnt(2)
	v_mul_f64 v[6:7], s[10:11], v[12:13]
	v_mul_f64 v[8:9], s[8:9], v[12:13]
	v_fma_f64 v[6:7], s[8:9], v[10:11], -v[6:7]
	v_fmac_f64_e32 v[8:9], s[10:11], v[10:11]
	s_waitcnt vmcnt(1)
	v_mul_f64 v[12:13], s[10:11], v[16:17]
	v_mul_f64 v[10:11], s[8:9], v[16:17]
	ds_write_b128 v1, v[6:9] offset:256
	v_fma_f64 v[8:9], s[8:9], v[14:15], -v[12:13]
	v_fmac_f64_e32 v[10:11], s[10:11], v[14:15]
	s_waitcnt vmcnt(0)
	v_mul_f64 v[6:7], s[10:11], v[20:21]
	v_mul_f64 v[12:13], s[8:9], v[20:21]
	ds_write_b128 v1, v[8:11] offset:512
	v_fma_f64 v[10:11], s[8:9], v[18:19], -v[6:7]
	v_fmac_f64_e32 v[12:13], s[10:11], v[18:19]
	ds_write_b128 v1, v[22:25]
	ds_write_b128 v1, v[10:13] offset:768
	v_add_u32_e32 v1, 0x400, v1
	s_cbranch_scc1 .LBB218_12
.LBB218_13:
	s_and_b32 s22, s33, 3
	s_cmp_eq_u32 s22, 0
	s_cbranch_scc1 .LBB218_16
; %bb.14:
	s_mul_hi_i32 s21, s0, s26
	s_mul_i32 s20, s0, s26
	s_lshl_b64 s[20:21], s[20:21], 4
	s_add_u32 s20, s12, s20
	s_addc_u32 s21, s13, s21
	s_add_u32 s20, s20, s6
	s_addc_u32 s21, s21, s7
	;; [unrolled: 2-line block ×3, first 2 shown]
	s_add_u32 s20, s2, s20
	v_lshlrev_b32_e32 v2, 4, v0
	s_addc_u32 s21, s3, s21
	v_lshl_or_b32 v1, s26, 8, v2
	v_mov_b32_e32 v3, s21
	v_add_co_u32_e32 v2, vcc, s20, v2
	v_addc_co_u32_e32 v3, vcc, 0, v3, vcc
	v_add_co_u32_e32 v2, vcc, 8, v2
	s_lshl_b64 s[20:21], s[0:1], 4
	v_add_u32_e32 v1, 0x1000, v1
	v_addc_co_u32_e32 v3, vcc, 0, v3, vcc
	v_mov_b32_e32 v4, s21
.LBB218_15:                             ; =>This Inner Loop Header: Depth=1
	global_load_dwordx4 v[6:9], v[2:3], off offset:-8
	s_add_i32 s22, s22, -1
	v_add_co_u32_e32 v2, vcc, s20, v2
	v_addc_co_u32_e32 v3, vcc, v3, v4, vcc
	s_cmp_lg_u32 s22, 0
	s_waitcnt vmcnt(0)
	v_mul_f64 v[12:13], s[10:11], v[8:9]
	v_mul_f64 v[10:11], s[8:9], v[8:9]
	v_fma_f64 v[8:9], s[8:9], v[6:7], -v[12:13]
	v_fmac_f64_e32 v[10:11], s[10:11], v[6:7]
	ds_write_b128 v1, v[8:11]
	v_add_u32_e32 v1, 0x100, v1
	s_cbranch_scc1 .LBB218_15
.LBB218_16:
	s_or_b64 exec, exec, s[18:19]
	s_cmpk_eq_i32 s17, 0x6f
	s_cselect_b64 s[8:9], -1, 0
	s_cmpk_eq_i32 s16, 0x79
	s_cselect_b64 s[18:19], -1, 0
	s_cmpk_lg_i32 s16, 0x79
	s_cselect_b64 s[10:11], -1, 0
	s_and_b64 s[18:19], s[18:19], s[8:9]
	s_andn2_b64 vcc, exec, s[18:19]
	s_mov_b64 s[18:19], -1
	s_waitcnt lgkmcnt(0)
	; wave barrier
	s_waitcnt lgkmcnt(0)
	s_cbranch_vccz .LBB218_124
; %bb.17:
	s_cmpk_lg_i32 s16, 0x7a
	s_cselect_b64 s[18:19], -1, 0
	s_xor_b64 s[8:9], s[8:9], -1
	s_or_b64 s[18:19], s[18:19], s[8:9]
	s_cmp_gt_i32 s33, 3
	s_mov_b64 s[16:17], -1
	s_cselect_b64 s[8:9], -1, 0
	s_and_b64 vcc, exec, s[18:19]
	s_cbranch_vccz .LBB218_91
; %bb.18:
	s_andn2_b64 vcc, exec, s[10:11]
	s_mov_b64 s[10:11], -1
	s_cbranch_vccnz .LBB218_58
; %bb.19:
	s_andn2_b64 vcc, exec, s[8:9]
	s_mov_b32 s17, 0
	s_cbranch_vccnz .LBB218_42
; %bb.20:
	v_mov_b32_e32 v1, 0x1000
	v_lshl_or_b32 v1, v0, 4, v1
	s_mov_b32 s1, 0
	s_mov_b32 s16, 0
.LBB218_21:                             ; =>This Loop Header: Depth=1
                                        ;     Child Loop BB218_23 Depth 2
	s_lshl_b32 s11, s16, 4
	v_or_b32_e32 v2, s11, v0
	s_or_b32 s18, s11, 16
	v_lshlrev_b32_e32 v14, 4, v2
	v_or_b32_e32 v2, s18, v0
	s_or_b32 s17, s11, 32
	v_lshlrev_b32_e32 v15, 4, v2
	v_or_b32_e32 v2, s17, v0
	s_lshl_b32 s10, s16, 8
	v_lshlrev_b32_e32 v16, 4, v2
	ds_read_b128 v[18:21], v14 offset:4096
	ds_read_b128 v[10:13], v15 offset:4096
	v_lshl_or_b32 v17, v0, 4, s10
	ds_read_b128 v[6:9], v16 offset:4096
	ds_read_b128 v[2:5], v17 offset:4864
	s_cmp_eq_u32 s16, 0
	s_cbranch_scc1 .LBB218_24
; %bb.22:                               ;   in Loop: Header=BB218_21 Depth=1
	s_mov_b32 s10, 0
	v_mov_b32_e32 v22, v1
	s_mov_b32 s11, s1
.LBB218_23:                             ;   Parent Loop BB218_21 Depth=1
                                        ; =>  This Inner Loop Header: Depth=2
	v_mov_b32_e32 v23, s11
	ds_read_b128 v[24:27], v22
	ds_read_b128 v[28:31], v22 offset:256
	ds_read_b128 v[32:35], v23
	ds_read_b128 v[36:39], v23 offset:16
	ds_read_b128 v[40:43], v23 offset:32
	ds_read_b128 v[44:47], v23 offset:48
	ds_read_b128 v[48:51], v23 offset:256
	ds_read_b128 v[52:55], v23 offset:272
	ds_read_b128 v[56:59], v23 offset:288
	ds_read_b128 v[60:63], v23 offset:304
	s_add_i32 s10, s10, 2
	s_addk_i32 s11, 0x200
	s_waitcnt lgkmcnt(7)
	v_mul_f64 v[64:65], v[26:27], v[34:35]
	v_mul_f64 v[34:35], v[24:25], v[34:35]
	s_waitcnt lgkmcnt(6)
	v_mul_f64 v[66:67], v[26:27], v[38:39]
	v_mul_f64 v[38:39], v[24:25], v[38:39]
	;; [unrolled: 3-line block ×8, first 2 shown]
	v_fma_f64 v[64:65], v[24:25], v[32:33], -v[64:65]
	v_fmac_f64_e32 v[34:35], v[26:27], v[32:33]
	v_fma_f64 v[32:33], v[24:25], v[36:37], -v[66:67]
	v_fmac_f64_e32 v[38:39], v[26:27], v[36:37]
	v_fma_f64 v[36:37], v[24:25], v[40:41], -v[68:69]
	v_fmac_f64_e32 v[42:43], v[26:27], v[40:41]
	v_fma_f64 v[24:25], v[24:25], v[44:45], -v[70:71]
	v_fmac_f64_e32 v[46:47], v[26:27], v[44:45]
	v_fma_f64 v[26:27], v[28:29], v[48:49], -v[72:73]
	v_fmac_f64_e32 v[50:51], v[30:31], v[48:49]
	v_fma_f64 v[40:41], v[28:29], v[52:53], -v[74:75]
	v_fmac_f64_e32 v[54:55], v[30:31], v[52:53]
	v_fma_f64 v[44:45], v[28:29], v[56:57], -v[76:77]
	v_fmac_f64_e32 v[58:59], v[30:31], v[56:57]
	v_fma_f64 v[28:29], v[28:29], v[60:61], -v[78:79]
	v_fmac_f64_e32 v[62:63], v[30:31], v[60:61]
	v_add_f64 v[18:19], v[18:19], -v[64:65]
	v_add_f64 v[20:21], v[20:21], -v[34:35]
	;; [unrolled: 1-line block ×8, first 2 shown]
	v_add_u32_e32 v22, 0x200, v22
	s_cmp_ge_u32 s10, s16
	v_add_f64 v[18:19], v[18:19], -v[26:27]
	v_add_f64 v[20:21], v[20:21], -v[50:51]
	;; [unrolled: 1-line block ×8, first 2 shown]
	s_cbranch_scc0 .LBB218_23
.LBB218_24:                             ;   in Loop: Header=BB218_21 Depth=1
	s_mul_i32 s19, s16, 0x110
	v_add_u32_e32 v29, 0x1000, v14
	v_mov_b32_e32 v14, s19
	ds_read_b128 v[22:25], v14
	v_add_u32_e32 v28, 0x1000, v15
	v_add_u32_e32 v27, 0x1000, v16
	;; [unrolled: 1-line block ×3, first 2 shown]
	s_waitcnt lgkmcnt(0)
	v_xor_b32_e32 v15, 0x80000000, v23
	v_cmp_gt_f64_e32 vcc, 0, v[22:23]
	v_xor_b32_e32 v16, 0x80000000, v25
	v_cndmask_b32_e32 v15, v23, v15, vcc
	v_cmp_gt_f64_e32 vcc, 0, v[24:25]
	v_mov_b32_e32 v14, v22
	v_cndmask_b32_e32 v17, v25, v16, vcc
	v_mov_b32_e32 v16, v24
	v_cmp_ngt_f64_e32 vcc, v[14:15], v[16:17]
	s_cbranch_vccz .LBB218_26
; %bb.25:                               ;   in Loop: Header=BB218_21 Depth=1
	v_div_scale_f64 v[14:15], s[10:11], v[24:25], v[24:25], v[22:23]
	v_rcp_f64_e32 v[16:17], v[14:15]
	v_div_scale_f64 v[30:31], vcc, v[22:23], v[24:25], v[22:23]
	v_fma_f64 v[32:33], -v[14:15], v[16:17], 1.0
	v_fmac_f64_e32 v[16:17], v[16:17], v[32:33]
	v_fma_f64 v[32:33], -v[14:15], v[16:17], 1.0
	v_fmac_f64_e32 v[16:17], v[16:17], v[32:33]
	v_mul_f64 v[32:33], v[30:31], v[16:17]
	v_fma_f64 v[14:15], -v[14:15], v[32:33], v[30:31]
	v_div_fmas_f64 v[14:15], v[14:15], v[16:17], v[32:33]
	v_div_fixup_f64 v[16:17], v[14:15], v[24:25], v[22:23]
	v_fma_f64 v[14:15], v[22:23], v[16:17], v[24:25]
	v_div_scale_f64 v[30:31], s[10:11], v[14:15], v[14:15], 1.0
	v_rcp_f64_e32 v[32:33], v[30:31]
	v_fma_f64 v[34:35], -v[30:31], v[32:33], 1.0
	v_fmac_f64_e32 v[32:33], v[32:33], v[34:35]
	v_fma_f64 v[34:35], -v[30:31], v[32:33], 1.0
	v_fmac_f64_e32 v[32:33], v[32:33], v[34:35]
	v_div_scale_f64 v[34:35], vcc, 1.0, v[14:15], 1.0
	v_mul_f64 v[36:37], v[34:35], v[32:33]
	v_fma_f64 v[30:31], -v[30:31], v[36:37], v[34:35]
	s_nop 1
	v_div_fmas_f64 v[30:31], v[30:31], v[32:33], v[36:37]
	v_div_fixup_f64 v[30:31], v[30:31], v[14:15], 1.0
	v_fma_f64 v[14:15], v[18:19], v[16:17], v[20:21]
	v_fma_f64 v[16:17], v[20:21], v[16:17], -v[18:19]
	v_mul_f64 v[14:15], v[14:15], v[30:31]
	v_mul_f64 v[16:17], v[16:17], v[30:31]
	s_cbranch_execz .LBB218_27
	s_branch .LBB218_28
.LBB218_26:                             ;   in Loop: Header=BB218_21 Depth=1
                                        ; implicit-def: $vgpr16_vgpr17
.LBB218_27:                             ;   in Loop: Header=BB218_21 Depth=1
	v_div_scale_f64 v[14:15], s[10:11], v[22:23], v[22:23], v[24:25]
	v_rcp_f64_e32 v[16:17], v[14:15]
	v_div_scale_f64 v[30:31], vcc, v[24:25], v[22:23], v[24:25]
	v_fma_f64 v[32:33], -v[14:15], v[16:17], 1.0
	v_fmac_f64_e32 v[16:17], v[16:17], v[32:33]
	v_fma_f64 v[32:33], -v[14:15], v[16:17], 1.0
	v_fmac_f64_e32 v[16:17], v[16:17], v[32:33]
	v_mul_f64 v[32:33], v[30:31], v[16:17]
	v_fma_f64 v[14:15], -v[14:15], v[32:33], v[30:31]
	v_div_fmas_f64 v[14:15], v[14:15], v[16:17], v[32:33]
	v_div_fixup_f64 v[16:17], v[14:15], v[22:23], v[24:25]
	v_fmac_f64_e32 v[22:23], v[24:25], v[16:17]
	v_div_scale_f64 v[14:15], s[10:11], v[22:23], v[22:23], 1.0
	v_rcp_f64_e32 v[24:25], v[14:15]
	v_fma_f64 v[30:31], -v[14:15], v[24:25], 1.0
	v_fmac_f64_e32 v[24:25], v[24:25], v[30:31]
	v_fma_f64 v[30:31], -v[14:15], v[24:25], 1.0
	v_fmac_f64_e32 v[24:25], v[24:25], v[30:31]
	v_div_scale_f64 v[30:31], vcc, 1.0, v[22:23], 1.0
	v_mul_f64 v[32:33], v[30:31], v[24:25]
	v_fma_f64 v[14:15], -v[14:15], v[32:33], v[30:31]
	s_nop 1
	v_div_fmas_f64 v[14:15], v[14:15], v[24:25], v[32:33]
	v_div_fixup_f64 v[22:23], v[14:15], v[22:23], 1.0
	v_fma_f64 v[14:15], v[20:21], v[16:17], v[18:19]
	v_fma_f64 v[16:17], -v[18:19], v[16:17], v[20:21]
	v_mul_f64 v[14:15], v[14:15], v[22:23]
	v_mul_f64 v[16:17], v[16:17], v[22:23]
.LBB218_28:                             ;   in Loop: Header=BB218_21 Depth=1
	v_mov_b32_e32 v18, s19
	ds_read_b128 v[22:25], v18 offset:16
	ds_read_b128 v[18:21], v18 offset:272
	ds_write_b128 v29, v[14:17]
	s_waitcnt lgkmcnt(2)
	v_mul_f64 v[30:31], v[16:17], v[24:25]
	v_mul_f64 v[24:25], v[14:15], v[24:25]
	v_fma_f64 v[30:31], v[14:15], v[22:23], -v[30:31]
	v_fmac_f64_e32 v[24:25], v[16:17], v[22:23]
	v_add_f64 v[22:23], v[10:11], -v[30:31]
	s_waitcnt lgkmcnt(1)
	v_xor_b32_e32 v10, 0x80000000, v19
	v_cmp_gt_f64_e32 vcc, 0, v[18:19]
	v_add_f64 v[24:25], v[12:13], -v[24:25]
	v_cndmask_b32_e32 v11, v19, v10, vcc
	v_xor_b32_e32 v12, 0x80000000, v21
	v_cmp_gt_f64_e32 vcc, 0, v[20:21]
	v_mov_b32_e32 v10, v18
	v_cndmask_b32_e32 v13, v21, v12, vcc
	v_mov_b32_e32 v12, v20
	v_cmp_ngt_f64_e32 vcc, v[10:11], v[12:13]
	s_cbranch_vccz .LBB218_30
; %bb.29:                               ;   in Loop: Header=BB218_21 Depth=1
	v_div_scale_f64 v[10:11], s[10:11], v[20:21], v[20:21], v[18:19]
	v_rcp_f64_e32 v[12:13], v[10:11]
	v_div_scale_f64 v[30:31], vcc, v[18:19], v[20:21], v[18:19]
	v_fma_f64 v[32:33], -v[10:11], v[12:13], 1.0
	v_fmac_f64_e32 v[12:13], v[12:13], v[32:33]
	v_fma_f64 v[32:33], -v[10:11], v[12:13], 1.0
	v_fmac_f64_e32 v[12:13], v[12:13], v[32:33]
	v_mul_f64 v[32:33], v[30:31], v[12:13]
	v_fma_f64 v[10:11], -v[10:11], v[32:33], v[30:31]
	v_div_fmas_f64 v[10:11], v[10:11], v[12:13], v[32:33]
	v_div_fixup_f64 v[12:13], v[10:11], v[20:21], v[18:19]
	v_fma_f64 v[10:11], v[18:19], v[12:13], v[20:21]
	v_div_scale_f64 v[30:31], s[10:11], v[10:11], v[10:11], 1.0
	v_rcp_f64_e32 v[32:33], v[30:31]
	v_fma_f64 v[34:35], -v[30:31], v[32:33], 1.0
	v_fmac_f64_e32 v[32:33], v[32:33], v[34:35]
	v_fma_f64 v[34:35], -v[30:31], v[32:33], 1.0
	v_fmac_f64_e32 v[32:33], v[32:33], v[34:35]
	v_div_scale_f64 v[34:35], vcc, 1.0, v[10:11], 1.0
	v_mul_f64 v[36:37], v[34:35], v[32:33]
	v_fma_f64 v[30:31], -v[30:31], v[36:37], v[34:35]
	s_nop 1
	v_div_fmas_f64 v[30:31], v[30:31], v[32:33], v[36:37]
	v_div_fixup_f64 v[30:31], v[30:31], v[10:11], 1.0
	v_fma_f64 v[10:11], v[12:13], v[22:23], v[24:25]
	v_fma_f64 v[12:13], v[12:13], v[24:25], -v[22:23]
	v_mul_f64 v[10:11], v[10:11], v[30:31]
	v_mul_f64 v[12:13], v[12:13], v[30:31]
	s_cbranch_execz .LBB218_31
	s_branch .LBB218_32
.LBB218_30:                             ;   in Loop: Header=BB218_21 Depth=1
                                        ; implicit-def: $vgpr12_vgpr13
.LBB218_31:                             ;   in Loop: Header=BB218_21 Depth=1
	v_div_scale_f64 v[10:11], s[10:11], v[18:19], v[18:19], v[20:21]
	v_rcp_f64_e32 v[12:13], v[10:11]
	v_div_scale_f64 v[30:31], vcc, v[20:21], v[18:19], v[20:21]
	v_fma_f64 v[32:33], -v[10:11], v[12:13], 1.0
	v_fmac_f64_e32 v[12:13], v[12:13], v[32:33]
	v_fma_f64 v[32:33], -v[10:11], v[12:13], 1.0
	v_fmac_f64_e32 v[12:13], v[12:13], v[32:33]
	v_mul_f64 v[32:33], v[30:31], v[12:13]
	v_fma_f64 v[10:11], -v[10:11], v[32:33], v[30:31]
	v_div_fmas_f64 v[10:11], v[10:11], v[12:13], v[32:33]
	v_div_fixup_f64 v[12:13], v[10:11], v[18:19], v[20:21]
	v_fmac_f64_e32 v[18:19], v[20:21], v[12:13]
	v_div_scale_f64 v[10:11], s[10:11], v[18:19], v[18:19], 1.0
	v_rcp_f64_e32 v[20:21], v[10:11]
	v_fma_f64 v[30:31], -v[10:11], v[20:21], 1.0
	v_fmac_f64_e32 v[20:21], v[20:21], v[30:31]
	v_fma_f64 v[30:31], -v[10:11], v[20:21], 1.0
	v_fmac_f64_e32 v[20:21], v[20:21], v[30:31]
	v_div_scale_f64 v[30:31], vcc, 1.0, v[18:19], 1.0
	v_mul_f64 v[32:33], v[30:31], v[20:21]
	v_fma_f64 v[10:11], -v[10:11], v[32:33], v[30:31]
	s_nop 1
	v_div_fmas_f64 v[10:11], v[10:11], v[20:21], v[32:33]
	v_div_fixup_f64 v[18:19], v[10:11], v[18:19], 1.0
	v_fma_f64 v[10:11], v[12:13], v[24:25], v[22:23]
	v_fma_f64 v[12:13], -v[12:13], v[22:23], v[24:25]
	v_mul_f64 v[10:11], v[10:11], v[18:19]
	v_mul_f64 v[12:13], v[12:13], v[18:19]
.LBB218_32:                             ;   in Loop: Header=BB218_21 Depth=1
	v_mov_b32_e32 v18, s19
	ds_read_b128 v[22:25], v18 offset:32
	s_add_i32 s18, s18, s16
	ds_write_b128 v28, v[10:13]
	s_lshl_b32 s18, s18, 4
	ds_read_b128 v[18:21], v18 offset:544
	s_waitcnt lgkmcnt(2)
	v_mul_f64 v[28:29], v[16:17], v[24:25]
	v_fma_f64 v[32:33], v[14:15], v[22:23], -v[28:29]
	v_mov_b32_e32 v28, s18
	ds_read_b128 v[28:31], v28 offset:32
	v_mul_f64 v[24:25], v[14:15], v[24:25]
	v_fmac_f64_e32 v[24:25], v[16:17], v[22:23]
	v_add_f64 v[6:7], v[6:7], -v[32:33]
	v_add_f64 v[8:9], v[8:9], -v[24:25]
	s_waitcnt lgkmcnt(0)
	v_mul_f64 v[22:23], v[12:13], v[30:31]
	v_fma_f64 v[22:23], v[10:11], v[28:29], -v[22:23]
	v_mul_f64 v[24:25], v[10:11], v[30:31]
	v_fmac_f64_e32 v[24:25], v[12:13], v[28:29]
	v_add_f64 v[6:7], v[6:7], -v[22:23]
	v_xor_b32_e32 v22, 0x80000000, v19
	v_cmp_gt_f64_e32 vcc, 0, v[18:19]
	v_add_f64 v[8:9], v[8:9], -v[24:25]
	v_cndmask_b32_e32 v23, v19, v22, vcc
	v_xor_b32_e32 v24, 0x80000000, v21
	v_cmp_gt_f64_e32 vcc, 0, v[20:21]
	v_mov_b32_e32 v22, v18
	v_cndmask_b32_e32 v25, v21, v24, vcc
	v_mov_b32_e32 v24, v20
	v_cmp_ngt_f64_e32 vcc, v[22:23], v[24:25]
	s_cbranch_vccz .LBB218_34
; %bb.33:                               ;   in Loop: Header=BB218_21 Depth=1
	v_div_scale_f64 v[22:23], s[10:11], v[20:21], v[20:21], v[18:19]
	v_rcp_f64_e32 v[24:25], v[22:23]
	v_div_scale_f64 v[28:29], vcc, v[18:19], v[20:21], v[18:19]
	v_fma_f64 v[30:31], -v[22:23], v[24:25], 1.0
	v_fmac_f64_e32 v[24:25], v[24:25], v[30:31]
	v_fma_f64 v[30:31], -v[22:23], v[24:25], 1.0
	v_fmac_f64_e32 v[24:25], v[24:25], v[30:31]
	v_mul_f64 v[30:31], v[28:29], v[24:25]
	v_fma_f64 v[22:23], -v[22:23], v[30:31], v[28:29]
	v_div_fmas_f64 v[22:23], v[22:23], v[24:25], v[30:31]
	v_div_fixup_f64 v[24:25], v[22:23], v[20:21], v[18:19]
	v_fma_f64 v[22:23], v[18:19], v[24:25], v[20:21]
	v_div_scale_f64 v[28:29], s[10:11], v[22:23], v[22:23], 1.0
	v_rcp_f64_e32 v[30:31], v[28:29]
	v_fma_f64 v[32:33], -v[28:29], v[30:31], 1.0
	v_fmac_f64_e32 v[30:31], v[30:31], v[32:33]
	v_fma_f64 v[32:33], -v[28:29], v[30:31], 1.0
	v_fmac_f64_e32 v[30:31], v[30:31], v[32:33]
	v_div_scale_f64 v[32:33], vcc, 1.0, v[22:23], 1.0
	v_mul_f64 v[34:35], v[32:33], v[30:31]
	v_fma_f64 v[28:29], -v[28:29], v[34:35], v[32:33]
	s_nop 1
	v_div_fmas_f64 v[28:29], v[28:29], v[30:31], v[34:35]
	v_div_fixup_f64 v[28:29], v[28:29], v[22:23], 1.0
	v_fma_f64 v[22:23], v[24:25], v[6:7], v[8:9]
	v_fma_f64 v[24:25], v[24:25], v[8:9], -v[6:7]
	v_mul_f64 v[22:23], v[22:23], v[28:29]
	v_mul_f64 v[24:25], v[24:25], v[28:29]
	s_cbranch_execz .LBB218_35
	s_branch .LBB218_36
.LBB218_34:                             ;   in Loop: Header=BB218_21 Depth=1
                                        ; implicit-def: $vgpr24_vgpr25
.LBB218_35:                             ;   in Loop: Header=BB218_21 Depth=1
	v_div_scale_f64 v[22:23], s[10:11], v[18:19], v[18:19], v[20:21]
	v_rcp_f64_e32 v[24:25], v[22:23]
	v_div_scale_f64 v[28:29], vcc, v[20:21], v[18:19], v[20:21]
	v_fma_f64 v[30:31], -v[22:23], v[24:25], 1.0
	v_fmac_f64_e32 v[24:25], v[24:25], v[30:31]
	v_fma_f64 v[30:31], -v[22:23], v[24:25], 1.0
	v_fmac_f64_e32 v[24:25], v[24:25], v[30:31]
	v_mul_f64 v[30:31], v[28:29], v[24:25]
	v_fma_f64 v[22:23], -v[22:23], v[30:31], v[28:29]
	v_div_fmas_f64 v[22:23], v[22:23], v[24:25], v[30:31]
	v_div_fixup_f64 v[24:25], v[22:23], v[18:19], v[20:21]
	v_fmac_f64_e32 v[18:19], v[20:21], v[24:25]
	v_div_scale_f64 v[20:21], s[10:11], v[18:19], v[18:19], 1.0
	v_rcp_f64_e32 v[22:23], v[20:21]
	v_fma_f64 v[28:29], -v[20:21], v[22:23], 1.0
	v_fmac_f64_e32 v[22:23], v[22:23], v[28:29]
	v_fma_f64 v[28:29], -v[20:21], v[22:23], 1.0
	v_fmac_f64_e32 v[22:23], v[22:23], v[28:29]
	v_div_scale_f64 v[28:29], vcc, 1.0, v[18:19], 1.0
	v_mul_f64 v[30:31], v[28:29], v[22:23]
	v_fma_f64 v[20:21], -v[20:21], v[30:31], v[28:29]
	s_nop 1
	v_div_fmas_f64 v[20:21], v[20:21], v[22:23], v[30:31]
	v_div_fixup_f64 v[18:19], v[20:21], v[18:19], 1.0
	v_fma_f64 v[20:21], v[24:25], v[8:9], v[6:7]
	v_fma_f64 v[6:7], -v[24:25], v[6:7], v[8:9]
	v_mul_f64 v[22:23], v[20:21], v[18:19]
	v_mul_f64 v[24:25], v[6:7], v[18:19]
.LBB218_36:                             ;   in Loop: Header=BB218_21 Depth=1
	v_mov_b32_e32 v6, s19
	ds_read_b128 v[18:21], v6 offset:48
	s_add_i32 s17, s17, s16
	s_lshl_b32 s10, s17, 4
	ds_read_b128 v[6:9], v6 offset:816
	ds_write_b128 v27, v[22:25]
	s_waitcnt lgkmcnt(2)
	v_mul_f64 v[28:29], v[16:17], v[20:21]
	v_mul_f64 v[20:21], v[14:15], v[20:21]
	v_fma_f64 v[14:15], v[14:15], v[18:19], -v[28:29]
	v_fmac_f64_e32 v[20:21], v[16:17], v[18:19]
	v_add_f64 v[18:19], v[2:3], -v[14:15]
	v_mov_b32_e32 v2, s18
	v_add_f64 v[20:21], v[4:5], -v[20:21]
	ds_read_b128 v[2:5], v2 offset:48
	v_mov_b32_e32 v14, s10
	ds_read_b128 v[14:17], v14 offset:48
	s_waitcnt lgkmcnt(3)
	v_cmp_gt_f64_e32 vcc, 0, v[6:7]
	s_waitcnt lgkmcnt(1)
	v_mul_f64 v[28:29], v[12:13], v[4:5]
	v_fma_f64 v[28:29], v[10:11], v[2:3], -v[28:29]
	v_mul_f64 v[4:5], v[10:11], v[4:5]
	s_waitcnt lgkmcnt(0)
	v_mul_f64 v[10:11], v[24:25], v[16:17]
	v_fmac_f64_e32 v[4:5], v[12:13], v[2:3]
	v_add_f64 v[2:3], v[18:19], -v[28:29]
	v_fma_f64 v[10:11], v[22:23], v[14:15], -v[10:11]
	v_mul_f64 v[12:13], v[22:23], v[16:17]
	v_add_f64 v[4:5], v[20:21], -v[4:5]
	v_fmac_f64_e32 v[12:13], v[24:25], v[14:15]
	v_add_f64 v[10:11], v[2:3], -v[10:11]
	v_xor_b32_e32 v2, 0x80000000, v7
	v_add_f64 v[12:13], v[4:5], -v[12:13]
	v_cndmask_b32_e32 v3, v7, v2, vcc
	v_xor_b32_e32 v4, 0x80000000, v9
	v_cmp_gt_f64_e32 vcc, 0, v[8:9]
	v_mov_b32_e32 v2, v6
	v_cndmask_b32_e32 v5, v9, v4, vcc
	v_mov_b32_e32 v4, v8
	v_cmp_ngt_f64_e32 vcc, v[2:3], v[4:5]
	s_cbranch_vccz .LBB218_38
; %bb.37:                               ;   in Loop: Header=BB218_21 Depth=1
	v_div_scale_f64 v[2:3], s[10:11], v[8:9], v[8:9], v[6:7]
	v_rcp_f64_e32 v[4:5], v[2:3]
	v_div_scale_f64 v[14:15], vcc, v[6:7], v[8:9], v[6:7]
	v_fma_f64 v[16:17], -v[2:3], v[4:5], 1.0
	v_fmac_f64_e32 v[4:5], v[4:5], v[16:17]
	v_fma_f64 v[16:17], -v[2:3], v[4:5], 1.0
	v_fmac_f64_e32 v[4:5], v[4:5], v[16:17]
	v_mul_f64 v[16:17], v[14:15], v[4:5]
	v_fma_f64 v[2:3], -v[2:3], v[16:17], v[14:15]
	v_div_fmas_f64 v[2:3], v[2:3], v[4:5], v[16:17]
	v_div_fixup_f64 v[4:5], v[2:3], v[8:9], v[6:7]
	v_fma_f64 v[2:3], v[6:7], v[4:5], v[8:9]
	v_div_scale_f64 v[14:15], s[10:11], v[2:3], v[2:3], 1.0
	v_rcp_f64_e32 v[16:17], v[14:15]
	v_fma_f64 v[18:19], -v[14:15], v[16:17], 1.0
	v_fmac_f64_e32 v[16:17], v[16:17], v[18:19]
	v_fma_f64 v[18:19], -v[14:15], v[16:17], 1.0
	v_fmac_f64_e32 v[16:17], v[16:17], v[18:19]
	v_div_scale_f64 v[18:19], vcc, 1.0, v[2:3], 1.0
	v_mul_f64 v[20:21], v[18:19], v[16:17]
	v_fma_f64 v[14:15], -v[14:15], v[20:21], v[18:19]
	s_nop 1
	v_div_fmas_f64 v[14:15], v[14:15], v[16:17], v[20:21]
	v_div_fixup_f64 v[14:15], v[14:15], v[2:3], 1.0
	v_fma_f64 v[2:3], v[4:5], v[10:11], v[12:13]
	v_fma_f64 v[4:5], v[4:5], v[12:13], -v[10:11]
	v_mul_f64 v[2:3], v[2:3], v[14:15]
	v_mul_f64 v[4:5], v[4:5], v[14:15]
	s_cbranch_execz .LBB218_39
	s_branch .LBB218_40
.LBB218_38:                             ;   in Loop: Header=BB218_21 Depth=1
                                        ; implicit-def: $vgpr4_vgpr5
.LBB218_39:                             ;   in Loop: Header=BB218_21 Depth=1
	v_div_scale_f64 v[2:3], s[10:11], v[6:7], v[6:7], v[8:9]
	v_rcp_f64_e32 v[4:5], v[2:3]
	v_div_scale_f64 v[14:15], vcc, v[8:9], v[6:7], v[8:9]
	v_fma_f64 v[16:17], -v[2:3], v[4:5], 1.0
	v_fmac_f64_e32 v[4:5], v[4:5], v[16:17]
	v_fma_f64 v[16:17], -v[2:3], v[4:5], 1.0
	v_fmac_f64_e32 v[4:5], v[4:5], v[16:17]
	v_mul_f64 v[16:17], v[14:15], v[4:5]
	v_fma_f64 v[2:3], -v[2:3], v[16:17], v[14:15]
	v_div_fmas_f64 v[2:3], v[2:3], v[4:5], v[16:17]
	v_div_fixup_f64 v[4:5], v[2:3], v[6:7], v[8:9]
	v_fmac_f64_e32 v[6:7], v[8:9], v[4:5]
	v_div_scale_f64 v[2:3], s[10:11], v[6:7], v[6:7], 1.0
	v_rcp_f64_e32 v[8:9], v[2:3]
	v_fma_f64 v[14:15], -v[2:3], v[8:9], 1.0
	v_fmac_f64_e32 v[8:9], v[8:9], v[14:15]
	v_fma_f64 v[14:15], -v[2:3], v[8:9], 1.0
	v_fmac_f64_e32 v[8:9], v[8:9], v[14:15]
	v_div_scale_f64 v[14:15], vcc, 1.0, v[6:7], 1.0
	v_mul_f64 v[16:17], v[14:15], v[8:9]
	v_fma_f64 v[2:3], -v[2:3], v[16:17], v[14:15]
	s_nop 1
	v_div_fmas_f64 v[2:3], v[2:3], v[8:9], v[16:17]
	v_div_fixup_f64 v[6:7], v[2:3], v[6:7], 1.0
	v_fma_f64 v[2:3], v[4:5], v[12:13], v[10:11]
	v_fma_f64 v[4:5], -v[4:5], v[10:11], v[12:13]
	v_mul_f64 v[2:3], v[2:3], v[6:7]
	v_mul_f64 v[4:5], v[4:5], v[6:7]
.LBB218_40:                             ;   in Loop: Header=BB218_21 Depth=1
	s_add_i32 s17, s16, 4
	s_add_i32 s10, s16, 7
	;; [unrolled: 1-line block ×3, first 2 shown]
	s_cmp_ge_i32 s10, s34
	ds_write_b128 v26, v[2:5]
	s_cbranch_scc1 .LBB218_42
; %bb.41:                               ;   in Loop: Header=BB218_21 Depth=1
	s_mov_b32 s16, s17
	s_branch .LBB218_21
.LBB218_42:
	s_cmp_ge_i32 s17, s34
	s_cbranch_scc1 .LBB218_57
; %bb.43:
	v_mov_b32_e32 v1, 0x1000
	s_add_i32 s1, s17, -1
	v_lshl_or_b32 v1, v0, 4, v1
	s_lshl_b32 s16, s17, 4
	s_mov_b32 s18, 0
	v_lshlrev_b32_e32 v14, 4, v0
	s_mov_b32 s19, s17
	s_branch .LBB218_45
.LBB218_44:                             ;   in Loop: Header=BB218_45 Depth=1
	s_add_i32 s17, s17, 1
	s_add_i32 s18, s18, 1
	;; [unrolled: 1-line block ×3, first 2 shown]
	v_add_u16_e64 v2, s19, 1
	s_cmp_ge_i32 s17, s34
	v_readfirstlane_b32 s19, v2
	ds_write_b128 v15, v[10:13]
	s_cbranch_scc1 .LBB218_57
.LBB218_45:                             ; =>This Loop Header: Depth=1
                                        ;     Child Loop BB218_48 Depth 2
                                        ;     Child Loop BB218_52 Depth 2
	v_lshl_or_b32 v6, s17, 8, v14
	ds_read_b128 v[2:5], v6 offset:4096
	s_cmp_eq_u32 s17, 0
	s_cbranch_scc1 .LBB218_53
; %bb.46:                               ;   in Loop: Header=BB218_45 Depth=1
	s_add_i32 s10, s1, s18
	s_cmp_lt_u32 s10, 7
	s_cbranch_scc1 .LBB218_50
; %bb.47:                               ;   in Loop: Header=BB218_45 Depth=1
	s_and_b32 s10, s17, -8
	s_mov_b32 s11, 0
	s_mov_b32 s20, s16
	v_mov_b32_e32 v7, v1
.LBB218_48:                             ;   Parent Loop BB218_45 Depth=1
                                        ; =>  This Inner Loop Header: Depth=2
	v_mov_b32_e32 v12, s20
	ds_read_b128 v[8:11], v7
	ds_read_b128 v[16:19], v7 offset:256
	ds_read_b128 v[20:23], v7 offset:512
	ds_read_b128 v[24:27], v7 offset:768
	ds_read_b128 v[28:31], v7 offset:1024
	ds_read_b128 v[32:35], v7 offset:1280
	ds_read_b128 v[36:39], v7 offset:1536
	ds_read_b128 v[40:43], v7 offset:1792
	ds_read_b128 v[44:47], v12
	ds_read_b128 v[48:51], v12 offset:256
	ds_read_b128 v[52:55], v12 offset:512
	;; [unrolled: 1-line block ×7, first 2 shown]
	s_waitcnt lgkmcnt(7)
	v_mul_f64 v[12:13], v[46:47], v[10:11]
	v_mul_f64 v[10:11], v[44:45], v[10:11]
	s_waitcnt lgkmcnt(6)
	v_mul_f64 v[76:77], v[50:51], v[18:19]
	v_mul_f64 v[18:19], v[48:49], v[18:19]
	v_fma_f64 v[12:13], v[44:45], v[8:9], -v[12:13]
	v_fmac_f64_e32 v[10:11], v[46:47], v[8:9]
	s_waitcnt lgkmcnt(5)
	v_mul_f64 v[78:79], v[54:55], v[22:23]
	v_mul_f64 v[22:23], v[52:53], v[22:23]
	v_fma_f64 v[8:9], v[48:49], v[16:17], -v[76:77]
	v_fmac_f64_e32 v[18:19], v[50:51], v[16:17]
	v_add_f64 v[2:3], v[2:3], -v[12:13]
	v_add_f64 v[4:5], v[4:5], -v[10:11]
	s_waitcnt lgkmcnt(4)
	v_mul_f64 v[80:81], v[58:59], v[26:27]
	v_mul_f64 v[26:27], v[56:57], v[26:27]
	v_fma_f64 v[16:17], v[52:53], v[20:21], -v[78:79]
	v_fmac_f64_e32 v[22:23], v[54:55], v[20:21]
	v_add_f64 v[2:3], v[2:3], -v[8:9]
	v_add_f64 v[4:5], v[4:5], -v[18:19]
	;; [unrolled: 7-line block ×6, first 2 shown]
	s_add_i32 s11, s11, 8
	s_addk_i32 s20, 0x800
	v_fma_f64 v[36:37], v[72:73], v[40:41], -v[88:89]
	v_fmac_f64_e32 v[42:43], v[74:75], v[40:41]
	v_add_f64 v[2:3], v[2:3], -v[32:33]
	v_add_f64 v[4:5], v[4:5], -v[38:39]
	v_add_u32_e32 v7, 0x800, v7
	s_cmp_eq_u32 s10, s11
	v_add_f64 v[2:3], v[2:3], -v[36:37]
	v_add_f64 v[4:5], v[4:5], -v[42:43]
	s_cbranch_scc0 .LBB218_48
; %bb.49:                               ;   in Loop: Header=BB218_45 Depth=1
	s_and_b32 s11, s17, 7
	s_cmp_eq_u32 s11, 0
	s_cbranch_scc0 .LBB218_51
	s_branch .LBB218_53
.LBB218_50:                             ;   in Loop: Header=BB218_45 Depth=1
	s_mov_b32 s10, 0
	s_and_b32 s11, s17, 7
	s_cmp_eq_u32 s11, 0
	s_cbranch_scc1 .LBB218_53
.LBB218_51:                             ;   in Loop: Header=BB218_45 Depth=1
	s_and_b32 s11, s19, 7
	s_lshl_b32 s10, s10, 8
.LBB218_52:                             ;   Parent Loop BB218_45 Depth=1
                                        ; =>  This Inner Loop Header: Depth=2
	v_add_u32_e32 v7, s10, v1
	s_add_i32 s20, s16, s10
	v_mov_b32_e32 v12, s20
	ds_read_b128 v[8:11], v7
	ds_read_b128 v[16:19], v12
	s_add_i32 s11, s11, -1
	s_addk_i32 s10, 0x100
	s_cmp_lg_u32 s11, 0
	s_waitcnt lgkmcnt(0)
	v_mul_f64 v[12:13], v[18:19], v[10:11]
	v_mul_f64 v[10:11], v[16:17], v[10:11]
	v_fma_f64 v[12:13], v[16:17], v[8:9], -v[12:13]
	v_fmac_f64_e32 v[10:11], v[18:19], v[8:9]
	v_add_f64 v[2:3], v[2:3], -v[12:13]
	v_add_f64 v[4:5], v[4:5], -v[10:11]
	s_cbranch_scc1 .LBB218_52
.LBB218_53:                             ;   in Loop: Header=BB218_45 Depth=1
	s_mul_i32 s10, s17, 0x110
	v_add_u32_e32 v15, 0x1000, v6
	v_mov_b32_e32 v6, s10
	ds_read_b128 v[6:9], v6
	s_waitcnt lgkmcnt(0)
	v_xor_b32_e32 v11, 0x80000000, v7
	v_cmp_gt_f64_e32 vcc, 0, v[6:7]
	v_xor_b32_e32 v12, 0x80000000, v9
	v_cndmask_b32_e32 v11, v7, v11, vcc
	v_cmp_gt_f64_e32 vcc, 0, v[8:9]
	v_mov_b32_e32 v10, v6
	v_cndmask_b32_e32 v13, v9, v12, vcc
	v_mov_b32_e32 v12, v8
	v_cmp_ngt_f64_e32 vcc, v[10:11], v[12:13]
	s_cbranch_vccz .LBB218_55
; %bb.54:                               ;   in Loop: Header=BB218_45 Depth=1
	v_div_scale_f64 v[10:11], s[10:11], v[8:9], v[8:9], v[6:7]
	v_rcp_f64_e32 v[12:13], v[10:11]
	v_div_scale_f64 v[16:17], vcc, v[6:7], v[8:9], v[6:7]
	v_fma_f64 v[18:19], -v[10:11], v[12:13], 1.0
	v_fmac_f64_e32 v[12:13], v[12:13], v[18:19]
	v_fma_f64 v[18:19], -v[10:11], v[12:13], 1.0
	v_fmac_f64_e32 v[12:13], v[12:13], v[18:19]
	v_mul_f64 v[18:19], v[16:17], v[12:13]
	v_fma_f64 v[10:11], -v[10:11], v[18:19], v[16:17]
	v_div_fmas_f64 v[10:11], v[10:11], v[12:13], v[18:19]
	v_div_fixup_f64 v[12:13], v[10:11], v[8:9], v[6:7]
	v_fma_f64 v[10:11], v[6:7], v[12:13], v[8:9]
	v_div_scale_f64 v[16:17], s[10:11], v[10:11], v[10:11], 1.0
	v_rcp_f64_e32 v[18:19], v[16:17]
	v_fma_f64 v[20:21], -v[16:17], v[18:19], 1.0
	v_fmac_f64_e32 v[18:19], v[18:19], v[20:21]
	v_fma_f64 v[20:21], -v[16:17], v[18:19], 1.0
	v_fmac_f64_e32 v[18:19], v[18:19], v[20:21]
	v_div_scale_f64 v[20:21], vcc, 1.0, v[10:11], 1.0
	v_mul_f64 v[22:23], v[20:21], v[18:19]
	v_fma_f64 v[16:17], -v[16:17], v[22:23], v[20:21]
	s_nop 1
	v_div_fmas_f64 v[16:17], v[16:17], v[18:19], v[22:23]
	v_div_fixup_f64 v[16:17], v[16:17], v[10:11], 1.0
	v_fma_f64 v[10:11], v[2:3], v[12:13], v[4:5]
	v_fma_f64 v[12:13], v[4:5], v[12:13], -v[2:3]
	v_mul_f64 v[10:11], v[10:11], v[16:17]
	v_mul_f64 v[12:13], v[12:13], v[16:17]
	s_cbranch_execnz .LBB218_44
	s_branch .LBB218_56
.LBB218_55:                             ;   in Loop: Header=BB218_45 Depth=1
                                        ; implicit-def: $vgpr10_vgpr11
.LBB218_56:                             ;   in Loop: Header=BB218_45 Depth=1
	v_div_scale_f64 v[10:11], s[10:11], v[6:7], v[6:7], v[8:9]
	v_rcp_f64_e32 v[12:13], v[10:11]
	v_div_scale_f64 v[16:17], vcc, v[8:9], v[6:7], v[8:9]
	v_fma_f64 v[18:19], -v[10:11], v[12:13], 1.0
	v_fmac_f64_e32 v[12:13], v[12:13], v[18:19]
	v_fma_f64 v[18:19], -v[10:11], v[12:13], 1.0
	v_fmac_f64_e32 v[12:13], v[12:13], v[18:19]
	v_mul_f64 v[18:19], v[16:17], v[12:13]
	v_fma_f64 v[10:11], -v[10:11], v[18:19], v[16:17]
	v_div_fmas_f64 v[10:11], v[10:11], v[12:13], v[18:19]
	v_div_fixup_f64 v[12:13], v[10:11], v[6:7], v[8:9]
	v_fmac_f64_e32 v[6:7], v[8:9], v[12:13]
	v_div_scale_f64 v[8:9], s[10:11], v[6:7], v[6:7], 1.0
	v_rcp_f64_e32 v[10:11], v[8:9]
	v_fma_f64 v[16:17], -v[8:9], v[10:11], 1.0
	v_fmac_f64_e32 v[10:11], v[10:11], v[16:17]
	v_fma_f64 v[16:17], -v[8:9], v[10:11], 1.0
	v_fmac_f64_e32 v[10:11], v[10:11], v[16:17]
	v_div_scale_f64 v[16:17], vcc, 1.0, v[6:7], 1.0
	v_mul_f64 v[18:19], v[16:17], v[10:11]
	v_fma_f64 v[8:9], -v[8:9], v[18:19], v[16:17]
	s_nop 1
	v_div_fmas_f64 v[8:9], v[8:9], v[10:11], v[18:19]
	v_div_fixup_f64 v[6:7], v[8:9], v[6:7], 1.0
	v_fma_f64 v[8:9], v[4:5], v[12:13], v[2:3]
	v_fma_f64 v[2:3], -v[2:3], v[12:13], v[4:5]
	v_mul_f64 v[10:11], v[8:9], v[6:7]
	v_mul_f64 v[12:13], v[2:3], v[6:7]
	s_branch .LBB218_44
.LBB218_57:
	s_mov_b64 s[10:11], 0
.LBB218_58:
	s_and_b64 vcc, exec, s[10:11]
	s_cbranch_vccz .LBB218_90
; %bb.59:
	s_andn2_b64 vcc, exec, s[8:9]
	s_mov_b32 s17, s35
	s_cbranch_vccnz .LBB218_81
; %bb.60:
	v_lshlrev_b32_e32 v1, 4, v0
	v_lshl_or_b32 v2, s34, 8, v1
	s_mul_i32 s1, s34, 0x110
	v_add_u32_e32 v26, 0xe00, v2
	s_addk_i32 s1, 0xfdc0
	s_mov_b32 s16, s35
.LBB218_61:                             ; =>This Loop Header: Depth=1
                                        ;     Child Loop BB218_62 Depth 2
	s_lshl_b32 s20, s16, 4
	s_add_i32 s22, s16, -1
	v_or_b32_e32 v2, s20, v0
	s_lshl_b32 s18, s22, 4
	s_add_i32 s21, s16, -2
	v_lshlrev_b32_e32 v18, 4, v2
	v_or_b32_e32 v2, s18, v0
	s_lshl_b32 s17, s21, 4
	v_lshlrev_b32_e32 v19, 4, v2
	v_or_b32_e32 v2, s17, v0
	v_lshlrev_b32_e32 v20, 4, v2
	s_add_i32 s19, s16, -3
	ds_read_b128 v[14:17], v18 offset:4096
	ds_read_b128 v[10:13], v19 offset:4096
	v_lshl_or_b32 v21, s19, 8, v1
	ds_read_b128 v[6:9], v20 offset:4096
	ds_read_b128 v[2:5], v21 offset:4096
	s_cmp_le_i32 s35, s16
	s_mov_b32 s10, s1
	v_mov_b32_e32 v22, v26
	s_mov_b32 s11, s35
	s_cbranch_scc1 .LBB218_63
.LBB218_62:                             ;   Parent Loop BB218_61 Depth=1
                                        ; =>  This Inner Loop Header: Depth=2
	v_mov_b32_e32 v23, s10
	ds_read_b128 v[28:31], v22 offset:256
	ds_read_b128 v[32:35], v22
	ds_read_b128 v[36:39], v23 offset:304
	ds_read_b128 v[40:43], v23 offset:288
	;; [unrolled: 1-line block ×4, first 2 shown]
	ds_read_b128 v[52:55], v23
	ds_read_b128 v[56:59], v23 offset:16
	ds_read_b128 v[60:63], v23 offset:32
	;; [unrolled: 1-line block ×3, first 2 shown]
	s_add_i32 s11, s11, -2
	s_addk_i32 s10, 0xfe00
	s_waitcnt lgkmcnt(7)
	v_mul_f64 v[24:25], v[30:31], v[38:39]
	v_mul_f64 v[38:39], v[28:29], v[38:39]
	s_waitcnt lgkmcnt(6)
	v_mul_f64 v[68:69], v[30:31], v[42:43]
	v_mul_f64 v[42:43], v[28:29], v[42:43]
	s_waitcnt lgkmcnt(5)
	v_mul_f64 v[70:71], v[30:31], v[46:47]
	v_mul_f64 v[46:47], v[28:29], v[46:47]
	s_waitcnt lgkmcnt(4)
	v_mul_f64 v[72:73], v[30:31], v[50:51]
	v_mul_f64 v[50:51], v[28:29], v[50:51]
	s_waitcnt lgkmcnt(0)
	v_mul_f64 v[74:75], v[34:35], v[66:67]
	v_mul_f64 v[66:67], v[32:33], v[66:67]
	v_mul_f64 v[76:77], v[34:35], v[62:63]
	v_mul_f64 v[62:63], v[32:33], v[62:63]
	;; [unrolled: 1-line block ×6, first 2 shown]
	v_fma_f64 v[24:25], v[28:29], v[36:37], -v[24:25]
	v_fmac_f64_e32 v[38:39], v[30:31], v[36:37]
	v_fma_f64 v[36:37], v[28:29], v[40:41], -v[68:69]
	v_fmac_f64_e32 v[42:43], v[30:31], v[40:41]
	;; [unrolled: 2-line block ×8, first 2 shown]
	v_add_f64 v[14:15], v[14:15], -v[24:25]
	v_add_f64 v[16:17], v[16:17], -v[38:39]
	;; [unrolled: 1-line block ×8, first 2 shown]
	v_add_u32_e32 v22, 0xfffffe00, v22
	s_cmp_le_i32 s11, s16
	v_add_f64 v[14:15], v[14:15], -v[30:31]
	v_add_f64 v[16:17], v[16:17], -v[66:67]
	;; [unrolled: 1-line block ×8, first 2 shown]
	s_cbranch_scc0 .LBB218_62
.LBB218_63:                             ;   in Loop: Header=BB218_61 Depth=1
	s_mul_i32 s23, s16, 0x110
	v_add_u32_e32 v30, 0x1000, v18
	v_mov_b32_e32 v18, s23
	ds_read_b128 v[22:25], v18
	v_add_u32_e32 v29, 0x1000, v19
	v_add_u32_e32 v28, 0x1000, v20
	;; [unrolled: 1-line block ×3, first 2 shown]
	s_waitcnt lgkmcnt(0)
	v_xor_b32_e32 v19, 0x80000000, v23
	v_cmp_gt_f64_e32 vcc, 0, v[22:23]
	v_xor_b32_e32 v20, 0x80000000, v25
	v_cndmask_b32_e32 v19, v23, v19, vcc
	v_cmp_gt_f64_e32 vcc, 0, v[24:25]
	v_mov_b32_e32 v18, v22
	v_cndmask_b32_e32 v21, v25, v20, vcc
	v_mov_b32_e32 v20, v24
	v_cmp_ngt_f64_e32 vcc, v[18:19], v[20:21]
	s_cbranch_vccz .LBB218_65
; %bb.64:                               ;   in Loop: Header=BB218_61 Depth=1
	v_div_scale_f64 v[18:19], s[10:11], v[24:25], v[24:25], v[22:23]
	v_rcp_f64_e32 v[20:21], v[18:19]
	v_div_scale_f64 v[32:33], vcc, v[22:23], v[24:25], v[22:23]
	v_fma_f64 v[34:35], -v[18:19], v[20:21], 1.0
	v_fmac_f64_e32 v[20:21], v[20:21], v[34:35]
	v_fma_f64 v[34:35], -v[18:19], v[20:21], 1.0
	v_fmac_f64_e32 v[20:21], v[20:21], v[34:35]
	v_mul_f64 v[34:35], v[32:33], v[20:21]
	v_fma_f64 v[18:19], -v[18:19], v[34:35], v[32:33]
	v_div_fmas_f64 v[18:19], v[18:19], v[20:21], v[34:35]
	v_div_fixup_f64 v[20:21], v[18:19], v[24:25], v[22:23]
	v_fma_f64 v[18:19], v[22:23], v[20:21], v[24:25]
	v_div_scale_f64 v[32:33], s[10:11], v[18:19], v[18:19], 1.0
	v_rcp_f64_e32 v[34:35], v[32:33]
	v_fma_f64 v[36:37], -v[32:33], v[34:35], 1.0
	v_fmac_f64_e32 v[34:35], v[34:35], v[36:37]
	v_fma_f64 v[36:37], -v[32:33], v[34:35], 1.0
	v_fmac_f64_e32 v[34:35], v[34:35], v[36:37]
	v_div_scale_f64 v[36:37], vcc, 1.0, v[18:19], 1.0
	v_mul_f64 v[38:39], v[36:37], v[34:35]
	v_fma_f64 v[32:33], -v[32:33], v[38:39], v[36:37]
	s_nop 1
	v_div_fmas_f64 v[32:33], v[32:33], v[34:35], v[38:39]
	v_div_fixup_f64 v[32:33], v[32:33], v[18:19], 1.0
	v_fma_f64 v[18:19], v[14:15], v[20:21], v[16:17]
	v_fma_f64 v[20:21], v[16:17], v[20:21], -v[14:15]
	v_mul_f64 v[18:19], v[18:19], v[32:33]
	v_mul_f64 v[20:21], v[20:21], v[32:33]
	s_cbranch_execz .LBB218_66
	s_branch .LBB218_67
.LBB218_65:                             ;   in Loop: Header=BB218_61 Depth=1
                                        ; implicit-def: $vgpr20_vgpr21
.LBB218_66:                             ;   in Loop: Header=BB218_61 Depth=1
	v_div_scale_f64 v[18:19], s[10:11], v[22:23], v[22:23], v[24:25]
	v_rcp_f64_e32 v[20:21], v[18:19]
	v_div_scale_f64 v[32:33], vcc, v[24:25], v[22:23], v[24:25]
	v_fma_f64 v[34:35], -v[18:19], v[20:21], 1.0
	v_fmac_f64_e32 v[20:21], v[20:21], v[34:35]
	v_fma_f64 v[34:35], -v[18:19], v[20:21], 1.0
	v_fmac_f64_e32 v[20:21], v[20:21], v[34:35]
	v_mul_f64 v[34:35], v[32:33], v[20:21]
	v_fma_f64 v[18:19], -v[18:19], v[34:35], v[32:33]
	v_div_fmas_f64 v[18:19], v[18:19], v[20:21], v[34:35]
	v_div_fixup_f64 v[20:21], v[18:19], v[22:23], v[24:25]
	v_fmac_f64_e32 v[22:23], v[24:25], v[20:21]
	v_div_scale_f64 v[18:19], s[10:11], v[22:23], v[22:23], 1.0
	v_rcp_f64_e32 v[24:25], v[18:19]
	v_fma_f64 v[32:33], -v[18:19], v[24:25], 1.0
	v_fmac_f64_e32 v[24:25], v[24:25], v[32:33]
	v_fma_f64 v[32:33], -v[18:19], v[24:25], 1.0
	v_fmac_f64_e32 v[24:25], v[24:25], v[32:33]
	v_div_scale_f64 v[32:33], vcc, 1.0, v[22:23], 1.0
	v_mul_f64 v[34:35], v[32:33], v[24:25]
	v_fma_f64 v[18:19], -v[18:19], v[34:35], v[32:33]
	s_nop 1
	v_div_fmas_f64 v[18:19], v[18:19], v[24:25], v[34:35]
	v_div_fixup_f64 v[22:23], v[18:19], v[22:23], 1.0
	v_fma_f64 v[18:19], v[16:17], v[20:21], v[14:15]
	v_fma_f64 v[14:15], -v[14:15], v[20:21], v[16:17]
	v_mul_f64 v[18:19], v[18:19], v[22:23]
	v_mul_f64 v[20:21], v[14:15], v[22:23]
.LBB218_67:                             ;   in Loop: Header=BB218_61 Depth=1
	s_add_i32 s10, s20, s22
	s_lshl_b32 s10, s10, 4
	v_mov_b32_e32 v14, s10
	ds_read_b128 v[22:25], v14
	s_add_i32 s22, s23, 0xfffffef0
	v_mov_b32_e32 v14, s22
	ds_read_b128 v[14:17], v14
	ds_write_b128 v30, v[18:21]
	s_waitcnt lgkmcnt(2)
	v_mul_f64 v[30:31], v[20:21], v[24:25]
	v_fma_f64 v[30:31], v[18:19], v[22:23], -v[30:31]
	v_mul_f64 v[24:25], v[18:19], v[24:25]
	v_fmac_f64_e32 v[24:25], v[20:21], v[22:23]
	v_add_f64 v[22:23], v[10:11], -v[30:31]
	s_waitcnt lgkmcnt(1)
	v_xor_b32_e32 v10, 0x80000000, v15
	v_cmp_gt_f64_e32 vcc, 0, v[14:15]
	v_add_f64 v[24:25], v[12:13], -v[24:25]
	v_cndmask_b32_e32 v11, v15, v10, vcc
	v_xor_b32_e32 v12, 0x80000000, v17
	v_cmp_gt_f64_e32 vcc, 0, v[16:17]
	v_mov_b32_e32 v10, v14
	v_cndmask_b32_e32 v13, v17, v12, vcc
	v_mov_b32_e32 v12, v16
	v_cmp_ngt_f64_e32 vcc, v[10:11], v[12:13]
	s_cbranch_vccz .LBB218_69
; %bb.68:                               ;   in Loop: Header=BB218_61 Depth=1
	v_div_scale_f64 v[10:11], s[10:11], v[16:17], v[16:17], v[14:15]
	v_rcp_f64_e32 v[12:13], v[10:11]
	v_div_scale_f64 v[30:31], vcc, v[14:15], v[16:17], v[14:15]
	v_fma_f64 v[32:33], -v[10:11], v[12:13], 1.0
	v_fmac_f64_e32 v[12:13], v[12:13], v[32:33]
	v_fma_f64 v[32:33], -v[10:11], v[12:13], 1.0
	v_fmac_f64_e32 v[12:13], v[12:13], v[32:33]
	v_mul_f64 v[32:33], v[30:31], v[12:13]
	v_fma_f64 v[10:11], -v[10:11], v[32:33], v[30:31]
	v_div_fmas_f64 v[10:11], v[10:11], v[12:13], v[32:33]
	v_div_fixup_f64 v[12:13], v[10:11], v[16:17], v[14:15]
	v_fma_f64 v[10:11], v[14:15], v[12:13], v[16:17]
	v_div_scale_f64 v[30:31], s[10:11], v[10:11], v[10:11], 1.0
	v_rcp_f64_e32 v[32:33], v[30:31]
	v_fma_f64 v[34:35], -v[30:31], v[32:33], 1.0
	v_fmac_f64_e32 v[32:33], v[32:33], v[34:35]
	v_fma_f64 v[34:35], -v[30:31], v[32:33], 1.0
	v_fmac_f64_e32 v[32:33], v[32:33], v[34:35]
	v_div_scale_f64 v[34:35], vcc, 1.0, v[10:11], 1.0
	v_mul_f64 v[36:37], v[34:35], v[32:33]
	v_fma_f64 v[30:31], -v[30:31], v[36:37], v[34:35]
	s_nop 1
	v_div_fmas_f64 v[30:31], v[30:31], v[32:33], v[36:37]
	v_div_fixup_f64 v[30:31], v[30:31], v[10:11], 1.0
	v_fma_f64 v[10:11], v[12:13], v[22:23], v[24:25]
	v_fma_f64 v[12:13], v[12:13], v[24:25], -v[22:23]
	v_mul_f64 v[10:11], v[10:11], v[30:31]
	v_mul_f64 v[12:13], v[12:13], v[30:31]
	s_cbranch_execz .LBB218_70
	s_branch .LBB218_71
.LBB218_69:                             ;   in Loop: Header=BB218_61 Depth=1
                                        ; implicit-def: $vgpr12_vgpr13
.LBB218_70:                             ;   in Loop: Header=BB218_61 Depth=1
	v_div_scale_f64 v[10:11], s[10:11], v[14:15], v[14:15], v[16:17]
	v_rcp_f64_e32 v[12:13], v[10:11]
	v_div_scale_f64 v[30:31], vcc, v[16:17], v[14:15], v[16:17]
	v_fma_f64 v[32:33], -v[10:11], v[12:13], 1.0
	v_fmac_f64_e32 v[12:13], v[12:13], v[32:33]
	v_fma_f64 v[32:33], -v[10:11], v[12:13], 1.0
	v_fmac_f64_e32 v[12:13], v[12:13], v[32:33]
	v_mul_f64 v[32:33], v[30:31], v[12:13]
	v_fma_f64 v[10:11], -v[10:11], v[32:33], v[30:31]
	v_div_fmas_f64 v[10:11], v[10:11], v[12:13], v[32:33]
	v_div_fixup_f64 v[12:13], v[10:11], v[14:15], v[16:17]
	v_fmac_f64_e32 v[14:15], v[16:17], v[12:13]
	v_div_scale_f64 v[10:11], s[10:11], v[14:15], v[14:15], 1.0
	v_rcp_f64_e32 v[16:17], v[10:11]
	v_fma_f64 v[30:31], -v[10:11], v[16:17], 1.0
	v_fmac_f64_e32 v[16:17], v[16:17], v[30:31]
	v_fma_f64 v[30:31], -v[10:11], v[16:17], 1.0
	v_fmac_f64_e32 v[16:17], v[16:17], v[30:31]
	v_div_scale_f64 v[30:31], vcc, 1.0, v[14:15], 1.0
	v_mul_f64 v[32:33], v[30:31], v[16:17]
	v_fma_f64 v[10:11], -v[10:11], v[32:33], v[30:31]
	s_nop 1
	v_div_fmas_f64 v[10:11], v[10:11], v[16:17], v[32:33]
	v_div_fixup_f64 v[14:15], v[10:11], v[14:15], 1.0
	v_fma_f64 v[10:11], v[12:13], v[24:25], v[22:23]
	v_fma_f64 v[12:13], -v[12:13], v[22:23], v[24:25]
	v_mul_f64 v[10:11], v[10:11], v[14:15]
	v_mul_f64 v[12:13], v[12:13], v[14:15]
.LBB218_71:                             ;   in Loop: Header=BB218_61 Depth=1
	s_add_i32 s10, s20, s21
	s_lshl_b32 s10, s10, 4
	v_mov_b32_e32 v14, s10
	s_add_i32 s10, s18, s21
	ds_read_b128 v[14:17], v14
	s_lshl_b32 s10, s10, 4
	v_mov_b32_e32 v22, s10
	ds_read_b128 v[22:25], v22
	s_add_i32 s21, s22, 0xfffffef0
	s_waitcnt lgkmcnt(1)
	v_mul_f64 v[30:31], v[20:21], v[16:17]
	v_fma_f64 v[30:31], v[18:19], v[14:15], -v[30:31]
	v_mul_f64 v[16:17], v[18:19], v[16:17]
	v_fmac_f64_e32 v[16:17], v[20:21], v[14:15]
	v_add_f64 v[14:15], v[6:7], -v[30:31]
	s_waitcnt lgkmcnt(0)
	v_mul_f64 v[6:7], v[12:13], v[24:25]
	v_fma_f64 v[30:31], v[10:11], v[22:23], -v[6:7]
	v_mov_b32_e32 v6, s21
	v_add_f64 v[16:17], v[8:9], -v[16:17]
	ds_read_b128 v[6:9], v6
	v_mul_f64 v[24:25], v[10:11], v[24:25]
	v_fmac_f64_e32 v[24:25], v[12:13], v[22:23]
	v_add_f64 v[22:23], v[14:15], -v[30:31]
	v_add_f64 v[24:25], v[16:17], -v[24:25]
	s_waitcnt lgkmcnt(0)
	v_xor_b32_e32 v14, 0x80000000, v7
	v_cmp_gt_f64_e32 vcc, 0, v[6:7]
	v_cndmask_b32_e32 v15, v7, v14, vcc
	v_xor_b32_e32 v16, 0x80000000, v9
	v_cmp_gt_f64_e32 vcc, 0, v[8:9]
	v_mov_b32_e32 v14, v6
	v_cndmask_b32_e32 v17, v9, v16, vcc
	v_mov_b32_e32 v16, v8
	v_cmp_ngt_f64_e32 vcc, v[14:15], v[16:17]
	ds_write_b128 v29, v[10:13]
	s_cbranch_vccz .LBB218_73
; %bb.72:                               ;   in Loop: Header=BB218_61 Depth=1
	v_div_scale_f64 v[14:15], s[10:11], v[8:9], v[8:9], v[6:7]
	v_rcp_f64_e32 v[16:17], v[14:15]
	v_div_scale_f64 v[30:31], vcc, v[6:7], v[8:9], v[6:7]
	v_fma_f64 v[32:33], -v[14:15], v[16:17], 1.0
	v_fmac_f64_e32 v[16:17], v[16:17], v[32:33]
	v_fma_f64 v[32:33], -v[14:15], v[16:17], 1.0
	v_fmac_f64_e32 v[16:17], v[16:17], v[32:33]
	v_mul_f64 v[32:33], v[30:31], v[16:17]
	v_fma_f64 v[14:15], -v[14:15], v[32:33], v[30:31]
	v_div_fmas_f64 v[14:15], v[14:15], v[16:17], v[32:33]
	v_div_fixup_f64 v[16:17], v[14:15], v[8:9], v[6:7]
	v_fma_f64 v[14:15], v[6:7], v[16:17], v[8:9]
	v_div_scale_f64 v[30:31], s[10:11], v[14:15], v[14:15], 1.0
	v_rcp_f64_e32 v[32:33], v[30:31]
	v_fma_f64 v[34:35], -v[30:31], v[32:33], 1.0
	v_fmac_f64_e32 v[32:33], v[32:33], v[34:35]
	v_fma_f64 v[34:35], -v[30:31], v[32:33], 1.0
	v_fmac_f64_e32 v[32:33], v[32:33], v[34:35]
	v_div_scale_f64 v[34:35], vcc, 1.0, v[14:15], 1.0
	v_mul_f64 v[36:37], v[34:35], v[32:33]
	v_fma_f64 v[30:31], -v[30:31], v[36:37], v[34:35]
	s_nop 1
	v_div_fmas_f64 v[30:31], v[30:31], v[32:33], v[36:37]
	v_div_fixup_f64 v[30:31], v[30:31], v[14:15], 1.0
	v_fma_f64 v[14:15], v[16:17], v[22:23], v[24:25]
	v_fma_f64 v[16:17], v[16:17], v[24:25], -v[22:23]
	v_mul_f64 v[14:15], v[14:15], v[30:31]
	v_mul_f64 v[16:17], v[16:17], v[30:31]
	s_cbranch_execz .LBB218_74
	s_branch .LBB218_75
.LBB218_73:                             ;   in Loop: Header=BB218_61 Depth=1
                                        ; implicit-def: $vgpr16_vgpr17
.LBB218_74:                             ;   in Loop: Header=BB218_61 Depth=1
	v_div_scale_f64 v[14:15], s[10:11], v[6:7], v[6:7], v[8:9]
	v_rcp_f64_e32 v[16:17], v[14:15]
	v_div_scale_f64 v[30:31], vcc, v[8:9], v[6:7], v[8:9]
	v_fma_f64 v[32:33], -v[14:15], v[16:17], 1.0
	v_fmac_f64_e32 v[16:17], v[16:17], v[32:33]
	v_fma_f64 v[32:33], -v[14:15], v[16:17], 1.0
	v_fmac_f64_e32 v[16:17], v[16:17], v[32:33]
	v_mul_f64 v[32:33], v[30:31], v[16:17]
	v_fma_f64 v[14:15], -v[14:15], v[32:33], v[30:31]
	v_div_fmas_f64 v[14:15], v[14:15], v[16:17], v[32:33]
	v_div_fixup_f64 v[16:17], v[14:15], v[6:7], v[8:9]
	v_fmac_f64_e32 v[6:7], v[8:9], v[16:17]
	v_div_scale_f64 v[8:9], s[10:11], v[6:7], v[6:7], 1.0
	v_rcp_f64_e32 v[14:15], v[8:9]
	v_fma_f64 v[30:31], -v[8:9], v[14:15], 1.0
	v_fmac_f64_e32 v[14:15], v[14:15], v[30:31]
	v_fma_f64 v[30:31], -v[8:9], v[14:15], 1.0
	v_fmac_f64_e32 v[14:15], v[14:15], v[30:31]
	v_div_scale_f64 v[30:31], vcc, 1.0, v[6:7], 1.0
	v_mul_f64 v[32:33], v[30:31], v[14:15]
	v_fma_f64 v[8:9], -v[8:9], v[32:33], v[30:31]
	s_nop 1
	v_div_fmas_f64 v[8:9], v[8:9], v[14:15], v[32:33]
	v_div_fixup_f64 v[6:7], v[8:9], v[6:7], 1.0
	v_fma_f64 v[8:9], v[16:17], v[24:25], v[22:23]
	v_mul_f64 v[14:15], v[8:9], v[6:7]
	v_fma_f64 v[8:9], -v[16:17], v[22:23], v[24:25]
	v_mul_f64 v[16:17], v[8:9], v[6:7]
.LBB218_75:                             ;   in Loop: Header=BB218_61 Depth=1
	s_add_i32 s20, s20, s19
	s_lshl_b32 s10, s20, 4
	s_add_i32 s18, s18, s19
	v_mov_b32_e32 v6, s10
	s_lshl_b32 s10, s18, 4
	ds_read_b128 v[6:9], v6
	v_mov_b32_e32 v22, s10
	ds_read_b128 v[22:25], v22
	ds_write_b128 v28, v[14:17]
	s_add_i32 s17, s17, s19
	s_waitcnt lgkmcnt(2)
	v_mul_f64 v[28:29], v[20:21], v[8:9]
	v_mul_f64 v[8:9], v[18:19], v[8:9]
	v_fma_f64 v[28:29], v[18:19], v[6:7], -v[28:29]
	v_fmac_f64_e32 v[8:9], v[20:21], v[6:7]
	s_waitcnt lgkmcnt(1)
	v_mul_f64 v[6:7], v[12:13], v[24:25]
	v_add_f64 v[2:3], v[2:3], -v[28:29]
	v_fma_f64 v[6:7], v[10:11], v[22:23], -v[6:7]
	v_mul_f64 v[10:11], v[10:11], v[24:25]
	s_lshl_b32 s10, s17, 4
	v_fmac_f64_e32 v[10:11], v[12:13], v[22:23]
	v_add_f64 v[12:13], v[2:3], -v[6:7]
	v_mov_b32_e32 v2, s10
	s_add_i32 s10, s21, 0xfffffef0
	v_add_f64 v[4:5], v[4:5], -v[8:9]
	ds_read_b128 v[6:9], v2
	v_mov_b32_e32 v2, s10
	v_add_f64 v[18:19], v[4:5], -v[10:11]
	ds_read_b128 v[2:5], v2
	s_waitcnt lgkmcnt(1)
	v_mul_f64 v[10:11], v[16:17], v[8:9]
	v_mul_f64 v[8:9], v[14:15], v[8:9]
	v_fma_f64 v[10:11], v[14:15], v[6:7], -v[10:11]
	v_fmac_f64_e32 v[8:9], v[16:17], v[6:7]
	s_waitcnt lgkmcnt(0)
	v_xor_b32_e32 v6, 0x80000000, v3
	v_cmp_gt_f64_e32 vcc, 0, v[2:3]
	v_add_f64 v[10:11], v[12:13], -v[10:11]
	v_add_f64 v[12:13], v[18:19], -v[8:9]
	v_cndmask_b32_e32 v7, v3, v6, vcc
	v_xor_b32_e32 v8, 0x80000000, v5
	v_cmp_gt_f64_e32 vcc, 0, v[4:5]
	v_mov_b32_e32 v6, v2
	v_cndmask_b32_e32 v9, v5, v8, vcc
	v_mov_b32_e32 v8, v4
	v_cmp_ngt_f64_e32 vcc, v[6:7], v[8:9]
	s_cbranch_vccz .LBB218_77
; %bb.76:                               ;   in Loop: Header=BB218_61 Depth=1
	v_div_scale_f64 v[6:7], s[10:11], v[4:5], v[4:5], v[2:3]
	v_rcp_f64_e32 v[8:9], v[6:7]
	v_div_scale_f64 v[14:15], vcc, v[2:3], v[4:5], v[2:3]
	v_fma_f64 v[16:17], -v[6:7], v[8:9], 1.0
	v_fmac_f64_e32 v[8:9], v[8:9], v[16:17]
	v_fma_f64 v[16:17], -v[6:7], v[8:9], 1.0
	v_fmac_f64_e32 v[8:9], v[8:9], v[16:17]
	v_mul_f64 v[16:17], v[14:15], v[8:9]
	v_fma_f64 v[6:7], -v[6:7], v[16:17], v[14:15]
	v_div_fmas_f64 v[6:7], v[6:7], v[8:9], v[16:17]
	v_div_fixup_f64 v[8:9], v[6:7], v[4:5], v[2:3]
	v_fma_f64 v[6:7], v[2:3], v[8:9], v[4:5]
	v_div_scale_f64 v[14:15], s[10:11], v[6:7], v[6:7], 1.0
	v_rcp_f64_e32 v[16:17], v[14:15]
	v_fma_f64 v[18:19], -v[14:15], v[16:17], 1.0
	v_fmac_f64_e32 v[16:17], v[16:17], v[18:19]
	v_fma_f64 v[18:19], -v[14:15], v[16:17], 1.0
	v_fmac_f64_e32 v[16:17], v[16:17], v[18:19]
	v_div_scale_f64 v[18:19], vcc, 1.0, v[6:7], 1.0
	v_mul_f64 v[20:21], v[18:19], v[16:17]
	v_fma_f64 v[14:15], -v[14:15], v[20:21], v[18:19]
	s_nop 1
	v_div_fmas_f64 v[14:15], v[14:15], v[16:17], v[20:21]
	v_div_fixup_f64 v[14:15], v[14:15], v[6:7], 1.0
	v_fma_f64 v[6:7], v[8:9], v[10:11], v[12:13]
	v_fma_f64 v[8:9], v[8:9], v[12:13], -v[10:11]
	v_mul_f64 v[6:7], v[6:7], v[14:15]
	v_mul_f64 v[8:9], v[8:9], v[14:15]
	s_cbranch_execz .LBB218_78
	s_branch .LBB218_79
.LBB218_77:                             ;   in Loop: Header=BB218_61 Depth=1
                                        ; implicit-def: $vgpr8_vgpr9
.LBB218_78:                             ;   in Loop: Header=BB218_61 Depth=1
	v_div_scale_f64 v[6:7], s[10:11], v[2:3], v[2:3], v[4:5]
	v_rcp_f64_e32 v[8:9], v[6:7]
	v_div_scale_f64 v[14:15], vcc, v[4:5], v[2:3], v[4:5]
	v_fma_f64 v[16:17], -v[6:7], v[8:9], 1.0
	v_fmac_f64_e32 v[8:9], v[8:9], v[16:17]
	v_fma_f64 v[16:17], -v[6:7], v[8:9], 1.0
	v_fmac_f64_e32 v[8:9], v[8:9], v[16:17]
	v_mul_f64 v[16:17], v[14:15], v[8:9]
	v_fma_f64 v[6:7], -v[6:7], v[16:17], v[14:15]
	v_div_fmas_f64 v[6:7], v[6:7], v[8:9], v[16:17]
	v_div_fixup_f64 v[8:9], v[6:7], v[2:3], v[4:5]
	v_fmac_f64_e32 v[2:3], v[4:5], v[8:9]
	v_div_scale_f64 v[4:5], s[10:11], v[2:3], v[2:3], 1.0
	v_rcp_f64_e32 v[6:7], v[4:5]
	v_fma_f64 v[14:15], -v[4:5], v[6:7], 1.0
	v_fmac_f64_e32 v[6:7], v[6:7], v[14:15]
	v_fma_f64 v[14:15], -v[4:5], v[6:7], 1.0
	v_fmac_f64_e32 v[6:7], v[6:7], v[14:15]
	v_div_scale_f64 v[14:15], vcc, 1.0, v[2:3], 1.0
	v_mul_f64 v[16:17], v[14:15], v[6:7]
	v_fma_f64 v[4:5], -v[4:5], v[16:17], v[14:15]
	s_nop 1
	v_div_fmas_f64 v[4:5], v[4:5], v[6:7], v[16:17]
	v_div_fixup_f64 v[2:3], v[4:5], v[2:3], 1.0
	v_fma_f64 v[4:5], v[8:9], v[12:13], v[10:11]
	v_mul_f64 v[6:7], v[4:5], v[2:3]
	v_fma_f64 v[4:5], -v[8:9], v[10:11], v[12:13]
	v_mul_f64 v[8:9], v[4:5], v[2:3]
.LBB218_79:                             ;   in Loop: Header=BB218_61 Depth=1
	s_add_i32 s17, s16, -4
	s_sub_i32 s1, s1, 64
	s_cmp_lt_i32 s16, 7
	ds_write_b128 v27, v[6:9]
	s_cbranch_scc1 .LBB218_81
; %bb.80:                               ;   in Loop: Header=BB218_61 Depth=1
	s_mov_b32 s16, s17
	s_branch .LBB218_61
.LBB218_81:
	s_cmp_lt_i32 s17, 0
	s_cbranch_scc1 .LBB218_90
; %bb.82:
	s_lshl_b32 s1, s34, 8
	s_lshl_b32 s10, s17, 4
	v_lshl_or_b32 v1, v0, 4, s1
	s_add_i32 s1, s1, s10
	v_add_u32_e32 v1, 0xf00, v1
	s_addk_i32 s1, 0xff00
	v_lshlrev_b32_e32 v14, 4, v0
	s_branch .LBB218_84
.LBB218_83:                             ;   in Loop: Header=BB218_84 Depth=1
	s_add_i32 s10, s17, -1
	s_add_i32 s1, s1, -16
	s_cmp_lt_i32 s17, 1
	s_mov_b32 s17, s10
	ds_write_b128 v15, v[10:13]
	s_cbranch_scc1 .LBB218_90
.LBB218_84:                             ; =>This Loop Header: Depth=1
                                        ;     Child Loop BB218_85 Depth 2
	v_lshl_or_b32 v6, s17, 8, v14
	ds_read_b128 v[2:5], v6 offset:4096
	s_cmp_le_i32 s35, s17
	s_mov_b32 s10, s1
	v_mov_b32_e32 v7, v1
	s_mov_b32 s11, s35
	s_cbranch_scc1 .LBB218_86
.LBB218_85:                             ;   Parent Loop BB218_84 Depth=1
                                        ; =>  This Inner Loop Header: Depth=2
	v_mov_b32_e32 v12, s10
	ds_read_b128 v[8:11], v7
	ds_read_b128 v[16:19], v12
	s_add_i32 s11, s11, -1
	s_addk_i32 s10, 0xff00
	v_add_u32_e32 v7, 0xffffff00, v7
	s_cmp_le_i32 s11, s17
	s_waitcnt lgkmcnt(0)
	v_mul_f64 v[12:13], v[18:19], v[10:11]
	v_mul_f64 v[10:11], v[16:17], v[10:11]
	v_fma_f64 v[12:13], v[16:17], v[8:9], -v[12:13]
	v_fmac_f64_e32 v[10:11], v[18:19], v[8:9]
	v_add_f64 v[2:3], v[2:3], -v[12:13]
	v_add_f64 v[4:5], v[4:5], -v[10:11]
	s_cbranch_scc0 .LBB218_85
.LBB218_86:                             ;   in Loop: Header=BB218_84 Depth=1
	s_mul_i32 s10, s17, 0x110
	v_add_u32_e32 v15, 0x1000, v6
	v_mov_b32_e32 v6, s10
	ds_read_b128 v[6:9], v6
	s_waitcnt lgkmcnt(0)
	v_xor_b32_e32 v11, 0x80000000, v7
	v_cmp_gt_f64_e32 vcc, 0, v[6:7]
	v_xor_b32_e32 v12, 0x80000000, v9
	v_cndmask_b32_e32 v11, v7, v11, vcc
	v_cmp_gt_f64_e32 vcc, 0, v[8:9]
	v_mov_b32_e32 v10, v6
	v_cndmask_b32_e32 v13, v9, v12, vcc
	v_mov_b32_e32 v12, v8
	v_cmp_ngt_f64_e32 vcc, v[10:11], v[12:13]
	s_cbranch_vccz .LBB218_88
; %bb.87:                               ;   in Loop: Header=BB218_84 Depth=1
	v_div_scale_f64 v[10:11], s[10:11], v[8:9], v[8:9], v[6:7]
	v_rcp_f64_e32 v[12:13], v[10:11]
	v_div_scale_f64 v[16:17], vcc, v[6:7], v[8:9], v[6:7]
	v_fma_f64 v[18:19], -v[10:11], v[12:13], 1.0
	v_fmac_f64_e32 v[12:13], v[12:13], v[18:19]
	v_fma_f64 v[18:19], -v[10:11], v[12:13], 1.0
	v_fmac_f64_e32 v[12:13], v[12:13], v[18:19]
	v_mul_f64 v[18:19], v[16:17], v[12:13]
	v_fma_f64 v[10:11], -v[10:11], v[18:19], v[16:17]
	v_div_fmas_f64 v[10:11], v[10:11], v[12:13], v[18:19]
	v_div_fixup_f64 v[12:13], v[10:11], v[8:9], v[6:7]
	v_fma_f64 v[10:11], v[6:7], v[12:13], v[8:9]
	v_div_scale_f64 v[16:17], s[10:11], v[10:11], v[10:11], 1.0
	v_rcp_f64_e32 v[18:19], v[16:17]
	v_fma_f64 v[20:21], -v[16:17], v[18:19], 1.0
	v_fmac_f64_e32 v[18:19], v[18:19], v[20:21]
	v_fma_f64 v[20:21], -v[16:17], v[18:19], 1.0
	v_fmac_f64_e32 v[18:19], v[18:19], v[20:21]
	v_div_scale_f64 v[20:21], vcc, 1.0, v[10:11], 1.0
	v_mul_f64 v[22:23], v[20:21], v[18:19]
	v_fma_f64 v[16:17], -v[16:17], v[22:23], v[20:21]
	s_nop 1
	v_div_fmas_f64 v[16:17], v[16:17], v[18:19], v[22:23]
	v_div_fixup_f64 v[16:17], v[16:17], v[10:11], 1.0
	v_fma_f64 v[10:11], v[2:3], v[12:13], v[4:5]
	v_fma_f64 v[12:13], v[4:5], v[12:13], -v[2:3]
	v_mul_f64 v[10:11], v[10:11], v[16:17]
	v_mul_f64 v[12:13], v[12:13], v[16:17]
	s_cbranch_execnz .LBB218_83
	s_branch .LBB218_89
.LBB218_88:                             ;   in Loop: Header=BB218_84 Depth=1
                                        ; implicit-def: $vgpr10_vgpr11
.LBB218_89:                             ;   in Loop: Header=BB218_84 Depth=1
	v_div_scale_f64 v[10:11], s[10:11], v[6:7], v[6:7], v[8:9]
	v_rcp_f64_e32 v[12:13], v[10:11]
	v_div_scale_f64 v[16:17], vcc, v[8:9], v[6:7], v[8:9]
	v_fma_f64 v[18:19], -v[10:11], v[12:13], 1.0
	v_fmac_f64_e32 v[12:13], v[12:13], v[18:19]
	v_fma_f64 v[18:19], -v[10:11], v[12:13], 1.0
	v_fmac_f64_e32 v[12:13], v[12:13], v[18:19]
	v_mul_f64 v[18:19], v[16:17], v[12:13]
	v_fma_f64 v[10:11], -v[10:11], v[18:19], v[16:17]
	v_div_fmas_f64 v[10:11], v[10:11], v[12:13], v[18:19]
	v_div_fixup_f64 v[12:13], v[10:11], v[6:7], v[8:9]
	v_fmac_f64_e32 v[6:7], v[8:9], v[12:13]
	v_div_scale_f64 v[8:9], s[10:11], v[6:7], v[6:7], 1.0
	v_rcp_f64_e32 v[10:11], v[8:9]
	v_fma_f64 v[16:17], -v[8:9], v[10:11], 1.0
	v_fmac_f64_e32 v[10:11], v[10:11], v[16:17]
	v_fma_f64 v[16:17], -v[8:9], v[10:11], 1.0
	v_fmac_f64_e32 v[10:11], v[10:11], v[16:17]
	v_div_scale_f64 v[16:17], vcc, 1.0, v[6:7], 1.0
	v_mul_f64 v[18:19], v[16:17], v[10:11]
	v_fma_f64 v[8:9], -v[8:9], v[18:19], v[16:17]
	s_nop 1
	v_div_fmas_f64 v[8:9], v[8:9], v[10:11], v[18:19]
	v_div_fixup_f64 v[6:7], v[8:9], v[6:7], 1.0
	v_fma_f64 v[8:9], v[4:5], v[12:13], v[2:3]
	v_fma_f64 v[2:3], -v[2:3], v[12:13], v[4:5]
	v_mul_f64 v[10:11], v[8:9], v[6:7]
	v_mul_f64 v[12:13], v[2:3], v[6:7]
	s_branch .LBB218_83
.LBB218_90:
	s_mov_b64 s[16:17], 0
.LBB218_91:
	s_andn2_b64 vcc, exec, s[16:17]
	s_cbranch_vccnz .LBB218_123
; %bb.92:
	s_andn2_b64 vcc, exec, s[8:9]
	s_mov_b32 s11, s35
	s_cbranch_vccnz .LBB218_114
; %bb.93:
	v_lshlrev_b32_e32 v1, 4, v0
	v_lshl_or_b32 v1, s34, 8, v1
	s_mul_i32 s1, s34, 0x110
	v_add_u32_e32 v1, 0xe00, v1
	s_addk_i32 s1, 0xfbe0
	s_mov_b32 s10, s35
.LBB218_94:                             ; =>This Loop Header: Depth=1
                                        ;     Child Loop BB218_95 Depth 2
	s_lshl_b32 s8, s10, 4
	s_add_i32 s16, s10, -1
	v_or_b32_e32 v2, s8, v0
	s_lshl_b32 s19, s16, 4
	s_add_i32 s11, s10, -2
	v_lshlrev_b32_e32 v18, 4, v2
	v_or_b32_e32 v2, s19, v0
	s_lshl_b32 s18, s11, 4
	v_lshlrev_b32_e32 v19, 4, v2
	v_or_b32_e32 v2, s18, v0
	s_sub_i32 s17, s8, 48
	v_lshlrev_b32_e32 v20, 4, v2
	v_or_b32_e32 v2, s17, v0
	ds_read_b128 v[14:17], v18 offset:4096
	ds_read_b128 v[10:13], v19 offset:4096
	v_lshlrev_b32_e32 v21, 4, v2
	ds_read_b128 v[6:9], v20 offset:4096
	ds_read_b128 v[2:5], v21 offset:4096
	s_cmp_le_i32 s35, s10
	s_mov_b32 s8, s1
	v_mov_b32_e32 v22, v1
	s_mov_b32 s9, s35
	s_cbranch_scc1 .LBB218_96
.LBB218_95:                             ;   Parent Loop BB218_94 Depth=1
                                        ; =>  This Inner Loop Header: Depth=2
	v_mov_b32_e32 v23, s8
	ds_read_b128 v[24:27], v22 offset:256
	ds_read_b128 v[28:31], v22
	ds_read_b128 v[32:35], v23
	ds_read_b128 v[36:39], v23 offset:16
	ds_read_b128 v[40:43], v23 offset:784
	ds_read_b128 v[44:47], v23 offset:768
	ds_read_b128 v[48:51], v23 offset:528
	ds_read_b128 v[52:55], v23 offset:512
	ds_read_b128 v[56:59], v23 offset:272
	ds_read_b128 v[60:63], v23 offset:256
	s_add_i32 s9, s9, -2
	s_sub_i32 s8, s8, 32
	s_waitcnt lgkmcnt(5)
	v_mul_f64 v[64:65], v[26:27], v[42:43]
	v_mul_f64 v[42:43], v[24:25], v[42:43]
	s_waitcnt lgkmcnt(3)
	v_mul_f64 v[66:67], v[26:27], v[50:51]
	v_mul_f64 v[50:51], v[24:25], v[50:51]
	s_waitcnt lgkmcnt(1)
	v_mul_f64 v[68:69], v[26:27], v[58:59]
	v_mul_f64 v[58:59], v[24:25], v[58:59]
	v_mul_f64 v[70:71], v[26:27], v[38:39]
	v_mul_f64 v[38:39], v[24:25], v[38:39]
	;; [unrolled: 1-line block ×6, first 2 shown]
	s_waitcnt lgkmcnt(0)
	v_mul_f64 v[76:77], v[30:31], v[62:63]
	v_mul_f64 v[62:63], v[28:29], v[62:63]
	;; [unrolled: 1-line block ×4, first 2 shown]
	v_fma_f64 v[64:65], v[24:25], v[40:41], -v[64:65]
	v_fmac_f64_e32 v[42:43], v[26:27], v[40:41]
	v_fma_f64 v[40:41], v[24:25], v[48:49], -v[66:67]
	v_fmac_f64_e32 v[50:51], v[26:27], v[48:49]
	;; [unrolled: 2-line block ×8, first 2 shown]
	v_add_f64 v[14:15], v[14:15], -v[64:65]
	v_add_f64 v[16:17], v[16:17], -v[42:43]
	;; [unrolled: 1-line block ×8, first 2 shown]
	v_add_u32_e32 v22, 0xfffffe00, v22
	s_cmp_le_i32 s9, s10
	v_add_f64 v[14:15], v[14:15], -v[26:27]
	v_add_f64 v[16:17], v[16:17], -v[46:47]
	;; [unrolled: 1-line block ×8, first 2 shown]
	s_cbranch_scc0 .LBB218_95
.LBB218_96:                             ;   in Loop: Header=BB218_94 Depth=1
	s_mul_i32 s20, s10, 0x110
	v_add_u32_e32 v29, 0x1000, v18
	v_mov_b32_e32 v18, s20
	ds_read_b128 v[22:25], v18
	v_add_u32_e32 v28, 0x1000, v19
	v_add_u32_e32 v27, 0x1000, v20
	;; [unrolled: 1-line block ×3, first 2 shown]
	s_waitcnt lgkmcnt(0)
	v_xor_b32_e32 v19, 0x80000000, v23
	v_cmp_gt_f64_e32 vcc, 0, v[22:23]
	v_xor_b32_e32 v20, 0x80000000, v25
	v_cndmask_b32_e32 v19, v23, v19, vcc
	v_cmp_gt_f64_e32 vcc, 0, v[24:25]
	v_mov_b32_e32 v18, v22
	v_cndmask_b32_e32 v21, v25, v20, vcc
	v_mov_b32_e32 v20, v24
	v_cmp_ngt_f64_e32 vcc, v[18:19], v[20:21]
	s_cbranch_vccz .LBB218_98
; %bb.97:                               ;   in Loop: Header=BB218_94 Depth=1
	v_div_scale_f64 v[18:19], s[8:9], v[24:25], v[24:25], v[22:23]
	v_rcp_f64_e32 v[20:21], v[18:19]
	v_div_scale_f64 v[30:31], vcc, v[22:23], v[24:25], v[22:23]
	v_fma_f64 v[32:33], -v[18:19], v[20:21], 1.0
	v_fmac_f64_e32 v[20:21], v[20:21], v[32:33]
	v_fma_f64 v[32:33], -v[18:19], v[20:21], 1.0
	v_fmac_f64_e32 v[20:21], v[20:21], v[32:33]
	v_mul_f64 v[32:33], v[30:31], v[20:21]
	v_fma_f64 v[18:19], -v[18:19], v[32:33], v[30:31]
	v_div_fmas_f64 v[18:19], v[18:19], v[20:21], v[32:33]
	v_div_fixup_f64 v[20:21], v[18:19], v[24:25], v[22:23]
	v_fma_f64 v[18:19], v[22:23], v[20:21], v[24:25]
	v_div_scale_f64 v[30:31], s[8:9], v[18:19], v[18:19], 1.0
	v_rcp_f64_e32 v[32:33], v[30:31]
	v_fma_f64 v[34:35], -v[30:31], v[32:33], 1.0
	v_fmac_f64_e32 v[32:33], v[32:33], v[34:35]
	v_fma_f64 v[34:35], -v[30:31], v[32:33], 1.0
	v_fmac_f64_e32 v[32:33], v[32:33], v[34:35]
	v_div_scale_f64 v[34:35], vcc, 1.0, v[18:19], 1.0
	v_mul_f64 v[36:37], v[34:35], v[32:33]
	v_fma_f64 v[30:31], -v[30:31], v[36:37], v[34:35]
	s_nop 1
	v_div_fmas_f64 v[30:31], v[30:31], v[32:33], v[36:37]
	v_div_fixup_f64 v[30:31], v[30:31], v[18:19], 1.0
	v_fma_f64 v[18:19], v[14:15], v[20:21], v[16:17]
	v_fma_f64 v[20:21], v[16:17], v[20:21], -v[14:15]
	v_mul_f64 v[18:19], v[18:19], v[30:31]
	v_mul_f64 v[20:21], v[20:21], v[30:31]
	s_cbranch_execz .LBB218_99
	s_branch .LBB218_100
.LBB218_98:                             ;   in Loop: Header=BB218_94 Depth=1
                                        ; implicit-def: $vgpr20_vgpr21
.LBB218_99:                             ;   in Loop: Header=BB218_94 Depth=1
	v_div_scale_f64 v[18:19], s[8:9], v[22:23], v[22:23], v[24:25]
	v_rcp_f64_e32 v[20:21], v[18:19]
	v_div_scale_f64 v[30:31], vcc, v[24:25], v[22:23], v[24:25]
	v_fma_f64 v[32:33], -v[18:19], v[20:21], 1.0
	v_fmac_f64_e32 v[20:21], v[20:21], v[32:33]
	v_fma_f64 v[32:33], -v[18:19], v[20:21], 1.0
	v_fmac_f64_e32 v[20:21], v[20:21], v[32:33]
	v_mul_f64 v[32:33], v[30:31], v[20:21]
	v_fma_f64 v[18:19], -v[18:19], v[32:33], v[30:31]
	v_div_fmas_f64 v[18:19], v[18:19], v[20:21], v[32:33]
	v_div_fixup_f64 v[20:21], v[18:19], v[22:23], v[24:25]
	v_fmac_f64_e32 v[22:23], v[24:25], v[20:21]
	v_div_scale_f64 v[18:19], s[8:9], v[22:23], v[22:23], 1.0
	v_rcp_f64_e32 v[24:25], v[18:19]
	v_fma_f64 v[30:31], -v[18:19], v[24:25], 1.0
	v_fmac_f64_e32 v[24:25], v[24:25], v[30:31]
	v_fma_f64 v[30:31], -v[18:19], v[24:25], 1.0
	v_fmac_f64_e32 v[24:25], v[24:25], v[30:31]
	v_div_scale_f64 v[30:31], vcc, 1.0, v[22:23], 1.0
	v_mul_f64 v[32:33], v[30:31], v[24:25]
	v_fma_f64 v[18:19], -v[18:19], v[32:33], v[30:31]
	s_nop 1
	v_div_fmas_f64 v[18:19], v[18:19], v[24:25], v[32:33]
	v_div_fixup_f64 v[22:23], v[18:19], v[22:23], 1.0
	v_fma_f64 v[18:19], v[16:17], v[20:21], v[14:15]
	v_fma_f64 v[14:15], -v[14:15], v[20:21], v[16:17]
	v_mul_f64 v[18:19], v[18:19], v[22:23]
	v_mul_f64 v[20:21], v[14:15], v[22:23]
.LBB218_100:                            ;   in Loop: Header=BB218_94 Depth=1
	s_add_i32 s19, s19, s10
	s_lshl_b32 s8, s19, 4
	v_mov_b32_e32 v14, s8
	ds_read_b128 v[22:25], v14
	s_add_i32 s19, s20, 0xfffffef0
	v_mov_b32_e32 v14, s19
	ds_read_b128 v[14:17], v14
	ds_write_b128 v29, v[18:21]
	s_waitcnt lgkmcnt(2)
	v_mul_f64 v[30:31], v[20:21], v[24:25]
	v_fma_f64 v[30:31], v[18:19], v[22:23], -v[30:31]
	v_mul_f64 v[24:25], v[18:19], v[24:25]
	v_fmac_f64_e32 v[24:25], v[20:21], v[22:23]
	v_add_f64 v[22:23], v[10:11], -v[30:31]
	s_waitcnt lgkmcnt(1)
	v_xor_b32_e32 v10, 0x80000000, v15
	v_cmp_gt_f64_e32 vcc, 0, v[14:15]
	v_add_f64 v[24:25], v[12:13], -v[24:25]
	v_cndmask_b32_e32 v11, v15, v10, vcc
	v_xor_b32_e32 v12, 0x80000000, v17
	v_cmp_gt_f64_e32 vcc, 0, v[16:17]
	v_mov_b32_e32 v10, v14
	v_cndmask_b32_e32 v13, v17, v12, vcc
	v_mov_b32_e32 v12, v16
	v_cmp_ngt_f64_e32 vcc, v[10:11], v[12:13]
	s_cbranch_vccz .LBB218_102
; %bb.101:                              ;   in Loop: Header=BB218_94 Depth=1
	v_div_scale_f64 v[10:11], s[8:9], v[16:17], v[16:17], v[14:15]
	v_rcp_f64_e32 v[12:13], v[10:11]
	v_div_scale_f64 v[30:31], vcc, v[14:15], v[16:17], v[14:15]
	v_fma_f64 v[32:33], -v[10:11], v[12:13], 1.0
	v_fmac_f64_e32 v[12:13], v[12:13], v[32:33]
	v_fma_f64 v[32:33], -v[10:11], v[12:13], 1.0
	v_fmac_f64_e32 v[12:13], v[12:13], v[32:33]
	v_mul_f64 v[32:33], v[30:31], v[12:13]
	v_fma_f64 v[10:11], -v[10:11], v[32:33], v[30:31]
	v_div_fmas_f64 v[10:11], v[10:11], v[12:13], v[32:33]
	v_div_fixup_f64 v[12:13], v[10:11], v[16:17], v[14:15]
	v_fma_f64 v[10:11], v[14:15], v[12:13], v[16:17]
	v_div_scale_f64 v[30:31], s[8:9], v[10:11], v[10:11], 1.0
	v_rcp_f64_e32 v[32:33], v[30:31]
	v_fma_f64 v[34:35], -v[30:31], v[32:33], 1.0
	v_fmac_f64_e32 v[32:33], v[32:33], v[34:35]
	v_fma_f64 v[34:35], -v[30:31], v[32:33], 1.0
	v_fmac_f64_e32 v[32:33], v[32:33], v[34:35]
	v_div_scale_f64 v[34:35], vcc, 1.0, v[10:11], 1.0
	v_mul_f64 v[36:37], v[34:35], v[32:33]
	v_fma_f64 v[30:31], -v[30:31], v[36:37], v[34:35]
	s_nop 1
	v_div_fmas_f64 v[30:31], v[30:31], v[32:33], v[36:37]
	v_div_fixup_f64 v[30:31], v[30:31], v[10:11], 1.0
	v_fma_f64 v[10:11], v[12:13], v[22:23], v[24:25]
	v_fma_f64 v[12:13], v[12:13], v[24:25], -v[22:23]
	v_mul_f64 v[10:11], v[10:11], v[30:31]
	v_mul_f64 v[12:13], v[12:13], v[30:31]
	s_cbranch_execz .LBB218_103
	s_branch .LBB218_104
.LBB218_102:                            ;   in Loop: Header=BB218_94 Depth=1
                                        ; implicit-def: $vgpr12_vgpr13
.LBB218_103:                            ;   in Loop: Header=BB218_94 Depth=1
	v_div_scale_f64 v[10:11], s[8:9], v[14:15], v[14:15], v[16:17]
	v_rcp_f64_e32 v[12:13], v[10:11]
	v_div_scale_f64 v[30:31], vcc, v[16:17], v[14:15], v[16:17]
	v_fma_f64 v[32:33], -v[10:11], v[12:13], 1.0
	v_fmac_f64_e32 v[12:13], v[12:13], v[32:33]
	v_fma_f64 v[32:33], -v[10:11], v[12:13], 1.0
	v_fmac_f64_e32 v[12:13], v[12:13], v[32:33]
	v_mul_f64 v[32:33], v[30:31], v[12:13]
	v_fma_f64 v[10:11], -v[10:11], v[32:33], v[30:31]
	v_div_fmas_f64 v[10:11], v[10:11], v[12:13], v[32:33]
	v_div_fixup_f64 v[12:13], v[10:11], v[14:15], v[16:17]
	v_fmac_f64_e32 v[14:15], v[16:17], v[12:13]
	v_div_scale_f64 v[10:11], s[8:9], v[14:15], v[14:15], 1.0
	v_rcp_f64_e32 v[16:17], v[10:11]
	v_fma_f64 v[30:31], -v[10:11], v[16:17], 1.0
	v_fmac_f64_e32 v[16:17], v[16:17], v[30:31]
	v_fma_f64 v[30:31], -v[10:11], v[16:17], 1.0
	v_fmac_f64_e32 v[16:17], v[16:17], v[30:31]
	v_div_scale_f64 v[30:31], vcc, 1.0, v[14:15], 1.0
	v_mul_f64 v[32:33], v[30:31], v[16:17]
	v_fma_f64 v[10:11], -v[10:11], v[32:33], v[30:31]
	s_nop 1
	v_div_fmas_f64 v[10:11], v[10:11], v[16:17], v[32:33]
	v_div_fixup_f64 v[14:15], v[10:11], v[14:15], 1.0
	v_fma_f64 v[10:11], v[12:13], v[24:25], v[22:23]
	v_fma_f64 v[12:13], -v[12:13], v[22:23], v[24:25]
	v_mul_f64 v[10:11], v[10:11], v[14:15]
	v_mul_f64 v[12:13], v[12:13], v[14:15]
.LBB218_104:                            ;   in Loop: Header=BB218_94 Depth=1
	s_add_i32 s8, s18, s10
	s_lshl_b32 s8, s8, 4
	v_mov_b32_e32 v14, s8
	s_add_i32 s18, s18, s16
	ds_read_b128 v[14:17], v14
	s_lshl_b32 s8, s18, 4
	v_mov_b32_e32 v22, s8
	ds_read_b128 v[22:25], v22
	ds_write_b128 v28, v[10:13]
	s_waitcnt lgkmcnt(2)
	v_mul_f64 v[28:29], v[20:21], v[16:17]
	v_fma_f64 v[28:29], v[18:19], v[14:15], -v[28:29]
	v_mul_f64 v[16:17], v[18:19], v[16:17]
	v_fmac_f64_e32 v[16:17], v[20:21], v[14:15]
	v_add_f64 v[14:15], v[6:7], -v[28:29]
	s_waitcnt lgkmcnt(1)
	v_mul_f64 v[6:7], v[12:13], v[24:25]
	s_add_i32 s18, s19, 0xfffffef0
	v_fma_f64 v[28:29], v[10:11], v[22:23], -v[6:7]
	v_mov_b32_e32 v6, s18
	v_add_f64 v[16:17], v[8:9], -v[16:17]
	ds_read_b128 v[6:9], v6
	v_mul_f64 v[24:25], v[10:11], v[24:25]
	v_fmac_f64_e32 v[24:25], v[12:13], v[22:23]
	v_add_f64 v[22:23], v[14:15], -v[28:29]
	v_add_f64 v[24:25], v[16:17], -v[24:25]
	s_waitcnt lgkmcnt(0)
	v_xor_b32_e32 v14, 0x80000000, v7
	v_cmp_gt_f64_e32 vcc, 0, v[6:7]
	v_cndmask_b32_e32 v15, v7, v14, vcc
	v_xor_b32_e32 v16, 0x80000000, v9
	v_cmp_gt_f64_e32 vcc, 0, v[8:9]
	v_mov_b32_e32 v14, v6
	v_cndmask_b32_e32 v17, v9, v16, vcc
	v_mov_b32_e32 v16, v8
	v_cmp_ngt_f64_e32 vcc, v[14:15], v[16:17]
	s_cbranch_vccz .LBB218_106
; %bb.105:                              ;   in Loop: Header=BB218_94 Depth=1
	v_div_scale_f64 v[14:15], s[8:9], v[8:9], v[8:9], v[6:7]
	v_rcp_f64_e32 v[16:17], v[14:15]
	v_div_scale_f64 v[28:29], vcc, v[6:7], v[8:9], v[6:7]
	v_fma_f64 v[30:31], -v[14:15], v[16:17], 1.0
	v_fmac_f64_e32 v[16:17], v[16:17], v[30:31]
	v_fma_f64 v[30:31], -v[14:15], v[16:17], 1.0
	v_fmac_f64_e32 v[16:17], v[16:17], v[30:31]
	v_mul_f64 v[30:31], v[28:29], v[16:17]
	v_fma_f64 v[14:15], -v[14:15], v[30:31], v[28:29]
	v_div_fmas_f64 v[14:15], v[14:15], v[16:17], v[30:31]
	v_div_fixup_f64 v[16:17], v[14:15], v[8:9], v[6:7]
	v_fma_f64 v[14:15], v[6:7], v[16:17], v[8:9]
	v_div_scale_f64 v[28:29], s[8:9], v[14:15], v[14:15], 1.0
	v_rcp_f64_e32 v[30:31], v[28:29]
	v_fma_f64 v[32:33], -v[28:29], v[30:31], 1.0
	v_fmac_f64_e32 v[30:31], v[30:31], v[32:33]
	v_fma_f64 v[32:33], -v[28:29], v[30:31], 1.0
	v_fmac_f64_e32 v[30:31], v[30:31], v[32:33]
	v_div_scale_f64 v[32:33], vcc, 1.0, v[14:15], 1.0
	v_mul_f64 v[34:35], v[32:33], v[30:31]
	v_fma_f64 v[28:29], -v[28:29], v[34:35], v[32:33]
	s_nop 1
	v_div_fmas_f64 v[28:29], v[28:29], v[30:31], v[34:35]
	v_div_fixup_f64 v[28:29], v[28:29], v[14:15], 1.0
	v_fma_f64 v[14:15], v[16:17], v[22:23], v[24:25]
	v_fma_f64 v[16:17], v[16:17], v[24:25], -v[22:23]
	v_mul_f64 v[14:15], v[14:15], v[28:29]
	v_mul_f64 v[16:17], v[16:17], v[28:29]
	s_cbranch_execz .LBB218_107
	s_branch .LBB218_108
.LBB218_106:                            ;   in Loop: Header=BB218_94 Depth=1
                                        ; implicit-def: $vgpr16_vgpr17
.LBB218_107:                            ;   in Loop: Header=BB218_94 Depth=1
	v_div_scale_f64 v[14:15], s[8:9], v[6:7], v[6:7], v[8:9]
	v_rcp_f64_e32 v[16:17], v[14:15]
	v_div_scale_f64 v[28:29], vcc, v[8:9], v[6:7], v[8:9]
	v_fma_f64 v[30:31], -v[14:15], v[16:17], 1.0
	v_fmac_f64_e32 v[16:17], v[16:17], v[30:31]
	v_fma_f64 v[30:31], -v[14:15], v[16:17], 1.0
	v_fmac_f64_e32 v[16:17], v[16:17], v[30:31]
	v_mul_f64 v[30:31], v[28:29], v[16:17]
	v_fma_f64 v[14:15], -v[14:15], v[30:31], v[28:29]
	v_div_fmas_f64 v[14:15], v[14:15], v[16:17], v[30:31]
	v_div_fixup_f64 v[16:17], v[14:15], v[6:7], v[8:9]
	v_fmac_f64_e32 v[6:7], v[8:9], v[16:17]
	v_div_scale_f64 v[8:9], s[8:9], v[6:7], v[6:7], 1.0
	v_rcp_f64_e32 v[14:15], v[8:9]
	v_fma_f64 v[28:29], -v[8:9], v[14:15], 1.0
	v_fmac_f64_e32 v[14:15], v[14:15], v[28:29]
	v_fma_f64 v[28:29], -v[8:9], v[14:15], 1.0
	v_fmac_f64_e32 v[14:15], v[14:15], v[28:29]
	v_div_scale_f64 v[28:29], vcc, 1.0, v[6:7], 1.0
	v_mul_f64 v[30:31], v[28:29], v[14:15]
	v_fma_f64 v[8:9], -v[8:9], v[30:31], v[28:29]
	s_nop 1
	v_div_fmas_f64 v[8:9], v[8:9], v[14:15], v[30:31]
	v_div_fixup_f64 v[6:7], v[8:9], v[6:7], 1.0
	v_fma_f64 v[8:9], v[16:17], v[24:25], v[22:23]
	v_mul_f64 v[14:15], v[8:9], v[6:7]
	v_fma_f64 v[8:9], -v[16:17], v[22:23], v[24:25]
	v_mul_f64 v[16:17], v[8:9], v[6:7]
.LBB218_108:                            ;   in Loop: Header=BB218_94 Depth=1
	s_add_i32 s8, s17, s10
	s_lshl_b32 s8, s8, 4
	v_mov_b32_e32 v6, s8
	s_add_i32 s8, s17, s16
	s_lshl_b32 s8, s8, 4
	ds_read_b128 v[6:9], v6
	v_mov_b32_e32 v22, s8
	ds_read_b128 v[22:25], v22
	s_add_i32 s17, s17, s11
	s_lshl_b32 s8, s17, 4
	s_waitcnt lgkmcnt(1)
	v_mul_f64 v[28:29], v[20:21], v[8:9]
	v_mul_f64 v[8:9], v[18:19], v[8:9]
	v_fma_f64 v[28:29], v[18:19], v[6:7], -v[28:29]
	v_fmac_f64_e32 v[8:9], v[20:21], v[6:7]
	s_waitcnt lgkmcnt(0)
	v_mul_f64 v[6:7], v[12:13], v[24:25]
	v_add_f64 v[2:3], v[2:3], -v[28:29]
	v_fma_f64 v[6:7], v[10:11], v[22:23], -v[6:7]
	v_mul_f64 v[10:11], v[10:11], v[24:25]
	v_fmac_f64_e32 v[10:11], v[12:13], v[22:23]
	v_add_f64 v[12:13], v[2:3], -v[6:7]
	v_mov_b32_e32 v2, s8
	s_add_i32 s8, s18, 0xfffffef0
	v_add_f64 v[4:5], v[4:5], -v[8:9]
	ds_read_b128 v[6:9], v2
	v_mov_b32_e32 v2, s8
	v_add_f64 v[18:19], v[4:5], -v[10:11]
	ds_read_b128 v[2:5], v2
	ds_write_b128 v27, v[14:17]
	s_waitcnt lgkmcnt(2)
	v_mul_f64 v[10:11], v[16:17], v[8:9]
	v_mul_f64 v[8:9], v[14:15], v[8:9]
	v_fma_f64 v[10:11], v[14:15], v[6:7], -v[10:11]
	v_fmac_f64_e32 v[8:9], v[16:17], v[6:7]
	s_waitcnt lgkmcnt(1)
	v_xor_b32_e32 v6, 0x80000000, v3
	v_cmp_gt_f64_e32 vcc, 0, v[2:3]
	v_add_f64 v[10:11], v[12:13], -v[10:11]
	v_add_f64 v[12:13], v[18:19], -v[8:9]
	v_cndmask_b32_e32 v7, v3, v6, vcc
	v_xor_b32_e32 v8, 0x80000000, v5
	v_cmp_gt_f64_e32 vcc, 0, v[4:5]
	v_mov_b32_e32 v6, v2
	v_cndmask_b32_e32 v9, v5, v8, vcc
	v_mov_b32_e32 v8, v4
	v_cmp_ngt_f64_e32 vcc, v[6:7], v[8:9]
	s_cbranch_vccz .LBB218_110
; %bb.109:                              ;   in Loop: Header=BB218_94 Depth=1
	v_div_scale_f64 v[6:7], s[8:9], v[4:5], v[4:5], v[2:3]
	v_rcp_f64_e32 v[8:9], v[6:7]
	v_div_scale_f64 v[14:15], vcc, v[2:3], v[4:5], v[2:3]
	v_fma_f64 v[16:17], -v[6:7], v[8:9], 1.0
	v_fmac_f64_e32 v[8:9], v[8:9], v[16:17]
	v_fma_f64 v[16:17], -v[6:7], v[8:9], 1.0
	v_fmac_f64_e32 v[8:9], v[8:9], v[16:17]
	v_mul_f64 v[16:17], v[14:15], v[8:9]
	v_fma_f64 v[6:7], -v[6:7], v[16:17], v[14:15]
	v_div_fmas_f64 v[6:7], v[6:7], v[8:9], v[16:17]
	v_div_fixup_f64 v[8:9], v[6:7], v[4:5], v[2:3]
	v_fma_f64 v[6:7], v[2:3], v[8:9], v[4:5]
	v_div_scale_f64 v[14:15], s[8:9], v[6:7], v[6:7], 1.0
	v_rcp_f64_e32 v[16:17], v[14:15]
	v_fma_f64 v[18:19], -v[14:15], v[16:17], 1.0
	v_fmac_f64_e32 v[16:17], v[16:17], v[18:19]
	v_fma_f64 v[18:19], -v[14:15], v[16:17], 1.0
	v_fmac_f64_e32 v[16:17], v[16:17], v[18:19]
	v_div_scale_f64 v[18:19], vcc, 1.0, v[6:7], 1.0
	v_mul_f64 v[20:21], v[18:19], v[16:17]
	v_fma_f64 v[14:15], -v[14:15], v[20:21], v[18:19]
	s_nop 1
	v_div_fmas_f64 v[14:15], v[14:15], v[16:17], v[20:21]
	v_div_fixup_f64 v[14:15], v[14:15], v[6:7], 1.0
	v_fma_f64 v[6:7], v[8:9], v[10:11], v[12:13]
	v_fma_f64 v[8:9], v[8:9], v[12:13], -v[10:11]
	v_mul_f64 v[6:7], v[6:7], v[14:15]
	v_mul_f64 v[8:9], v[8:9], v[14:15]
	s_cbranch_execz .LBB218_111
	s_branch .LBB218_112
.LBB218_110:                            ;   in Loop: Header=BB218_94 Depth=1
                                        ; implicit-def: $vgpr8_vgpr9
.LBB218_111:                            ;   in Loop: Header=BB218_94 Depth=1
	v_div_scale_f64 v[6:7], s[8:9], v[2:3], v[2:3], v[4:5]
	v_rcp_f64_e32 v[8:9], v[6:7]
	v_div_scale_f64 v[14:15], vcc, v[4:5], v[2:3], v[4:5]
	v_fma_f64 v[16:17], -v[6:7], v[8:9], 1.0
	v_fmac_f64_e32 v[8:9], v[8:9], v[16:17]
	v_fma_f64 v[16:17], -v[6:7], v[8:9], 1.0
	v_fmac_f64_e32 v[8:9], v[8:9], v[16:17]
	v_mul_f64 v[16:17], v[14:15], v[8:9]
	v_fma_f64 v[6:7], -v[6:7], v[16:17], v[14:15]
	v_div_fmas_f64 v[6:7], v[6:7], v[8:9], v[16:17]
	v_div_fixup_f64 v[8:9], v[6:7], v[2:3], v[4:5]
	v_fmac_f64_e32 v[2:3], v[4:5], v[8:9]
	v_div_scale_f64 v[4:5], s[8:9], v[2:3], v[2:3], 1.0
	v_rcp_f64_e32 v[6:7], v[4:5]
	v_fma_f64 v[14:15], -v[4:5], v[6:7], 1.0
	v_fmac_f64_e32 v[6:7], v[6:7], v[14:15]
	v_fma_f64 v[14:15], -v[4:5], v[6:7], 1.0
	v_fmac_f64_e32 v[6:7], v[6:7], v[14:15]
	v_div_scale_f64 v[14:15], vcc, 1.0, v[2:3], 1.0
	v_mul_f64 v[16:17], v[14:15], v[6:7]
	v_fma_f64 v[4:5], -v[4:5], v[16:17], v[14:15]
	s_nop 1
	v_div_fmas_f64 v[4:5], v[4:5], v[6:7], v[16:17]
	v_div_fixup_f64 v[2:3], v[4:5], v[2:3], 1.0
	v_fma_f64 v[4:5], v[8:9], v[12:13], v[10:11]
	v_mul_f64 v[6:7], v[4:5], v[2:3]
	v_fma_f64 v[4:5], -v[8:9], v[10:11], v[12:13]
	v_mul_f64 v[8:9], v[4:5], v[2:3]
.LBB218_112:                            ;   in Loop: Header=BB218_94 Depth=1
	s_add_i32 s11, s10, -4
	s_addk_i32 s1, 0xfc00
	s_cmp_lt_i32 s10, 7
	ds_write_b128 v26, v[6:9]
	s_cbranch_scc1 .LBB218_114
; %bb.113:                              ;   in Loop: Header=BB218_94 Depth=1
	s_mov_b32 s10, s11
	s_branch .LBB218_94
.LBB218_114:
	s_cmp_lt_i32 s11, 0
	s_cbranch_scc1 .LBB218_123
; %bb.115:
	v_lshlrev_b32_e32 v1, 4, v0
	s_lshl_b32 s1, s11, 8
	s_lshl_b32 s8, s34, 4
	v_lshl_or_b32 v2, s34, 8, v1
	s_add_i32 s1, s1, s8
	v_add_u32_e32 v14, 0xf00, v2
	s_add_i32 s1, s1, -16
	s_branch .LBB218_117
.LBB218_116:                            ;   in Loop: Header=BB218_117 Depth=1
	s_add_i32 s8, s11, -1
	s_addk_i32 s1, 0xff00
	s_cmp_lt_i32 s11, 1
	s_mov_b32 s11, s8
	ds_write_b128 v15, v[10:13]
	s_cbranch_scc1 .LBB218_123
.LBB218_117:                            ; =>This Loop Header: Depth=1
                                        ;     Child Loop BB218_118 Depth 2
	v_lshl_or_b32 v6, s11, 8, v1
	ds_read_b128 v[2:5], v6 offset:4096
	s_cmp_le_i32 s35, s11
	s_mov_b32 s8, s1
	v_mov_b32_e32 v7, v14
	s_mov_b32 s9, s35
	s_cbranch_scc1 .LBB218_119
.LBB218_118:                            ;   Parent Loop BB218_117 Depth=1
                                        ; =>  This Inner Loop Header: Depth=2
	v_mov_b32_e32 v12, s8
	ds_read_b128 v[8:11], v7
	ds_read_b128 v[16:19], v12
	s_add_i32 s9, s9, -1
	s_add_i32 s8, s8, -16
	v_add_u32_e32 v7, 0xffffff00, v7
	s_cmp_le_i32 s9, s11
	s_waitcnt lgkmcnt(0)
	v_mul_f64 v[12:13], v[18:19], v[10:11]
	v_mul_f64 v[10:11], v[16:17], v[10:11]
	v_fma_f64 v[12:13], v[16:17], v[8:9], -v[12:13]
	v_fmac_f64_e32 v[10:11], v[18:19], v[8:9]
	v_add_f64 v[2:3], v[2:3], -v[12:13]
	v_add_f64 v[4:5], v[4:5], -v[10:11]
	s_cbranch_scc0 .LBB218_118
.LBB218_119:                            ;   in Loop: Header=BB218_117 Depth=1
	s_mul_i32 s8, s11, 0x110
	v_add_u32_e32 v15, 0x1000, v6
	v_mov_b32_e32 v6, s8
	ds_read_b128 v[6:9], v6
	s_waitcnt lgkmcnt(0)
	v_xor_b32_e32 v11, 0x80000000, v7
	v_cmp_gt_f64_e32 vcc, 0, v[6:7]
	v_xor_b32_e32 v12, 0x80000000, v9
	v_cndmask_b32_e32 v11, v7, v11, vcc
	v_cmp_gt_f64_e32 vcc, 0, v[8:9]
	v_mov_b32_e32 v10, v6
	v_cndmask_b32_e32 v13, v9, v12, vcc
	v_mov_b32_e32 v12, v8
	v_cmp_ngt_f64_e32 vcc, v[10:11], v[12:13]
	s_cbranch_vccz .LBB218_121
; %bb.120:                              ;   in Loop: Header=BB218_117 Depth=1
	v_div_scale_f64 v[10:11], s[8:9], v[8:9], v[8:9], v[6:7]
	v_rcp_f64_e32 v[12:13], v[10:11]
	v_div_scale_f64 v[16:17], vcc, v[6:7], v[8:9], v[6:7]
	v_fma_f64 v[18:19], -v[10:11], v[12:13], 1.0
	v_fmac_f64_e32 v[12:13], v[12:13], v[18:19]
	v_fma_f64 v[18:19], -v[10:11], v[12:13], 1.0
	v_fmac_f64_e32 v[12:13], v[12:13], v[18:19]
	v_mul_f64 v[18:19], v[16:17], v[12:13]
	v_fma_f64 v[10:11], -v[10:11], v[18:19], v[16:17]
	v_div_fmas_f64 v[10:11], v[10:11], v[12:13], v[18:19]
	v_div_fixup_f64 v[12:13], v[10:11], v[8:9], v[6:7]
	v_fma_f64 v[10:11], v[6:7], v[12:13], v[8:9]
	v_div_scale_f64 v[16:17], s[8:9], v[10:11], v[10:11], 1.0
	v_rcp_f64_e32 v[18:19], v[16:17]
	v_fma_f64 v[20:21], -v[16:17], v[18:19], 1.0
	v_fmac_f64_e32 v[18:19], v[18:19], v[20:21]
	v_fma_f64 v[20:21], -v[16:17], v[18:19], 1.0
	v_fmac_f64_e32 v[18:19], v[18:19], v[20:21]
	v_div_scale_f64 v[20:21], vcc, 1.0, v[10:11], 1.0
	v_mul_f64 v[22:23], v[20:21], v[18:19]
	v_fma_f64 v[16:17], -v[16:17], v[22:23], v[20:21]
	s_nop 1
	v_div_fmas_f64 v[16:17], v[16:17], v[18:19], v[22:23]
	v_div_fixup_f64 v[16:17], v[16:17], v[10:11], 1.0
	v_fma_f64 v[10:11], v[2:3], v[12:13], v[4:5]
	v_fma_f64 v[12:13], v[4:5], v[12:13], -v[2:3]
	v_mul_f64 v[10:11], v[10:11], v[16:17]
	v_mul_f64 v[12:13], v[12:13], v[16:17]
	s_cbranch_execnz .LBB218_116
	s_branch .LBB218_122
.LBB218_121:                            ;   in Loop: Header=BB218_117 Depth=1
                                        ; implicit-def: $vgpr10_vgpr11
.LBB218_122:                            ;   in Loop: Header=BB218_117 Depth=1
	v_div_scale_f64 v[10:11], s[8:9], v[6:7], v[6:7], v[8:9]
	v_rcp_f64_e32 v[12:13], v[10:11]
	v_div_scale_f64 v[16:17], vcc, v[8:9], v[6:7], v[8:9]
	v_fma_f64 v[18:19], -v[10:11], v[12:13], 1.0
	v_fmac_f64_e32 v[12:13], v[12:13], v[18:19]
	v_fma_f64 v[18:19], -v[10:11], v[12:13], 1.0
	v_fmac_f64_e32 v[12:13], v[12:13], v[18:19]
	v_mul_f64 v[18:19], v[16:17], v[12:13]
	v_fma_f64 v[10:11], -v[10:11], v[18:19], v[16:17]
	v_div_fmas_f64 v[10:11], v[10:11], v[12:13], v[18:19]
	v_div_fixup_f64 v[12:13], v[10:11], v[6:7], v[8:9]
	v_fmac_f64_e32 v[6:7], v[8:9], v[12:13]
	v_div_scale_f64 v[8:9], s[8:9], v[6:7], v[6:7], 1.0
	v_rcp_f64_e32 v[10:11], v[8:9]
	v_fma_f64 v[16:17], -v[8:9], v[10:11], 1.0
	v_fmac_f64_e32 v[10:11], v[10:11], v[16:17]
	v_fma_f64 v[16:17], -v[8:9], v[10:11], 1.0
	v_fmac_f64_e32 v[10:11], v[10:11], v[16:17]
	v_div_scale_f64 v[16:17], vcc, 1.0, v[6:7], 1.0
	v_mul_f64 v[18:19], v[16:17], v[10:11]
	v_fma_f64 v[8:9], -v[8:9], v[18:19], v[16:17]
	s_nop 1
	v_div_fmas_f64 v[8:9], v[8:9], v[10:11], v[18:19]
	v_div_fixup_f64 v[6:7], v[8:9], v[6:7], 1.0
	v_fma_f64 v[8:9], v[4:5], v[12:13], v[2:3]
	v_fma_f64 v[2:3], -v[2:3], v[12:13], v[4:5]
	v_mul_f64 v[10:11], v[8:9], v[6:7]
	v_mul_f64 v[12:13], v[2:3], v[6:7]
	s_branch .LBB218_116
.LBB218_123:
	s_mov_b64 s[18:19], 0
.LBB218_124:
	s_andn2_b64 vcc, exec, s[18:19]
	s_cbranch_vccnz .LBB218_163
; %bb.125:
	s_cmp_lt_i32 s33, 4
	s_mov_b32 s11, 0
	s_cbranch_scc1 .LBB218_148
; %bb.126:
	v_mov_b32_e32 v1, 0x1000
	v_lshl_or_b32 v1, v0, 4, v1
	s_mov_b32 s1, 0
	s_mov_b32 s10, 0
.LBB218_127:                            ; =>This Loop Header: Depth=1
                                        ;     Child Loop BB218_129 Depth 2
	s_lshl_b32 s8, s10, 4
	v_or_b32_e32 v2, s8, v0
	s_or_b32 s18, s8, 16
	v_lshlrev_b32_e32 v18, 4, v2
	v_or_b32_e32 v2, s18, v0
	s_or_b32 s16, s8, 32
	v_lshlrev_b32_e32 v19, 4, v2
	;; [unrolled: 3-line block ×3, first 2 shown]
	v_or_b32_e32 v2, s11, v0
	ds_read_b128 v[14:17], v18 offset:4096
	ds_read_b128 v[10:13], v19 offset:4096
	v_lshlrev_b32_e32 v21, 4, v2
	ds_read_b128 v[6:9], v20 offset:4096
	ds_read_b128 v[2:5], v21 offset:4096
	s_cmp_eq_u32 s10, 0
	s_cbranch_scc1 .LBB218_130
; %bb.128:                              ;   in Loop: Header=BB218_127 Depth=1
	s_mov_b32 s8, 0
	s_mov_b32 s9, s1
	v_mov_b32_e32 v22, v1
.LBB218_129:                            ;   Parent Loop BB218_127 Depth=1
                                        ; =>  This Inner Loop Header: Depth=2
	v_mov_b32_e32 v23, s9
	ds_read_b128 v[24:27], v22
	ds_read_b128 v[28:31], v22 offset:256
	ds_read_b128 v[32:35], v23
	ds_read_b128 v[36:39], v23 offset:16
	ds_read_b128 v[40:43], v23 offset:256
	;; [unrolled: 1-line block ×7, first 2 shown]
	s_add_i32 s8, s8, 2
	s_add_i32 s9, s9, 32
	s_waitcnt lgkmcnt(7)
	v_mul_f64 v[64:65], v[26:27], v[34:35]
	v_mul_f64 v[34:35], v[24:25], v[34:35]
	s_waitcnt lgkmcnt(5)
	v_mul_f64 v[66:67], v[26:27], v[42:43]
	v_mul_f64 v[42:43], v[24:25], v[42:43]
	;; [unrolled: 3-line block ×4, first 2 shown]
	v_mul_f64 v[72:73], v[30:31], v[38:39]
	v_mul_f64 v[38:39], v[28:29], v[38:39]
	;; [unrolled: 1-line block ×6, first 2 shown]
	s_waitcnt lgkmcnt(0)
	v_mul_f64 v[78:79], v[30:31], v[62:63]
	v_mul_f64 v[62:63], v[28:29], v[62:63]
	v_fma_f64 v[64:65], v[24:25], v[32:33], -v[64:65]
	v_fmac_f64_e32 v[34:35], v[26:27], v[32:33]
	v_fma_f64 v[32:33], v[24:25], v[40:41], -v[66:67]
	v_fmac_f64_e32 v[42:43], v[26:27], v[40:41]
	;; [unrolled: 2-line block ×8, first 2 shown]
	v_add_f64 v[14:15], v[14:15], -v[64:65]
	v_add_f64 v[16:17], v[16:17], -v[34:35]
	;; [unrolled: 1-line block ×8, first 2 shown]
	v_add_u32_e32 v22, 0x200, v22
	s_cmp_ge_u32 s8, s10
	v_add_f64 v[14:15], v[14:15], -v[26:27]
	v_add_f64 v[16:17], v[16:17], -v[38:39]
	v_add_f64 v[10:11], v[10:11], -v[36:37]
	v_add_f64 v[12:13], v[12:13], -v[46:47]
	v_add_f64 v[6:7], v[6:7], -v[44:45]
	v_add_f64 v[8:9], v[8:9], -v[54:55]
	v_add_f64 v[2:3], v[2:3], -v[28:29]
	v_add_f64 v[4:5], v[4:5], -v[62:63]
	s_cbranch_scc0 .LBB218_129
.LBB218_130:                            ;   in Loop: Header=BB218_127 Depth=1
	s_mul_i32 s17, s10, 0x110
	v_add_u32_e32 v29, 0x1000, v18
	v_mov_b32_e32 v18, s17
	ds_read_b128 v[22:25], v18
	v_add_u32_e32 v28, 0x1000, v19
	v_add_u32_e32 v27, 0x1000, v20
	;; [unrolled: 1-line block ×3, first 2 shown]
	s_waitcnt lgkmcnt(0)
	v_xor_b32_e32 v19, 0x80000000, v23
	v_cmp_gt_f64_e32 vcc, 0, v[22:23]
	v_xor_b32_e32 v20, 0x80000000, v25
	v_cndmask_b32_e32 v19, v23, v19, vcc
	v_cmp_gt_f64_e32 vcc, 0, v[24:25]
	v_mov_b32_e32 v18, v22
	v_cndmask_b32_e32 v21, v25, v20, vcc
	v_mov_b32_e32 v20, v24
	v_cmp_ngt_f64_e32 vcc, v[18:19], v[20:21]
	s_cbranch_vccz .LBB218_132
; %bb.131:                              ;   in Loop: Header=BB218_127 Depth=1
	v_div_scale_f64 v[18:19], s[8:9], v[24:25], v[24:25], v[22:23]
	v_rcp_f64_e32 v[20:21], v[18:19]
	v_div_scale_f64 v[30:31], vcc, v[22:23], v[24:25], v[22:23]
	v_fma_f64 v[32:33], -v[18:19], v[20:21], 1.0
	v_fmac_f64_e32 v[20:21], v[20:21], v[32:33]
	v_fma_f64 v[32:33], -v[18:19], v[20:21], 1.0
	v_fmac_f64_e32 v[20:21], v[20:21], v[32:33]
	v_mul_f64 v[32:33], v[30:31], v[20:21]
	v_fma_f64 v[18:19], -v[18:19], v[32:33], v[30:31]
	v_div_fmas_f64 v[18:19], v[18:19], v[20:21], v[32:33]
	v_div_fixup_f64 v[20:21], v[18:19], v[24:25], v[22:23]
	v_fma_f64 v[18:19], v[22:23], v[20:21], v[24:25]
	v_div_scale_f64 v[30:31], s[8:9], v[18:19], v[18:19], 1.0
	v_rcp_f64_e32 v[32:33], v[30:31]
	v_fma_f64 v[34:35], -v[30:31], v[32:33], 1.0
	v_fmac_f64_e32 v[32:33], v[32:33], v[34:35]
	v_fma_f64 v[34:35], -v[30:31], v[32:33], 1.0
	v_fmac_f64_e32 v[32:33], v[32:33], v[34:35]
	v_div_scale_f64 v[34:35], vcc, 1.0, v[18:19], 1.0
	v_mul_f64 v[36:37], v[34:35], v[32:33]
	v_fma_f64 v[30:31], -v[30:31], v[36:37], v[34:35]
	s_nop 1
	v_div_fmas_f64 v[30:31], v[30:31], v[32:33], v[36:37]
	v_div_fixup_f64 v[30:31], v[30:31], v[18:19], 1.0
	v_fma_f64 v[18:19], v[14:15], v[20:21], v[16:17]
	v_fma_f64 v[20:21], v[16:17], v[20:21], -v[14:15]
	v_mul_f64 v[18:19], v[18:19], v[30:31]
	v_mul_f64 v[20:21], v[20:21], v[30:31]
	s_cbranch_execz .LBB218_133
	s_branch .LBB218_134
.LBB218_132:                            ;   in Loop: Header=BB218_127 Depth=1
                                        ; implicit-def: $vgpr20_vgpr21
.LBB218_133:                            ;   in Loop: Header=BB218_127 Depth=1
	v_div_scale_f64 v[18:19], s[8:9], v[22:23], v[22:23], v[24:25]
	v_rcp_f64_e32 v[20:21], v[18:19]
	v_div_scale_f64 v[30:31], vcc, v[24:25], v[22:23], v[24:25]
	v_fma_f64 v[32:33], -v[18:19], v[20:21], 1.0
	v_fmac_f64_e32 v[20:21], v[20:21], v[32:33]
	v_fma_f64 v[32:33], -v[18:19], v[20:21], 1.0
	v_fmac_f64_e32 v[20:21], v[20:21], v[32:33]
	v_mul_f64 v[32:33], v[30:31], v[20:21]
	v_fma_f64 v[18:19], -v[18:19], v[32:33], v[30:31]
	v_div_fmas_f64 v[18:19], v[18:19], v[20:21], v[32:33]
	v_div_fixup_f64 v[20:21], v[18:19], v[22:23], v[24:25]
	v_fmac_f64_e32 v[22:23], v[24:25], v[20:21]
	v_div_scale_f64 v[18:19], s[8:9], v[22:23], v[22:23], 1.0
	v_rcp_f64_e32 v[24:25], v[18:19]
	v_fma_f64 v[30:31], -v[18:19], v[24:25], 1.0
	v_fmac_f64_e32 v[24:25], v[24:25], v[30:31]
	v_fma_f64 v[30:31], -v[18:19], v[24:25], 1.0
	v_fmac_f64_e32 v[24:25], v[24:25], v[30:31]
	v_div_scale_f64 v[30:31], vcc, 1.0, v[22:23], 1.0
	v_mul_f64 v[32:33], v[30:31], v[24:25]
	v_fma_f64 v[18:19], -v[18:19], v[32:33], v[30:31]
	s_nop 1
	v_div_fmas_f64 v[18:19], v[18:19], v[24:25], v[32:33]
	v_div_fixup_f64 v[22:23], v[18:19], v[22:23], 1.0
	v_fma_f64 v[18:19], v[16:17], v[20:21], v[14:15]
	v_fma_f64 v[14:15], -v[14:15], v[20:21], v[16:17]
	v_mul_f64 v[18:19], v[18:19], v[22:23]
	v_mul_f64 v[20:21], v[14:15], v[22:23]
.LBB218_134:                            ;   in Loop: Header=BB218_127 Depth=1
	s_add_i32 s18, s18, s10
	s_lshl_b32 s8, s18, 4
	v_mov_b32_e32 v14, s8
	ds_read_b128 v[22:25], v14
	v_mov_b32_e32 v14, s17
	ds_read_b128 v[14:17], v14 offset:272
	ds_write_b128 v29, v[18:21]
	s_waitcnt lgkmcnt(2)
	v_mul_f64 v[30:31], v[20:21], v[24:25]
	v_mul_f64 v[24:25], v[18:19], v[24:25]
	v_fma_f64 v[30:31], v[18:19], v[22:23], -v[30:31]
	v_fmac_f64_e32 v[24:25], v[20:21], v[22:23]
	v_add_f64 v[22:23], v[10:11], -v[30:31]
	s_waitcnt lgkmcnt(1)
	v_xor_b32_e32 v10, 0x80000000, v15
	v_cmp_gt_f64_e32 vcc, 0, v[14:15]
	v_add_f64 v[24:25], v[12:13], -v[24:25]
	v_cndmask_b32_e32 v11, v15, v10, vcc
	v_xor_b32_e32 v12, 0x80000000, v17
	v_cmp_gt_f64_e32 vcc, 0, v[16:17]
	v_mov_b32_e32 v10, v14
	v_cndmask_b32_e32 v13, v17, v12, vcc
	v_mov_b32_e32 v12, v16
	v_cmp_ngt_f64_e32 vcc, v[10:11], v[12:13]
	s_cbranch_vccz .LBB218_136
; %bb.135:                              ;   in Loop: Header=BB218_127 Depth=1
	v_div_scale_f64 v[10:11], s[8:9], v[16:17], v[16:17], v[14:15]
	v_rcp_f64_e32 v[12:13], v[10:11]
	v_div_scale_f64 v[30:31], vcc, v[14:15], v[16:17], v[14:15]
	v_fma_f64 v[32:33], -v[10:11], v[12:13], 1.0
	v_fmac_f64_e32 v[12:13], v[12:13], v[32:33]
	v_fma_f64 v[32:33], -v[10:11], v[12:13], 1.0
	v_fmac_f64_e32 v[12:13], v[12:13], v[32:33]
	v_mul_f64 v[32:33], v[30:31], v[12:13]
	v_fma_f64 v[10:11], -v[10:11], v[32:33], v[30:31]
	v_div_fmas_f64 v[10:11], v[10:11], v[12:13], v[32:33]
	v_div_fixup_f64 v[12:13], v[10:11], v[16:17], v[14:15]
	v_fma_f64 v[10:11], v[14:15], v[12:13], v[16:17]
	v_div_scale_f64 v[30:31], s[8:9], v[10:11], v[10:11], 1.0
	v_rcp_f64_e32 v[32:33], v[30:31]
	v_fma_f64 v[34:35], -v[30:31], v[32:33], 1.0
	v_fmac_f64_e32 v[32:33], v[32:33], v[34:35]
	v_fma_f64 v[34:35], -v[30:31], v[32:33], 1.0
	v_fmac_f64_e32 v[32:33], v[32:33], v[34:35]
	v_div_scale_f64 v[34:35], vcc, 1.0, v[10:11], 1.0
	v_mul_f64 v[36:37], v[34:35], v[32:33]
	v_fma_f64 v[30:31], -v[30:31], v[36:37], v[34:35]
	s_nop 1
	v_div_fmas_f64 v[30:31], v[30:31], v[32:33], v[36:37]
	v_div_fixup_f64 v[30:31], v[30:31], v[10:11], 1.0
	v_fma_f64 v[10:11], v[12:13], v[22:23], v[24:25]
	v_fma_f64 v[12:13], v[12:13], v[24:25], -v[22:23]
	v_mul_f64 v[10:11], v[10:11], v[30:31]
	v_mul_f64 v[12:13], v[12:13], v[30:31]
	s_cbranch_execz .LBB218_137
	s_branch .LBB218_138
.LBB218_136:                            ;   in Loop: Header=BB218_127 Depth=1
                                        ; implicit-def: $vgpr12_vgpr13
.LBB218_137:                            ;   in Loop: Header=BB218_127 Depth=1
	v_div_scale_f64 v[10:11], s[8:9], v[14:15], v[14:15], v[16:17]
	v_rcp_f64_e32 v[12:13], v[10:11]
	v_div_scale_f64 v[30:31], vcc, v[16:17], v[14:15], v[16:17]
	v_fma_f64 v[32:33], -v[10:11], v[12:13], 1.0
	v_fmac_f64_e32 v[12:13], v[12:13], v[32:33]
	v_fma_f64 v[32:33], -v[10:11], v[12:13], 1.0
	v_fmac_f64_e32 v[12:13], v[12:13], v[32:33]
	v_mul_f64 v[32:33], v[30:31], v[12:13]
	v_fma_f64 v[10:11], -v[10:11], v[32:33], v[30:31]
	v_div_fmas_f64 v[10:11], v[10:11], v[12:13], v[32:33]
	v_div_fixup_f64 v[12:13], v[10:11], v[14:15], v[16:17]
	v_fmac_f64_e32 v[14:15], v[16:17], v[12:13]
	v_div_scale_f64 v[10:11], s[8:9], v[14:15], v[14:15], 1.0
	v_rcp_f64_e32 v[16:17], v[10:11]
	v_fma_f64 v[30:31], -v[10:11], v[16:17], 1.0
	v_fmac_f64_e32 v[16:17], v[16:17], v[30:31]
	v_fma_f64 v[30:31], -v[10:11], v[16:17], 1.0
	v_fmac_f64_e32 v[16:17], v[16:17], v[30:31]
	v_div_scale_f64 v[30:31], vcc, 1.0, v[14:15], 1.0
	v_mul_f64 v[32:33], v[30:31], v[16:17]
	v_fma_f64 v[10:11], -v[10:11], v[32:33], v[30:31]
	s_nop 1
	v_div_fmas_f64 v[10:11], v[10:11], v[16:17], v[32:33]
	v_div_fixup_f64 v[14:15], v[10:11], v[14:15], 1.0
	v_fma_f64 v[10:11], v[12:13], v[24:25], v[22:23]
	v_fma_f64 v[12:13], -v[12:13], v[22:23], v[24:25]
	v_mul_f64 v[10:11], v[10:11], v[14:15]
	v_mul_f64 v[12:13], v[12:13], v[14:15]
.LBB218_138:                            ;   in Loop: Header=BB218_127 Depth=1
	s_add_i32 s16, s16, s10
	s_lshl_b32 s8, s16, 4
	v_mov_b32_e32 v22, s8
	ds_read_b128 v[14:17], v22
	ds_read_b128 v[22:25], v22 offset:16
	ds_write_b128 v28, v[10:13]
	s_waitcnt lgkmcnt(2)
	v_mul_f64 v[28:29], v[20:21], v[16:17]
	v_mul_f64 v[16:17], v[18:19], v[16:17]
	v_fma_f64 v[28:29], v[18:19], v[14:15], -v[28:29]
	v_fmac_f64_e32 v[16:17], v[20:21], v[14:15]
	v_add_f64 v[14:15], v[6:7], -v[28:29]
	s_waitcnt lgkmcnt(1)
	v_mul_f64 v[6:7], v[12:13], v[24:25]
	v_fma_f64 v[28:29], v[10:11], v[22:23], -v[6:7]
	v_mov_b32_e32 v6, s17
	v_add_f64 v[16:17], v[8:9], -v[16:17]
	ds_read_b128 v[6:9], v6 offset:544
	v_mul_f64 v[24:25], v[10:11], v[24:25]
	v_fmac_f64_e32 v[24:25], v[12:13], v[22:23]
	v_add_f64 v[22:23], v[14:15], -v[28:29]
	v_add_f64 v[24:25], v[16:17], -v[24:25]
	s_waitcnt lgkmcnt(0)
	v_xor_b32_e32 v14, 0x80000000, v7
	v_cmp_gt_f64_e32 vcc, 0, v[6:7]
	v_cndmask_b32_e32 v15, v7, v14, vcc
	v_xor_b32_e32 v16, 0x80000000, v9
	v_cmp_gt_f64_e32 vcc, 0, v[8:9]
	v_mov_b32_e32 v14, v6
	v_cndmask_b32_e32 v17, v9, v16, vcc
	v_mov_b32_e32 v16, v8
	v_cmp_ngt_f64_e32 vcc, v[14:15], v[16:17]
	s_cbranch_vccz .LBB218_140
; %bb.139:                              ;   in Loop: Header=BB218_127 Depth=1
	v_div_scale_f64 v[14:15], s[8:9], v[8:9], v[8:9], v[6:7]
	v_rcp_f64_e32 v[16:17], v[14:15]
	v_div_scale_f64 v[28:29], vcc, v[6:7], v[8:9], v[6:7]
	v_fma_f64 v[30:31], -v[14:15], v[16:17], 1.0
	v_fmac_f64_e32 v[16:17], v[16:17], v[30:31]
	v_fma_f64 v[30:31], -v[14:15], v[16:17], 1.0
	v_fmac_f64_e32 v[16:17], v[16:17], v[30:31]
	v_mul_f64 v[30:31], v[28:29], v[16:17]
	v_fma_f64 v[14:15], -v[14:15], v[30:31], v[28:29]
	v_div_fmas_f64 v[14:15], v[14:15], v[16:17], v[30:31]
	v_div_fixup_f64 v[16:17], v[14:15], v[8:9], v[6:7]
	v_fma_f64 v[14:15], v[6:7], v[16:17], v[8:9]
	v_div_scale_f64 v[28:29], s[8:9], v[14:15], v[14:15], 1.0
	v_rcp_f64_e32 v[30:31], v[28:29]
	v_fma_f64 v[32:33], -v[28:29], v[30:31], 1.0
	v_fmac_f64_e32 v[30:31], v[30:31], v[32:33]
	v_fma_f64 v[32:33], -v[28:29], v[30:31], 1.0
	v_fmac_f64_e32 v[30:31], v[30:31], v[32:33]
	v_div_scale_f64 v[32:33], vcc, 1.0, v[14:15], 1.0
	v_mul_f64 v[34:35], v[32:33], v[30:31]
	v_fma_f64 v[28:29], -v[28:29], v[34:35], v[32:33]
	s_nop 1
	v_div_fmas_f64 v[28:29], v[28:29], v[30:31], v[34:35]
	v_div_fixup_f64 v[28:29], v[28:29], v[14:15], 1.0
	v_fma_f64 v[14:15], v[16:17], v[22:23], v[24:25]
	v_fma_f64 v[16:17], v[16:17], v[24:25], -v[22:23]
	v_mul_f64 v[14:15], v[14:15], v[28:29]
	v_mul_f64 v[16:17], v[16:17], v[28:29]
	s_cbranch_execz .LBB218_141
	s_branch .LBB218_142
.LBB218_140:                            ;   in Loop: Header=BB218_127 Depth=1
                                        ; implicit-def: $vgpr16_vgpr17
.LBB218_141:                            ;   in Loop: Header=BB218_127 Depth=1
	v_div_scale_f64 v[14:15], s[8:9], v[6:7], v[6:7], v[8:9]
	v_rcp_f64_e32 v[16:17], v[14:15]
	v_div_scale_f64 v[28:29], vcc, v[8:9], v[6:7], v[8:9]
	v_fma_f64 v[30:31], -v[14:15], v[16:17], 1.0
	v_fmac_f64_e32 v[16:17], v[16:17], v[30:31]
	v_fma_f64 v[30:31], -v[14:15], v[16:17], 1.0
	v_fmac_f64_e32 v[16:17], v[16:17], v[30:31]
	v_mul_f64 v[30:31], v[28:29], v[16:17]
	v_fma_f64 v[14:15], -v[14:15], v[30:31], v[28:29]
	v_div_fmas_f64 v[14:15], v[14:15], v[16:17], v[30:31]
	v_div_fixup_f64 v[16:17], v[14:15], v[6:7], v[8:9]
	v_fmac_f64_e32 v[6:7], v[8:9], v[16:17]
	v_div_scale_f64 v[8:9], s[8:9], v[6:7], v[6:7], 1.0
	v_rcp_f64_e32 v[14:15], v[8:9]
	v_fma_f64 v[28:29], -v[8:9], v[14:15], 1.0
	v_fmac_f64_e32 v[14:15], v[14:15], v[28:29]
	v_fma_f64 v[28:29], -v[8:9], v[14:15], 1.0
	v_fmac_f64_e32 v[14:15], v[14:15], v[28:29]
	v_div_scale_f64 v[28:29], vcc, 1.0, v[6:7], 1.0
	v_mul_f64 v[30:31], v[28:29], v[14:15]
	v_fma_f64 v[8:9], -v[8:9], v[30:31], v[28:29]
	s_nop 1
	v_div_fmas_f64 v[8:9], v[8:9], v[14:15], v[30:31]
	v_div_fixup_f64 v[6:7], v[8:9], v[6:7], 1.0
	v_fma_f64 v[8:9], v[16:17], v[24:25], v[22:23]
	v_mul_f64 v[14:15], v[8:9], v[6:7]
	v_fma_f64 v[8:9], -v[16:17], v[22:23], v[24:25]
	v_mul_f64 v[16:17], v[8:9], v[6:7]
.LBB218_142:                            ;   in Loop: Header=BB218_127 Depth=1
	s_add_i32 s11, s11, s10
	s_lshl_b32 s8, s11, 4
	v_mov_b32_e32 v30, s8
	ds_read_b128 v[6:9], v30
	ds_read_b128 v[22:25], v30 offset:16
	ds_write_b128 v27, v[14:17]
	s_waitcnt lgkmcnt(2)
	v_mul_f64 v[28:29], v[20:21], v[8:9]
	v_mul_f64 v[8:9], v[18:19], v[8:9]
	v_fma_f64 v[18:19], v[18:19], v[6:7], -v[28:29]
	v_fmac_f64_e32 v[8:9], v[20:21], v[6:7]
	s_waitcnt lgkmcnt(1)
	v_mul_f64 v[6:7], v[12:13], v[24:25]
	v_add_f64 v[2:3], v[2:3], -v[18:19]
	v_fma_f64 v[18:19], v[10:11], v[22:23], -v[6:7]
	v_mul_f64 v[10:11], v[10:11], v[24:25]
	v_add_f64 v[4:5], v[4:5], -v[8:9]
	v_fmac_f64_e32 v[10:11], v[12:13], v[22:23]
	ds_read_b128 v[6:9], v30 offset:32
	v_add_f64 v[12:13], v[2:3], -v[18:19]
	v_mov_b32_e32 v2, s17
	v_add_f64 v[18:19], v[4:5], -v[10:11]
	ds_read_b128 v[2:5], v2 offset:816
	s_waitcnt lgkmcnt(1)
	v_mul_f64 v[10:11], v[16:17], v[8:9]
	v_mul_f64 v[8:9], v[14:15], v[8:9]
	v_fma_f64 v[10:11], v[14:15], v[6:7], -v[10:11]
	v_fmac_f64_e32 v[8:9], v[16:17], v[6:7]
	s_waitcnt lgkmcnt(0)
	v_xor_b32_e32 v6, 0x80000000, v3
	v_cmp_gt_f64_e32 vcc, 0, v[2:3]
	v_add_f64 v[10:11], v[12:13], -v[10:11]
	v_add_f64 v[12:13], v[18:19], -v[8:9]
	v_cndmask_b32_e32 v7, v3, v6, vcc
	v_xor_b32_e32 v8, 0x80000000, v5
	v_cmp_gt_f64_e32 vcc, 0, v[4:5]
	v_mov_b32_e32 v6, v2
	v_cndmask_b32_e32 v9, v5, v8, vcc
	v_mov_b32_e32 v8, v4
	v_cmp_ngt_f64_e32 vcc, v[6:7], v[8:9]
	s_cbranch_vccz .LBB218_144
; %bb.143:                              ;   in Loop: Header=BB218_127 Depth=1
	v_div_scale_f64 v[6:7], s[8:9], v[4:5], v[4:5], v[2:3]
	v_rcp_f64_e32 v[8:9], v[6:7]
	v_div_scale_f64 v[14:15], vcc, v[2:3], v[4:5], v[2:3]
	v_fma_f64 v[16:17], -v[6:7], v[8:9], 1.0
	v_fmac_f64_e32 v[8:9], v[8:9], v[16:17]
	v_fma_f64 v[16:17], -v[6:7], v[8:9], 1.0
	v_fmac_f64_e32 v[8:9], v[8:9], v[16:17]
	v_mul_f64 v[16:17], v[14:15], v[8:9]
	v_fma_f64 v[6:7], -v[6:7], v[16:17], v[14:15]
	v_div_fmas_f64 v[6:7], v[6:7], v[8:9], v[16:17]
	v_div_fixup_f64 v[8:9], v[6:7], v[4:5], v[2:3]
	v_fma_f64 v[6:7], v[2:3], v[8:9], v[4:5]
	v_div_scale_f64 v[14:15], s[8:9], v[6:7], v[6:7], 1.0
	v_rcp_f64_e32 v[16:17], v[14:15]
	v_fma_f64 v[18:19], -v[14:15], v[16:17], 1.0
	v_fmac_f64_e32 v[16:17], v[16:17], v[18:19]
	v_fma_f64 v[18:19], -v[14:15], v[16:17], 1.0
	v_fmac_f64_e32 v[16:17], v[16:17], v[18:19]
	v_div_scale_f64 v[18:19], vcc, 1.0, v[6:7], 1.0
	v_mul_f64 v[20:21], v[18:19], v[16:17]
	v_fma_f64 v[14:15], -v[14:15], v[20:21], v[18:19]
	s_nop 1
	v_div_fmas_f64 v[14:15], v[14:15], v[16:17], v[20:21]
	v_div_fixup_f64 v[14:15], v[14:15], v[6:7], 1.0
	v_fma_f64 v[6:7], v[8:9], v[10:11], v[12:13]
	v_fma_f64 v[8:9], v[8:9], v[12:13], -v[10:11]
	v_mul_f64 v[6:7], v[6:7], v[14:15]
	v_mul_f64 v[8:9], v[8:9], v[14:15]
	s_cbranch_execz .LBB218_145
	s_branch .LBB218_146
.LBB218_144:                            ;   in Loop: Header=BB218_127 Depth=1
                                        ; implicit-def: $vgpr8_vgpr9
.LBB218_145:                            ;   in Loop: Header=BB218_127 Depth=1
	v_div_scale_f64 v[6:7], s[8:9], v[2:3], v[2:3], v[4:5]
	v_rcp_f64_e32 v[8:9], v[6:7]
	v_div_scale_f64 v[14:15], vcc, v[4:5], v[2:3], v[4:5]
	v_fma_f64 v[16:17], -v[6:7], v[8:9], 1.0
	v_fmac_f64_e32 v[8:9], v[8:9], v[16:17]
	v_fma_f64 v[16:17], -v[6:7], v[8:9], 1.0
	v_fmac_f64_e32 v[8:9], v[8:9], v[16:17]
	v_mul_f64 v[16:17], v[14:15], v[8:9]
	v_fma_f64 v[6:7], -v[6:7], v[16:17], v[14:15]
	v_div_fmas_f64 v[6:7], v[6:7], v[8:9], v[16:17]
	v_div_fixup_f64 v[8:9], v[6:7], v[2:3], v[4:5]
	v_fmac_f64_e32 v[2:3], v[4:5], v[8:9]
	v_div_scale_f64 v[4:5], s[8:9], v[2:3], v[2:3], 1.0
	v_rcp_f64_e32 v[6:7], v[4:5]
	v_fma_f64 v[14:15], -v[4:5], v[6:7], 1.0
	v_fmac_f64_e32 v[6:7], v[6:7], v[14:15]
	v_fma_f64 v[14:15], -v[4:5], v[6:7], 1.0
	v_fmac_f64_e32 v[6:7], v[6:7], v[14:15]
	v_div_scale_f64 v[14:15], vcc, 1.0, v[2:3], 1.0
	v_mul_f64 v[16:17], v[14:15], v[6:7]
	v_fma_f64 v[4:5], -v[4:5], v[16:17], v[14:15]
	s_nop 1
	v_div_fmas_f64 v[4:5], v[4:5], v[6:7], v[16:17]
	v_div_fixup_f64 v[2:3], v[4:5], v[2:3], 1.0
	v_fma_f64 v[4:5], v[8:9], v[12:13], v[10:11]
	v_mul_f64 v[6:7], v[4:5], v[2:3]
	v_fma_f64 v[4:5], -v[8:9], v[10:11], v[12:13]
	v_mul_f64 v[8:9], v[4:5], v[2:3]
.LBB218_146:                            ;   in Loop: Header=BB218_127 Depth=1
	s_add_i32 s11, s10, 4
	s_add_i32 s8, s10, 7
	s_addk_i32 s1, 0x400
	s_cmp_ge_i32 s8, s34
	ds_write_b128 v26, v[6:9]
	s_cbranch_scc1 .LBB218_148
; %bb.147:                              ;   in Loop: Header=BB218_127 Depth=1
	s_mov_b32 s10, s11
	s_branch .LBB218_127
.LBB218_148:
	s_cmp_ge_i32 s11, s34
	s_cbranch_scc1 .LBB218_163
; %bb.149:
	v_mov_b32_e32 v1, 0x1000
	s_add_i32 s1, s11, -1
	v_lshl_or_b32 v1, v0, 4, v1
	s_lshl_b32 s10, s11, 8
	s_mov_b32 s16, 0
	v_lshlrev_b32_e32 v14, 4, v0
	s_mov_b32 s17, s11
	s_branch .LBB218_151
.LBB218_150:                            ;   in Loop: Header=BB218_151 Depth=1
	s_add_i32 s11, s11, 1
	s_add_i32 s16, s16, 1
	s_addk_i32 s10, 0x100
	v_add_u16_e64 v2, s17, 1
	s_cmp_ge_i32 s11, s34
	v_readfirstlane_b32 s17, v2
	ds_write_b128 v15, v[10:13]
	s_cbranch_scc1 .LBB218_163
.LBB218_151:                            ; =>This Loop Header: Depth=1
                                        ;     Child Loop BB218_154 Depth 2
                                        ;     Child Loop BB218_158 Depth 2
	v_lshl_or_b32 v6, s11, 8, v14
	ds_read_b128 v[2:5], v6 offset:4096
	s_cmp_eq_u32 s11, 0
	s_cbranch_scc1 .LBB218_159
; %bb.152:                              ;   in Loop: Header=BB218_151 Depth=1
	s_add_i32 s8, s1, s16
	s_cmp_lt_u32 s8, 7
	s_cbranch_scc1 .LBB218_156
; %bb.153:                              ;   in Loop: Header=BB218_151 Depth=1
	s_and_b32 s8, s11, -8
	s_mov_b32 s9, 0
	s_mov_b32 s18, s10
	v_mov_b32_e32 v7, v1
.LBB218_154:                            ;   Parent Loop BB218_151 Depth=1
                                        ; =>  This Inner Loop Header: Depth=2
	v_mov_b32_e32 v12, s18
	ds_read_b128 v[8:11], v7
	ds_read_b128 v[16:19], v7 offset:256
	ds_read_b128 v[20:23], v7 offset:512
	;; [unrolled: 1-line block ×7, first 2 shown]
	ds_read_b128 v[44:47], v12
	ds_read_b128 v[48:51], v12 offset:16
	ds_read_b128 v[52:55], v12 offset:32
	;; [unrolled: 1-line block ×7, first 2 shown]
	s_waitcnt lgkmcnt(7)
	v_mul_f64 v[12:13], v[46:47], v[10:11]
	v_mul_f64 v[10:11], v[44:45], v[10:11]
	s_waitcnt lgkmcnt(6)
	v_mul_f64 v[76:77], v[50:51], v[18:19]
	v_mul_f64 v[18:19], v[48:49], v[18:19]
	v_fma_f64 v[12:13], v[44:45], v[8:9], -v[12:13]
	v_fmac_f64_e32 v[10:11], v[46:47], v[8:9]
	s_waitcnt lgkmcnt(5)
	v_mul_f64 v[78:79], v[54:55], v[22:23]
	v_mul_f64 v[22:23], v[52:53], v[22:23]
	v_fma_f64 v[8:9], v[48:49], v[16:17], -v[76:77]
	v_fmac_f64_e32 v[18:19], v[50:51], v[16:17]
	v_add_f64 v[2:3], v[2:3], -v[12:13]
	v_add_f64 v[4:5], v[4:5], -v[10:11]
	s_waitcnt lgkmcnt(4)
	v_mul_f64 v[80:81], v[58:59], v[26:27]
	v_mul_f64 v[26:27], v[56:57], v[26:27]
	v_fma_f64 v[16:17], v[52:53], v[20:21], -v[78:79]
	v_fmac_f64_e32 v[22:23], v[54:55], v[20:21]
	v_add_f64 v[2:3], v[2:3], -v[8:9]
	v_add_f64 v[4:5], v[4:5], -v[18:19]
	;; [unrolled: 7-line block ×6, first 2 shown]
	s_add_i32 s9, s9, 8
	s_addk_i32 s18, 0x80
	v_fma_f64 v[36:37], v[72:73], v[40:41], -v[88:89]
	v_fmac_f64_e32 v[42:43], v[74:75], v[40:41]
	v_add_f64 v[2:3], v[2:3], -v[32:33]
	v_add_f64 v[4:5], v[4:5], -v[38:39]
	v_add_u32_e32 v7, 0x800, v7
	s_cmp_eq_u32 s8, s9
	v_add_f64 v[2:3], v[2:3], -v[36:37]
	v_add_f64 v[4:5], v[4:5], -v[42:43]
	s_cbranch_scc0 .LBB218_154
; %bb.155:                              ;   in Loop: Header=BB218_151 Depth=1
	s_and_b32 s9, s11, 7
	s_cmp_eq_u32 s9, 0
	s_cbranch_scc0 .LBB218_157
	s_branch .LBB218_159
.LBB218_156:                            ;   in Loop: Header=BB218_151 Depth=1
	s_mov_b32 s8, 0
	s_and_b32 s9, s11, 7
	s_cmp_eq_u32 s9, 0
	s_cbranch_scc1 .LBB218_159
.LBB218_157:                            ;   in Loop: Header=BB218_151 Depth=1
	s_and_b32 s9, s17, 7
	s_lshl_b32 s18, s8, 4
	v_lshl_add_u32 v7, s8, 8, v1
.LBB218_158:                            ;   Parent Loop BB218_151 Depth=1
                                        ; =>  This Inner Loop Header: Depth=2
	s_add_i32 s8, s10, s18
	v_mov_b32_e32 v12, s8
	ds_read_b128 v[8:11], v7
	ds_read_b128 v[16:19], v12
	s_add_i32 s18, s18, 16
	s_add_i32 s9, s9, -1
	v_add_u32_e32 v7, 0x100, v7
	s_cmp_lg_u32 s9, 0
	s_waitcnt lgkmcnt(0)
	v_mul_f64 v[12:13], v[18:19], v[10:11]
	v_mul_f64 v[10:11], v[16:17], v[10:11]
	v_fma_f64 v[12:13], v[16:17], v[8:9], -v[12:13]
	v_fmac_f64_e32 v[10:11], v[18:19], v[8:9]
	v_add_f64 v[2:3], v[2:3], -v[12:13]
	v_add_f64 v[4:5], v[4:5], -v[10:11]
	s_cbranch_scc1 .LBB218_158
.LBB218_159:                            ;   in Loop: Header=BB218_151 Depth=1
	s_mul_i32 s8, s11, 0x110
	v_add_u32_e32 v15, 0x1000, v6
	v_mov_b32_e32 v6, s8
	ds_read_b128 v[6:9], v6
	s_waitcnt lgkmcnt(0)
	v_xor_b32_e32 v11, 0x80000000, v7
	v_cmp_gt_f64_e32 vcc, 0, v[6:7]
	v_xor_b32_e32 v12, 0x80000000, v9
	v_cndmask_b32_e32 v11, v7, v11, vcc
	v_cmp_gt_f64_e32 vcc, 0, v[8:9]
	v_mov_b32_e32 v10, v6
	v_cndmask_b32_e32 v13, v9, v12, vcc
	v_mov_b32_e32 v12, v8
	v_cmp_ngt_f64_e32 vcc, v[10:11], v[12:13]
	s_cbranch_vccz .LBB218_161
; %bb.160:                              ;   in Loop: Header=BB218_151 Depth=1
	v_div_scale_f64 v[10:11], s[8:9], v[8:9], v[8:9], v[6:7]
	v_rcp_f64_e32 v[12:13], v[10:11]
	v_div_scale_f64 v[16:17], vcc, v[6:7], v[8:9], v[6:7]
	v_fma_f64 v[18:19], -v[10:11], v[12:13], 1.0
	v_fmac_f64_e32 v[12:13], v[12:13], v[18:19]
	v_fma_f64 v[18:19], -v[10:11], v[12:13], 1.0
	v_fmac_f64_e32 v[12:13], v[12:13], v[18:19]
	v_mul_f64 v[18:19], v[16:17], v[12:13]
	v_fma_f64 v[10:11], -v[10:11], v[18:19], v[16:17]
	v_div_fmas_f64 v[10:11], v[10:11], v[12:13], v[18:19]
	v_div_fixup_f64 v[12:13], v[10:11], v[8:9], v[6:7]
	v_fma_f64 v[10:11], v[6:7], v[12:13], v[8:9]
	v_div_scale_f64 v[16:17], s[8:9], v[10:11], v[10:11], 1.0
	v_rcp_f64_e32 v[18:19], v[16:17]
	v_fma_f64 v[20:21], -v[16:17], v[18:19], 1.0
	v_fmac_f64_e32 v[18:19], v[18:19], v[20:21]
	v_fma_f64 v[20:21], -v[16:17], v[18:19], 1.0
	v_fmac_f64_e32 v[18:19], v[18:19], v[20:21]
	v_div_scale_f64 v[20:21], vcc, 1.0, v[10:11], 1.0
	v_mul_f64 v[22:23], v[20:21], v[18:19]
	v_fma_f64 v[16:17], -v[16:17], v[22:23], v[20:21]
	s_nop 1
	v_div_fmas_f64 v[16:17], v[16:17], v[18:19], v[22:23]
	v_div_fixup_f64 v[16:17], v[16:17], v[10:11], 1.0
	v_fma_f64 v[10:11], v[2:3], v[12:13], v[4:5]
	v_fma_f64 v[12:13], v[4:5], v[12:13], -v[2:3]
	v_mul_f64 v[10:11], v[10:11], v[16:17]
	v_mul_f64 v[12:13], v[12:13], v[16:17]
	s_cbranch_execnz .LBB218_150
	s_branch .LBB218_162
.LBB218_161:                            ;   in Loop: Header=BB218_151 Depth=1
                                        ; implicit-def: $vgpr10_vgpr11
.LBB218_162:                            ;   in Loop: Header=BB218_151 Depth=1
	v_div_scale_f64 v[10:11], s[8:9], v[6:7], v[6:7], v[8:9]
	v_rcp_f64_e32 v[12:13], v[10:11]
	v_div_scale_f64 v[16:17], vcc, v[8:9], v[6:7], v[8:9]
	v_fma_f64 v[18:19], -v[10:11], v[12:13], 1.0
	v_fmac_f64_e32 v[12:13], v[12:13], v[18:19]
	v_fma_f64 v[18:19], -v[10:11], v[12:13], 1.0
	v_fmac_f64_e32 v[12:13], v[12:13], v[18:19]
	v_mul_f64 v[18:19], v[16:17], v[12:13]
	v_fma_f64 v[10:11], -v[10:11], v[18:19], v[16:17]
	v_div_fmas_f64 v[10:11], v[10:11], v[12:13], v[18:19]
	v_div_fixup_f64 v[12:13], v[10:11], v[6:7], v[8:9]
	v_fmac_f64_e32 v[6:7], v[8:9], v[12:13]
	v_div_scale_f64 v[8:9], s[8:9], v[6:7], v[6:7], 1.0
	v_rcp_f64_e32 v[10:11], v[8:9]
	v_fma_f64 v[16:17], -v[8:9], v[10:11], 1.0
	v_fmac_f64_e32 v[10:11], v[10:11], v[16:17]
	v_fma_f64 v[16:17], -v[8:9], v[10:11], 1.0
	v_fmac_f64_e32 v[10:11], v[10:11], v[16:17]
	v_div_scale_f64 v[16:17], vcc, 1.0, v[6:7], 1.0
	v_mul_f64 v[18:19], v[16:17], v[10:11]
	v_fma_f64 v[8:9], -v[8:9], v[18:19], v[16:17]
	s_nop 1
	v_div_fmas_f64 v[8:9], v[8:9], v[10:11], v[18:19]
	v_div_fixup_f64 v[6:7], v[8:9], v[6:7], 1.0
	v_fma_f64 v[8:9], v[4:5], v[12:13], v[2:3]
	v_fma_f64 v[2:3], -v[2:3], v[12:13], v[4:5]
	v_mul_f64 v[10:11], v[8:9], v[6:7]
	v_mul_f64 v[12:13], v[2:3], v[6:7]
	s_branch .LBB218_150
.LBB218_163:
	s_and_saveexec_b64 s[8:9], s[14:15]
	s_cbranch_execz .LBB218_170
; %bb.164:
	s_ashr_i32 s1, s0, 31
	s_mov_b32 s16, 0
	s_cmp_lt_u32 s33, 4
	v_lshlrev_b32_e32 v4, 4, v0
	s_cbranch_scc1 .LBB218_167
; %bb.165:
	v_mov_b32_e32 v1, s25
	v_add_co_u32_e32 v2, vcc, s24, v4
	v_addc_co_u32_e32 v3, vcc, 0, v1, vcc
	v_mov_b32_e32 v1, 0x1000
	s_mul_hi_i32 s19, s0, 48
	s_lshl_b64 s[8:9], s[0:1], 6
	s_lshl_b64 s[10:11], s[0:1], 5
	;; [unrolled: 1-line block ×3, first 2 shown]
	s_and_b32 s16, s33, 0x7ffffffc
	v_lshl_or_b32 v0, v0, 4, v1
	s_mul_i32 s17, s0, 48
	s_mov_b32 s18, 0
	v_mov_b32_e32 v1, s15
	v_mov_b32_e32 v5, s11
	;; [unrolled: 1-line block ×4, first 2 shown]
.LBB218_166:                            ; =>This Inner Loop Header: Depth=1
	v_add_co_u32_e32 v24, vcc, s14, v2
	v_addc_co_u32_e32 v25, vcc, v3, v1, vcc
	ds_read2_b64 v[8:11], v0 offset1:1
	ds_read2_b64 v[12:15], v0 offset0:32 offset1:33
	ds_read2_b64 v[16:19], v0 offset0:64 offset1:65
	;; [unrolled: 1-line block ×3, first 2 shown]
	v_add_co_u32_e32 v26, vcc, s10, v2
	v_addc_co_u32_e32 v27, vcc, v3, v5, vcc
	v_add_co_u32_e32 v28, vcc, s17, v2
	v_addc_co_u32_e32 v29, vcc, v3, v6, vcc
	s_add_i32 s18, s18, 4
	s_waitcnt lgkmcnt(3)
	global_store_dwordx4 v[2:3], v[8:11], off
	s_waitcnt lgkmcnt(2)
	global_store_dwordx4 v[24:25], v[12:15], off
	;; [unrolled: 2-line block ×4, first 2 shown]
	v_add_co_u32_e32 v2, vcc, s8, v2
	v_add_u32_e32 v0, 0x400, v0
	s_cmp_lg_u32 s16, s18
	v_addc_co_u32_e32 v3, vcc, v3, v7, vcc
	s_cbranch_scc1 .LBB218_166
.LBB218_167:
	s_and_b32 s8, s33, 3
	s_cmp_eq_u32 s8, 0
	s_cbranch_scc1 .LBB218_170
; %bb.168:
	s_mul_hi_i32 s11, s0, s16
	s_mul_i32 s10, s0, s16
	s_lshl_b64 s[10:11], s[10:11], 4
	s_add_u32 s9, s12, s10
	s_addc_u32 s10, s13, s11
	s_add_u32 s6, s9, s6
	s_addc_u32 s7, s10, s7
	;; [unrolled: 2-line block ×4, first 2 shown]
	v_mov_b32_e32 v1, s3
	v_add_co_u32_e32 v0, vcc, s2, v4
	s_lshl_b64 s[0:1], s[0:1], 4
	v_lshl_or_b32 v2, s16, 8, v4
	v_addc_co_u32_e32 v1, vcc, 0, v1, vcc
	v_add_u32_e32 v2, 0x1000, v2
	v_mov_b32_e32 v3, s1
.LBB218_169:                            ; =>This Inner Loop Header: Depth=1
	ds_read2_b64 v[4:7], v2 offset1:1
	s_add_i32 s8, s8, -1
	v_add_u32_e32 v2, 0x100, v2
	s_cmp_lg_u32 s8, 0
	s_waitcnt lgkmcnt(0)
	global_store_dwordx4 v[0:1], v[4:7], off
	v_add_co_u32_e32 v0, vcc, s0, v0
	v_addc_co_u32_e32 v1, vcc, v1, v3, vcc
	s_cbranch_scc1 .LBB218_169
.LBB218_170:
	s_endpgm
	.section	.rodata,"a",@progbits
	.p2align	6, 0x0
	.amdhsa_kernel _ZL31rocblas_trsm_small_right_deviceI19rocblas_complex_numIdES1_PKS1_PS1_Li16EEv13rocblas_fill_18rocblas_operation_17rocblas_diagonal_iiT0_T1_lilT2_lili
		.amdhsa_group_segment_fixed_size 8192
		.amdhsa_private_segment_fixed_size 0
		.amdhsa_kernarg_size 368
		.amdhsa_user_sgpr_count 6
		.amdhsa_user_sgpr_private_segment_buffer 1
		.amdhsa_user_sgpr_dispatch_ptr 0
		.amdhsa_user_sgpr_queue_ptr 0
		.amdhsa_user_sgpr_kernarg_segment_ptr 1
		.amdhsa_user_sgpr_dispatch_id 0
		.amdhsa_user_sgpr_flat_scratch_init 0
		.amdhsa_user_sgpr_kernarg_preload_length 0
		.amdhsa_user_sgpr_kernarg_preload_offset 0
		.amdhsa_user_sgpr_private_segment_size 0
		.amdhsa_uses_dynamic_stack 0
		.amdhsa_system_sgpr_private_segment_wavefront_offset 0
		.amdhsa_system_sgpr_workgroup_id_x 1
		.amdhsa_system_sgpr_workgroup_id_y 0
		.amdhsa_system_sgpr_workgroup_id_z 1
		.amdhsa_system_sgpr_workgroup_info 0
		.amdhsa_system_vgpr_workitem_id 0
		.amdhsa_next_free_vgpr 90
		.amdhsa_next_free_sgpr 39
		.amdhsa_accum_offset 92
		.amdhsa_reserve_vcc 1
		.amdhsa_reserve_flat_scratch 0
		.amdhsa_float_round_mode_32 0
		.amdhsa_float_round_mode_16_64 0
		.amdhsa_float_denorm_mode_32 3
		.amdhsa_float_denorm_mode_16_64 3
		.amdhsa_dx10_clamp 1
		.amdhsa_ieee_mode 1
		.amdhsa_fp16_overflow 0
		.amdhsa_tg_split 0
		.amdhsa_exception_fp_ieee_invalid_op 0
		.amdhsa_exception_fp_denorm_src 0
		.amdhsa_exception_fp_ieee_div_zero 0
		.amdhsa_exception_fp_ieee_overflow 0
		.amdhsa_exception_fp_ieee_underflow 0
		.amdhsa_exception_fp_ieee_inexact 0
		.amdhsa_exception_int_div_zero 0
	.end_amdhsa_kernel
	.section	.text._ZL31rocblas_trsm_small_right_deviceI19rocblas_complex_numIdES1_PKS1_PS1_Li16EEv13rocblas_fill_18rocblas_operation_17rocblas_diagonal_iiT0_T1_lilT2_lili,"axG",@progbits,_ZL31rocblas_trsm_small_right_deviceI19rocblas_complex_numIdES1_PKS1_PS1_Li16EEv13rocblas_fill_18rocblas_operation_17rocblas_diagonal_iiT0_T1_lilT2_lili,comdat
.Lfunc_end218:
	.size	_ZL31rocblas_trsm_small_right_deviceI19rocblas_complex_numIdES1_PKS1_PS1_Li16EEv13rocblas_fill_18rocblas_operation_17rocblas_diagonal_iiT0_T1_lilT2_lili, .Lfunc_end218-_ZL31rocblas_trsm_small_right_deviceI19rocblas_complex_numIdES1_PKS1_PS1_Li16EEv13rocblas_fill_18rocblas_operation_17rocblas_diagonal_iiT0_T1_lilT2_lili
                                        ; -- End function
	.section	.AMDGPU.csdata,"",@progbits
; Kernel info:
; codeLenInByte = 17624
; NumSgprs: 43
; NumVgprs: 90
; NumAgprs: 0
; TotalNumVgprs: 90
; ScratchSize: 0
; MemoryBound: 0
; FloatMode: 240
; IeeeMode: 1
; LDSByteSize: 8192 bytes/workgroup (compile time only)
; SGPRBlocks: 5
; VGPRBlocks: 11
; NumSGPRsForWavesPerEU: 43
; NumVGPRsForWavesPerEU: 90
; AccumOffset: 92
; Occupancy: 2
; WaveLimiterHint : 0
; COMPUTE_PGM_RSRC2:SCRATCH_EN: 0
; COMPUTE_PGM_RSRC2:USER_SGPR: 6
; COMPUTE_PGM_RSRC2:TRAP_HANDLER: 0
; COMPUTE_PGM_RSRC2:TGID_X_EN: 1
; COMPUTE_PGM_RSRC2:TGID_Y_EN: 0
; COMPUTE_PGM_RSRC2:TGID_Z_EN: 1
; COMPUTE_PGM_RSRC2:TIDIG_COMP_CNT: 0
; COMPUTE_PGM_RSRC3_GFX90A:ACCUM_OFFSET: 22
; COMPUTE_PGM_RSRC3_GFX90A:TG_SPLIT: 0
	.section	.text._ZL38rocblas_trsm_small_left_device_sharedBILi20ELi20ELb0E19rocblas_complex_numIdES1_PKS1_PS1_Ev13rocblas_fill_18rocblas_operation_17rocblas_diagonal_iiT3_T4_lilT5_lili,"axG",@progbits,_ZL38rocblas_trsm_small_left_device_sharedBILi20ELi20ELb0E19rocblas_complex_numIdES1_PKS1_PS1_Ev13rocblas_fill_18rocblas_operation_17rocblas_diagonal_iiT3_T4_lilT5_lili,comdat
	.globl	_ZL38rocblas_trsm_small_left_device_sharedBILi20ELi20ELb0E19rocblas_complex_numIdES1_PKS1_PS1_Ev13rocblas_fill_18rocblas_operation_17rocblas_diagonal_iiT3_T4_lilT5_lili ; -- Begin function _ZL38rocblas_trsm_small_left_device_sharedBILi20ELi20ELb0E19rocblas_complex_numIdES1_PKS1_PS1_Ev13rocblas_fill_18rocblas_operation_17rocblas_diagonal_iiT3_T4_lilT5_lili
	.p2align	8
	.type	_ZL38rocblas_trsm_small_left_device_sharedBILi20ELi20ELb0E19rocblas_complex_numIdES1_PKS1_PS1_Ev13rocblas_fill_18rocblas_operation_17rocblas_diagonal_iiT3_T4_lilT5_lili,@function
_ZL38rocblas_trsm_small_left_device_sharedBILi20ELi20ELb0E19rocblas_complex_numIdES1_PKS1_PS1_Ev13rocblas_fill_18rocblas_operation_17rocblas_diagonal_iiT3_T4_lilT5_lili: ; @_ZL38rocblas_trsm_small_left_device_sharedBILi20ELi20ELb0E19rocblas_complex_numIdES1_PKS1_PS1_Ev13rocblas_fill_18rocblas_operation_17rocblas_diagonal_iiT3_T4_lilT5_lili
; %bb.0:
	s_add_u32 s0, s0, s10
	s_load_dwordx4 s[24:27], s[4:5], 0x4
	s_load_dwordx8 s[12:19], s[4:5], 0x18
	s_load_dwordx4 s[20:23], s[4:5], 0x40
	s_load_dwordx2 s[10:11], s[4:5], 0x50
	s_load_dword s39, s[4:5], 0x70
	s_addc_u32 s1, s1, 0
	s_waitcnt lgkmcnt(0)
	s_min_i32 s33, s26, 20
	s_mov_b32 s40, 0
	s_add_i32 s38, s33, -1
	v_cmp_gt_i32_e32 vcc, s33, v0
	s_and_saveexec_b64 s[28:29], vcc
	s_cbranch_execz .LBB219_15
; %bb.1:
	s_load_dword s30, s[4:5], 0x38
	s_mul_i32 s41, s21, s9
	s_mul_hi_u32 s42, s20, s9
	s_mul_i32 s20, s20, s9
	s_waitcnt lgkmcnt(0)
	s_ashr_i32 s31, s30, 31
	s_cmpk_eq_i32 s24, 0x71
	s_cselect_b64 vcc, -1, 0
	s_cmp_lt_u32 s38, 3
	s_cbranch_scc1 .LBB219_4
; %bb.2:
	s_add_i32 s21, s42, s41
	s_and_b32 s40, s33, -4
	s_lshl_b64 s[6:7], s[20:21], 4
	s_lshl_b64 s[34:35], s[18:19], 4
	s_add_u32 s6, s6, s34
	s_addc_u32 s7, s7, s35
	s_add_u32 s6, s16, s6
	v_lshlrev_b32_e32 v2, 4, v0
	s_addc_u32 s7, s17, s7
	v_mov_b32_e32 v3, s7
	v_add_co_u32_e64 v2, s[6:7], s6, v2
	v_addc_co_u32_e64 v3, s[6:7], 0, v3, s[6:7]
	v_add_co_u32_e64 v2, s[6:7], 8, v2
	s_lshl_b64 s[34:35], s[30:31], 6
	s_lshl_b64 s[36:37], s[30:31], 4
	v_lshlrev_b32_e32 v1, 4, v0
	v_addc_co_u32_e64 v3, s[6:7], 0, v3, s[6:7]
	s_mov_b32 s21, 0
	v_mov_b32_e32 v4, s37
	v_mov_b32_e32 v5, s35
.LBB219_3:                              ; =>This Inner Loop Header: Depth=1
	v_add_co_u32_e64 v18, s[6:7], s36, v2
	v_addc_co_u32_e64 v19, s[6:7], v3, v4, s[6:7]
	v_add_co_u32_e64 v20, s[6:7], s36, v18
	global_load_dwordx4 v[6:9], v[2:3], off offset:-8
	v_addc_co_u32_e64 v21, s[6:7], v19, v4, s[6:7]
	global_load_dwordx4 v[10:13], v[18:19], off offset:-8
	global_load_dwordx4 v[14:17], v[20:21], off offset:-8
	v_add_co_u32_e64 v18, s[6:7], s36, v20
	v_addc_co_u32_e64 v19, s[6:7], v21, v4, s[6:7]
	global_load_dwordx4 v[18:21], v[18:19], off offset:-8
	s_add_i32 s21, s21, 4
	v_add_co_u32_e64 v2, s[6:7], s34, v2
	s_cmp_eq_u32 s40, s21
	v_addc_co_u32_e64 v3, s[6:7], v3, v5, s[6:7]
	s_waitcnt vmcnt(3)
	v_xor_b32_e32 v22, 0x80000000, v9
	v_cndmask_b32_e32 v9, v9, v22, vcc
	ds_write_b128 v1, v[6:9]
	s_waitcnt vmcnt(1)
	v_xor_b32_e32 v6, 0x80000000, v17
	v_xor_b32_e32 v22, 0x80000000, v13
	v_cndmask_b32_e32 v17, v17, v6, vcc
	v_cndmask_b32_e32 v13, v13, v22, vcc
	ds_write_b128 v1, v[10:13] offset:320
	s_waitcnt vmcnt(0)
	v_xor_b32_e32 v6, 0x80000000, v21
	v_cndmask_b32_e32 v21, v21, v6, vcc
	ds_write_b128 v1, v[14:17] offset:640
	ds_write_b128 v1, v[18:21] offset:960
	v_add_u32_e32 v1, 0x500, v1
	s_cbranch_scc0 .LBB219_3
.LBB219_4:
	s_and_b32 s34, s33, 3
	s_cmp_eq_u32 s34, 0
	s_cbranch_scc1 .LBB219_7
; %bb.5:
	s_mul_i32 s6, s40, 0x140
	s_add_i32 s21, s42, s41
	v_lshl_add_u32 v1, v0, 4, s6
	s_lshl_b64 s[6:7], s[20:21], 4
	s_mul_i32 s20, s31, s40
	s_mul_hi_u32 s21, s30, s40
	s_add_i32 s21, s21, s20
	s_mul_i32 s20, s30, s40
	s_lshl_b64 s[20:21], s[20:21], 4
	s_add_u32 s20, s6, s20
	s_addc_u32 s21, s7, s21
	s_lshl_b64 s[6:7], s[18:19], 4
	s_add_u32 s6, s20, s6
	s_addc_u32 s7, s21, s7
	s_add_u32 s6, s16, s6
	v_lshlrev_b32_e32 v2, 4, v0
	s_addc_u32 s7, s17, s7
	v_mov_b32_e32 v3, s7
	v_add_co_u32_e64 v2, s[6:7], s6, v2
	v_addc_co_u32_e64 v3, s[6:7], 0, v3, s[6:7]
	v_add_co_u32_e64 v2, s[6:7], 8, v2
	s_lshl_b64 s[16:17], s[30:31], 4
	v_addc_co_u32_e64 v3, s[6:7], 0, v3, s[6:7]
	v_mov_b32_e32 v4, s17
.LBB219_6:                              ; =>This Inner Loop Header: Depth=1
	global_load_dwordx4 v[6:9], v[2:3], off offset:-8
	v_add_co_u32_e64 v2, s[6:7], s16, v2
	s_add_i32 s34, s34, -1
	v_addc_co_u32_e64 v3, s[6:7], v3, v4, s[6:7]
	s_cmp_lg_u32 s34, 0
	s_waitcnt vmcnt(0)
	v_xor_b32_e32 v5, 0x80000000, v9
	v_cndmask_b32_e32 v9, v9, v5, vcc
	ds_write_b128 v1, v[6:9]
	v_add_u32_e32 v1, 0x140, v1
	s_cbranch_scc1 .LBB219_6
.LBB219_7:
	v_mul_u32_u24_e32 v1, 21, v0
	s_cmpk_lg_i32 s25, 0x84
	v_lshlrev_b32_e32 v1, 4, v1
	s_cbranch_scc0 .LBB219_13
; %bb.8:
	ds_read_b128 v[2:5], v1
	s_waitcnt lgkmcnt(0)
	v_xor_b32_e32 v7, 0x80000000, v3
	v_cmp_gt_f64_e32 vcc, 0, v[2:3]
	v_xor_b32_e32 v8, 0x80000000, v5
	v_cndmask_b32_e32 v7, v3, v7, vcc
	v_cmp_gt_f64_e32 vcc, 0, v[4:5]
	v_mov_b32_e32 v6, v2
	v_cndmask_b32_e32 v9, v5, v8, vcc
	v_mov_b32_e32 v8, v4
	v_cmp_ngt_f64_e32 vcc, v[6:7], v[8:9]
                                        ; implicit-def: $vgpr8_vgpr9
	s_and_saveexec_b64 s[6:7], vcc
	s_xor_b64 s[6:7], exec, s[6:7]
	s_cbranch_execz .LBB219_10
; %bb.9:
	v_div_scale_f64 v[6:7], s[16:17], v[4:5], v[4:5], v[2:3]
	v_rcp_f64_e32 v[8:9], v[6:7]
	v_div_scale_f64 v[10:11], vcc, v[2:3], v[4:5], v[2:3]
	v_fma_f64 v[12:13], -v[6:7], v[8:9], 1.0
	v_fmac_f64_e32 v[8:9], v[8:9], v[12:13]
	v_fma_f64 v[12:13], -v[6:7], v[8:9], 1.0
	v_fmac_f64_e32 v[8:9], v[8:9], v[12:13]
	v_mul_f64 v[12:13], v[10:11], v[8:9]
	v_fma_f64 v[6:7], -v[6:7], v[12:13], v[10:11]
	v_div_fmas_f64 v[6:7], v[6:7], v[8:9], v[12:13]
	v_div_fixup_f64 v[8:9], v[6:7], v[4:5], v[2:3]
	v_fmac_f64_e32 v[4:5], v[2:3], v[8:9]
	v_div_scale_f64 v[2:3], s[16:17], v[4:5], v[4:5], 1.0
	v_rcp_f64_e32 v[6:7], v[2:3]
	v_fma_f64 v[10:11], -v[2:3], v[6:7], 1.0
	v_fmac_f64_e32 v[6:7], v[6:7], v[10:11]
	v_fma_f64 v[10:11], -v[2:3], v[6:7], 1.0
	v_fmac_f64_e32 v[6:7], v[6:7], v[10:11]
	v_div_scale_f64 v[10:11], vcc, 1.0, v[4:5], 1.0
	v_mul_f64 v[12:13], v[10:11], v[6:7]
	v_fma_f64 v[2:3], -v[2:3], v[12:13], v[10:11]
	s_nop 1
	v_div_fmas_f64 v[2:3], v[2:3], v[6:7], v[12:13]
	v_div_fixup_f64 v[2:3], v[2:3], v[4:5], 1.0
	v_add_f64 v[4:5], v[8:9], 0
	v_mul_f64 v[6:7], v[4:5], v[2:3]
	v_fma_f64 v[4:5], v[8:9], 0, -1.0
	v_mul_f64 v[8:9], v[4:5], v[2:3]
                                        ; implicit-def: $vgpr2_vgpr3
.LBB219_10:
	s_andn2_saveexec_b64 s[6:7], s[6:7]
	s_cbranch_execz .LBB219_12
; %bb.11:
	v_div_scale_f64 v[6:7], s[16:17], v[2:3], v[2:3], v[4:5]
	v_rcp_f64_e32 v[8:9], v[6:7]
	v_div_scale_f64 v[10:11], vcc, v[4:5], v[2:3], v[4:5]
	v_fma_f64 v[12:13], -v[6:7], v[8:9], 1.0
	v_fmac_f64_e32 v[8:9], v[8:9], v[12:13]
	v_fma_f64 v[12:13], -v[6:7], v[8:9], 1.0
	v_fmac_f64_e32 v[8:9], v[8:9], v[12:13]
	v_mul_f64 v[12:13], v[10:11], v[8:9]
	v_fma_f64 v[6:7], -v[6:7], v[12:13], v[10:11]
	v_div_fmas_f64 v[6:7], v[6:7], v[8:9], v[12:13]
	v_div_fixup_f64 v[8:9], v[6:7], v[2:3], v[4:5]
	v_fmac_f64_e32 v[2:3], v[4:5], v[8:9]
	v_div_scale_f64 v[4:5], s[16:17], v[2:3], v[2:3], 1.0
	v_rcp_f64_e32 v[6:7], v[4:5]
	v_fma_f64 v[10:11], -v[4:5], v[6:7], 1.0
	v_fmac_f64_e32 v[6:7], v[6:7], v[10:11]
	v_fma_f64 v[10:11], -v[4:5], v[6:7], 1.0
	v_fmac_f64_e32 v[6:7], v[6:7], v[10:11]
	v_div_scale_f64 v[10:11], vcc, 1.0, v[2:3], 1.0
	v_mul_f64 v[12:13], v[10:11], v[6:7]
	v_fma_f64 v[4:5], -v[4:5], v[12:13], v[10:11]
	s_nop 1
	v_div_fmas_f64 v[4:5], v[4:5], v[6:7], v[12:13]
	v_div_fixup_f64 v[2:3], v[4:5], v[2:3], 1.0
	v_fma_f64 v[4:5], v[8:9], 0, 1.0
	v_mul_f64 v[6:7], v[4:5], v[2:3]
	v_add_f64 v[4:5], -v[8:9], 0
	v_mul_f64 v[8:9], v[4:5], v[2:3]
.LBB219_12:
	s_or_b64 exec, exec, s[6:7]
	s_branch .LBB219_14
.LBB219_13:
	v_mov_b32_e32 v6, 0
	v_mov_b32_e32 v7, 0x3ff00000
	v_pk_mov_b32 v[8:9], 0, 0
.LBB219_14:
	ds_write_b128 v1, v[6:9]
.LBB219_15:
	s_or_b64 exec, exec, s[28:29]
	s_load_dword s25, s[4:5], 0x58
	s_load_dwordx2 s[6:7], s[4:5], 0x60
	s_waitcnt lgkmcnt(0)
	s_ashr_i32 s28, s25, 31
	s_mul_i32 s5, s9, s7
	s_mul_hi_u32 s7, s9, s6
	s_mul_i32 s4, s9, s6
	s_add_i32 s5, s7, s5
	s_lshl_b64 s[4:5], s[4:5], 4
	s_add_u32 s9, s22, s4
	s_addc_u32 s16, s23, s5
	s_lshl_b64 s[6:7], s[10:11], 4
	s_add_u32 s17, s9, s6
	s_mul_i32 s9, s8, 0xffffffec
	s_addc_u32 s16, s16, s7
	s_add_i32 s39, s39, -1
	s_add_i32 s9, s9, s27
	s_cmp_ge_u32 s8, s39
	s_mul_i32 s8, s8, 20
	s_mul_hi_i32 s11, s25, s8
	s_mul_i32 s10, s25, s8
	s_cselect_b32 s18, s9, 20
	s_ashr_i32 s9, s8, 31
	s_lshl_b64 s[10:11], s[10:11], 4
	s_add_u32 s27, s17, s10
	s_addc_u32 s29, s16, s11
	s_cmp_gt_i32 s26, 0
	v_cmp_gt_i32_e32 vcc, s18, v0
	s_cselect_b64 s[10:11], -1, 0
	s_mov_b32 s18, 0
	s_and_b64 s[10:11], vcc, s[10:11]
	s_and_saveexec_b64 s[16:17], s[10:11]
	s_cbranch_execz .LBB219_22
; %bb.16:
	s_cmp_lt_i32 s26, 8
	s_cbranch_scc1 .LBB219_19
; %bb.17:
	v_mad_i64_i32 v[2:3], s[18:19], s25, v0, 0
	v_lshlrev_b64 v[2:3], 4, v[2:3]
	v_mov_b32_e32 v4, s29
	v_add_co_u32_e32 v1, vcc, s27, v2
	v_addc_co_u32_e32 v2, vcc, v4, v3, vcc
	v_mov_b32_e32 v3, 0x1900
	s_lshl_b32 s18, s33, 4
	v_lshl_add_u32 v3, v0, 4, v3
	s_and_b32 s19, s18, 0x180
	s_mov_b32 s18, 0
	s_mov_b64 s[20:21], 0
.LBB219_18:                             ; =>This Inner Loop Header: Depth=1
	v_mov_b32_e32 v4, s21
	v_add_co_u32_e32 v36, vcc, s20, v1
	v_addc_co_u32_e32 v37, vcc, v2, v4, vcc
	global_load_dwordx4 v[4:7], v[36:37], off
	global_load_dwordx4 v[8:11], v[36:37], off offset:16
	global_load_dwordx4 v[12:15], v[36:37], off offset:32
	;; [unrolled: 1-line block ×7, first 2 shown]
	s_add_i32 s18, s18, 8
	s_add_u32 s20, s20, 0x80
	s_addc_u32 s21, s21, 0
	s_cmp_lg_u32 s19, s20
	s_waitcnt vmcnt(7)
	v_mul_f64 v[38:39], s[14:15], v[6:7]
	v_mul_f64 v[36:37], s[12:13], v[6:7]
	s_waitcnt vmcnt(6)
	v_mul_f64 v[40:41], s[14:15], v[10:11]
	v_mul_f64 v[6:7], s[12:13], v[10:11]
	;; [unrolled: 3-line block ×8, first 2 shown]
	v_fma_f64 v[34:35], s[12:13], v[4:5], -v[38:39]
	v_fmac_f64_e32 v[36:37], s[14:15], v[4:5]
	v_fma_f64 v[4:5], s[12:13], v[8:9], -v[40:41]
	v_fmac_f64_e32 v[6:7], s[14:15], v[8:9]
	;; [unrolled: 2-line block ×8, first 2 shown]
	ds_write_b128 v3, v[34:37]
	ds_write_b128 v3, v[4:7] offset:320
	ds_write_b128 v3, v[8:11] offset:640
	ds_write_b128 v3, v[12:15] offset:960
	ds_write_b128 v3, v[16:19] offset:1280
	ds_write_b128 v3, v[20:23] offset:1600
	ds_write_b128 v3, v[24:27] offset:1920
	ds_write_b128 v3, v[28:31] offset:2240
	v_add_u32_e32 v3, 0xa00, v3
	s_cbranch_scc1 .LBB219_18
.LBB219_19:
	s_and_b32 s20, s33, 7
	s_cmp_eq_u32 s20, 0
	s_mov_b32 s19, 0
	s_cbranch_scc1 .LBB219_22
; %bb.20:
	s_mul_i32 s21, s18, 0x140
	s_lshl_b64 s[30:31], s[8:9], 4
	s_lshl_b64 s[18:19], s[18:19], 4
	s_add_u32 s18, s22, s18
	s_addc_u32 s19, s23, s19
	s_add_u32 s18, s18, s6
	s_addc_u32 s19, s19, s7
	v_lshlrev_b32_e32 v2, 4, v0
	s_add_u32 s18, s18, s4
	v_mov_b32_e32 v3, s31
	v_add_co_u32_e32 v4, vcc, s30, v2
	s_addc_u32 s19, s19, s5
	v_addc_co_u32_e32 v5, vcc, 0, v3, vcc
	v_pk_mov_b32 v[2:3], s[18:19], s[18:19] op_sel:[0,1]
	v_mad_u64_u32 v[2:3], s[18:19], v4, s25, v[2:3]
	v_mul_lo_u32 v4, v4, s28
	v_mul_lo_u32 v5, v5, s25
	v_lshl_add_u32 v1, v0, 4, s21
	v_add3_u32 v3, v5, v3, v4
	v_add_co_u32_e32 v2, vcc, 8, v2
	v_add_u32_e32 v1, 0x1900, v1
	v_addc_co_u32_e32 v3, vcc, 0, v3, vcc
.LBB219_21:                             ; =>This Inner Loop Header: Depth=1
	global_load_dwordx4 v[4:7], v[2:3], off offset:-8
	v_add_co_u32_e32 v2, vcc, 16, v2
	s_add_i32 s20, s20, -1
	v_addc_co_u32_e32 v3, vcc, 0, v3, vcc
	s_cmp_lg_u32 s20, 0
	s_waitcnt vmcnt(0)
	v_mul_f64 v[10:11], s[14:15], v[6:7]
	v_mul_f64 v[8:9], s[12:13], v[6:7]
	v_fma_f64 v[6:7], s[12:13], v[4:5], -v[10:11]
	v_fmac_f64_e32 v[8:9], s[14:15], v[4:5]
	ds_write_b128 v1, v[6:9]
	v_add_u32_e32 v1, 0x140, v1
	s_cbranch_scc1 .LBB219_21
.LBB219_22:
	s_or_b64 exec, exec, s[16:17]
	s_cmpk_eq_i32 s24, 0x6f
	s_mov_b64 s[12:13], -1
	s_waitcnt lgkmcnt(0)
	; wave barrier
	s_waitcnt lgkmcnt(0)
	s_cbranch_scc1 .LBB219_44
; %bb.23:
	v_mov_b32_e32 v1, 0x1900
	s_mov_b32 s13, 0
	v_lshl_add_u32 v1, v0, 4, v1
	v_mov_b32_e32 v6, 0
	s_mov_b32 s12, s13
	s_mov_b32 s16, s13
	s_branch .LBB219_25
.LBB219_24:                             ;   in Loop: Header=BB219_25 Depth=1
	s_cmp_ge_i32 s16, s33
	s_cselect_b64 s[14:15], -1, 0
	s_add_i32 s12, s12, 1
	s_cmp_eq_u32 s12, 3
	s_cselect_b64 s[18:19], -1, 0
	s_or_b64 s[14:15], s[14:15], s[18:19]
	s_andn2_b64 vcc, exec, s[14:15]
	s_cbranch_vccz .LBB219_43
.LBB219_25:                             ; =>This Loop Header: Depth=1
                                        ;     Child Loop BB219_28 Depth 2
                                        ;       Child Loop BB219_29 Depth 3
                                        ;       Child Loop BB219_32 Depth 3
                                        ;         Child Loop BB219_33 Depth 4
                                        ;       Child Loop BB219_37 Depth 3
                                        ;         Child Loop BB219_39 Depth 4
	s_lshl_b64 s[14:15], s[12:13], 2
	s_getpc_b64 s[18:19]
	s_add_u32 s18, s18, __const._ZL38rocblas_trsm_small_left_device_sharedBILi20ELi20ELb0E19rocblas_complex_numIdES1_PKS1_PS1_Ev13rocblas_fill_18rocblas_operation_17rocblas_diagonal_iiT3_T4_lilT5_lili.step_sizes@rel32@lo+4
	s_addc_u32 s19, s19, __const._ZL38rocblas_trsm_small_left_device_sharedBILi20ELi20ELb0E19rocblas_complex_numIdES1_PKS1_PS1_Ev13rocblas_fill_18rocblas_operation_17rocblas_diagonal_iiT3_T4_lilT5_lili.step_sizes@rel32@hi+12
	s_add_u32 s14, s14, s18
	s_addc_u32 s15, s15, s19
	s_load_dword s17, s[14:15], 0x0
	s_waitcnt lgkmcnt(0)
	s_add_i32 s18, s17, -1
	s_add_i32 s14, s18, s16
	s_cmp_ge_i32 s14, s33
	s_cbranch_scc1 .LBB219_24
; %bb.26:                               ;   in Loop: Header=BB219_25 Depth=1
	s_mul_i32 s20, s16, 0x140
	s_max_i32 s19, s17, 1
	v_add_u32_e32 v7, s20, v1
	s_mul_i32 s21, s17, 0x140
	s_mul_i32 s24, s16, 0x150
	;; [unrolled: 1-line block ×3, first 2 shown]
	s_branch .LBB219_28
.LBB219_27:                             ;   in Loop: Header=BB219_28 Depth=2
	s_add_i32 s16, s16, s17
	s_add_i32 s14, s18, s16
	;; [unrolled: 1-line block ×4, first 2 shown]
	s_cmp_ge_i32 s14, s33
	v_add_u32_e32 v7, s21, v7
	s_cbranch_scc1 .LBB219_24
.LBB219_28:                             ;   Parent Loop BB219_25 Depth=1
                                        ; =>  This Loop Header: Depth=2
                                        ;       Child Loop BB219_29 Depth 3
                                        ;       Child Loop BB219_32 Depth 3
                                        ;         Child Loop BB219_33 Depth 4
                                        ;       Child Loop BB219_37 Depth 3
                                        ;         Child Loop BB219_39 Depth 4
	v_mov_b32_e32 v2, 0
	v_mov_b32_e32 v3, v7
	s_mov_b32 s14, s19
.LBB219_29:                             ;   Parent Loop BB219_25 Depth=1
                                        ;     Parent Loop BB219_28 Depth=2
                                        ; =>    This Inner Loop Header: Depth=3
	ds_read_b128 v[8:11], v3
	s_add_i32 s14, s14, -1
	v_add_u32_e32 v3, 0x140, v3
	s_cmp_eq_u32 s14, 0
	s_waitcnt lgkmcnt(0)
	buffer_store_dword v11, v2, s[0:3], 0 offen offset:12
	buffer_store_dword v10, v2, s[0:3], 0 offen offset:8
	buffer_store_dword v9, v2, s[0:3], 0 offen offset:4
	buffer_store_dword v8, v2, s[0:3], 0 offen
	v_add_u32_e32 v2, 16, v2
	s_cbranch_scc0 .LBB219_29
; %bb.30:                               ;   in Loop: Header=BB219_28 Depth=2
	s_cmp_lt_i32 s16, 1
	s_cbranch_scc1 .LBB219_35
; %bb.31:                               ;   in Loop: Header=BB219_28 Depth=2
	s_mov_b32 s14, 0
	s_mov_b32 s15, s20
.LBB219_32:                             ;   Parent Loop BB219_25 Depth=1
                                        ;     Parent Loop BB219_28 Depth=2
                                        ; =>    This Loop Header: Depth=3
                                        ;         Child Loop BB219_33 Depth 4
	s_mul_i32 s31, s14, 20
	v_add_lshl_u32 v2, s31, v0, 4
	ds_read_b128 v[2:5], v2 offset:6400
	v_mov_b32_e32 v8, 0
	s_mov_b32 s31, s15
	s_mov_b32 s34, s19
.LBB219_33:                             ;   Parent Loop BB219_25 Depth=1
                                        ;     Parent Loop BB219_28 Depth=2
                                        ;       Parent Loop BB219_32 Depth=3
                                        ; =>      This Inner Loop Header: Depth=4
	buffer_load_dword v14, v8, s[0:3], 0 offen
	buffer_load_dword v15, v8, s[0:3], 0 offen offset:4
	buffer_load_dword v16, v8, s[0:3], 0 offen offset:8
	;; [unrolled: 1-line block ×3, first 2 shown]
	v_mov_b32_e32 v9, s31
	ds_read_b128 v[10:13], v9
	s_add_i32 s34, s34, -1
	s_addk_i32 s31, 0x140
	s_cmp_eq_u32 s34, 0
	s_waitcnt lgkmcnt(0)
	v_mul_f64 v[18:19], v[4:5], v[12:13]
	v_mul_f64 v[12:13], v[2:3], v[12:13]
	v_fma_f64 v[18:19], v[2:3], v[10:11], -v[18:19]
	v_fmac_f64_e32 v[12:13], v[4:5], v[10:11]
	s_waitcnt vmcnt(2)
	v_add_f64 v[10:11], v[14:15], -v[18:19]
	s_waitcnt vmcnt(0)
	v_add_f64 v[12:13], v[16:17], -v[12:13]
	buffer_store_dword v10, v8, s[0:3], 0 offen
	buffer_store_dword v11, v8, s[0:3], 0 offen offset:4
	buffer_store_dword v12, v8, s[0:3], 0 offen offset:8
	;; [unrolled: 1-line block ×3, first 2 shown]
	v_add_u32_e32 v8, 16, v8
	s_cbranch_scc0 .LBB219_33
; %bb.34:                               ;   in Loop: Header=BB219_32 Depth=3
	s_add_i32 s14, s14, 1
	s_add_i32 s15, s15, 16
	s_cmp_ge_i32 s14, s16
	s_cbranch_scc0 .LBB219_32
.LBB219_35:                             ;   in Loop: Header=BB219_28 Depth=2
	s_mul_i32 s31, s16, 20
	s_mov_b32 s34, 0
	s_mov_b32 s35, s24
	s_branch .LBB219_37
.LBB219_36:                             ;   in Loop: Header=BB219_37 Depth=3
	s_mul_i32 s14, s37, 0x150
	v_mov_b32_e32 v8, s14
	ds_read_b128 v[8:11], v8
	s_lshl_b32 s14, s34, 4
	s_add_i32 s34, s34, 1
	s_addk_i32 s35, 0x140
	v_add_u32_e32 v16, s14, v6
	s_waitcnt vmcnt(0) lgkmcnt(0)
	v_mul_f64 v[12:13], v[10:11], v[4:5]
	v_mul_f64 v[14:15], v[8:9], v[4:5]
	v_fma_f64 v[12:13], v[8:9], v[2:3], -v[12:13]
	v_fmac_f64_e32 v[14:15], v[10:11], v[2:3]
	v_add_lshl_u32 v2, s36, v0, 4
	s_cmp_eq_u32 s34, s19
	buffer_store_dword v13, v16, s[0:3], 0 offen offset:4
	buffer_store_dword v12, v16, s[0:3], 0 offen
	buffer_store_dword v15, v16, s[0:3], 0 offen offset:12
	buffer_store_dword v14, v16, s[0:3], 0 offen offset:8
	ds_write_b128 v2, v[12:15] offset:6400
	s_cbranch_scc1 .LBB219_27
.LBB219_37:                             ;   Parent Loop BB219_25 Depth=1
                                        ;     Parent Loop BB219_28 Depth=2
                                        ; =>    This Loop Header: Depth=3
                                        ;         Child Loop BB219_39 Depth 4
	s_cmp_lg_u32 s34, 0
	s_cbranch_scc0 .LBB219_41
; %bb.38:                               ;   in Loop: Header=BB219_37 Depth=3
	s_lshl_b32 s14, s34, 4
	v_add_u32_e32 v8, s14, v6
	buffer_load_dword v2, v8, s[0:3], 0 offen
	buffer_load_dword v3, v8, s[0:3], 0 offen offset:4
	buffer_load_dword v4, v8, s[0:3], 0 offen offset:8
	;; [unrolled: 1-line block ×3, first 2 shown]
	s_add_i32 s37, s34, s16
	s_mul_i32 s36, s37, 20
	v_mov_b32_e32 v9, 0
	s_mov_b32 s14, 0
	s_mov_b32 s15, s35
.LBB219_39:                             ;   Parent Loop BB219_25 Depth=1
                                        ;     Parent Loop BB219_28 Depth=2
                                        ;       Parent Loop BB219_37 Depth=3
                                        ; =>      This Inner Loop Header: Depth=4
	buffer_load_dword v14, v9, s[0:3], 0 offen offset:8
	buffer_load_dword v15, v9, s[0:3], 0 offen offset:12
	buffer_load_dword v16, v9, s[0:3], 0 offen
	buffer_load_dword v17, v9, s[0:3], 0 offen offset:4
	v_mov_b32_e32 v10, s15
	ds_read_b128 v[10:13], v10
	s_add_i32 s14, s14, 1
	s_add_i32 s15, s15, 16
	v_add_u32_e32 v9, 16, v9
	s_cmp_ge_u32 s14, s34
	s_waitcnt vmcnt(2) lgkmcnt(0)
	v_mul_f64 v[18:19], v[12:13], v[14:15]
	v_mul_f64 v[14:15], v[10:11], v[14:15]
	s_waitcnt vmcnt(0)
	v_fma_f64 v[10:11], v[10:11], v[16:17], -v[18:19]
	v_fmac_f64_e32 v[14:15], v[12:13], v[16:17]
	v_add_f64 v[2:3], v[2:3], -v[10:11]
	v_add_f64 v[4:5], v[4:5], -v[14:15]
	buffer_store_dword v2, v8, s[0:3], 0 offen
	buffer_store_dword v3, v8, s[0:3], 0 offen offset:4
	buffer_store_dword v4, v8, s[0:3], 0 offen offset:8
	;; [unrolled: 1-line block ×3, first 2 shown]
	s_cbranch_scc0 .LBB219_39
; %bb.40:                               ;   in Loop: Header=BB219_37 Depth=3
	s_branch .LBB219_36
.LBB219_41:                             ;   in Loop: Header=BB219_37 Depth=3
                                        ; implicit-def: $vgpr2_vgpr3
                                        ; implicit-def: $vgpr4_vgpr5
                                        ; implicit-def: $sgpr37
                                        ; implicit-def: $sgpr36
	s_cbranch_execz .LBB219_36
; %bb.42:                               ;   in Loop: Header=BB219_37 Depth=3
	buffer_load_dword v2, off, s[0:3], 0
	buffer_load_dword v3, off, s[0:3], 0 offset:4
	buffer_load_dword v4, off, s[0:3], 0 offset:8
	;; [unrolled: 1-line block ×3, first 2 shown]
	s_mov_b32 s36, s31
	s_mov_b32 s37, s16
	s_branch .LBB219_36
.LBB219_43:
	s_mov_b64 s[12:13], 0
.LBB219_44:
	s_and_b64 vcc, exec, s[12:13]
	s_cbranch_vccz .LBB219_64
; %bb.45:
	v_mov_b32_e32 v1, 0x1900
	s_mul_i32 s16, s33, 0x140
	s_mov_b32 s13, 0
	v_lshl_add_u32 v1, v0, 4, v1
	s_addk_i32 s16, 0xfec0
	v_mov_b32_e32 v6, 0
	s_mov_b32 s12, s13
	s_mov_b32 s17, s38
	s_branch .LBB219_47
.LBB219_46:                             ;   in Loop: Header=BB219_47 Depth=1
	s_cmp_lt_i32 s17, 0
	s_cselect_b64 s[14:15], -1, 0
	s_add_i32 s12, s12, 1
	s_cmp_eq_u32 s12, 3
	s_cselect_b64 s[18:19], -1, 0
	s_or_b64 s[14:15], s[14:15], s[18:19]
	s_and_b64 vcc, exec, s[14:15]
	s_cbranch_vccnz .LBB219_64
.LBB219_47:                             ; =>This Loop Header: Depth=1
                                        ;     Child Loop BB219_50 Depth 2
                                        ;       Child Loop BB219_51 Depth 3
                                        ;       Child Loop BB219_53 Depth 3
                                        ;         Child Loop BB219_54 Depth 4
                                        ;       Child Loop BB219_58 Depth 3
                                        ;         Child Loop BB219_60 Depth 4
	s_lshl_b64 s[14:15], s[12:13], 2
	s_getpc_b64 s[18:19]
	s_add_u32 s18, s18, __const._ZL38rocblas_trsm_small_left_device_sharedBILi20ELi20ELb0E19rocblas_complex_numIdES1_PKS1_PS1_Ev13rocblas_fill_18rocblas_operation_17rocblas_diagonal_iiT3_T4_lilT5_lili.step_sizes@rel32@lo+4
	s_addc_u32 s19, s19, __const._ZL38rocblas_trsm_small_left_device_sharedBILi20ELi20ELb0E19rocblas_complex_numIdES1_PKS1_PS1_Ev13rocblas_fill_18rocblas_operation_17rocblas_diagonal_iiT3_T4_lilT5_lili.step_sizes@rel32@hi+12
	s_add_u32 s14, s14, s18
	s_addc_u32 s15, s15, s19
	s_load_dword s18, s[14:15], 0x0
	s_waitcnt lgkmcnt(0)
	s_add_i32 s19, s18, -1
	s_cmp_lt_i32 s17, s19
	s_cbranch_scc1 .LBB219_46
; %bb.48:                               ;   in Loop: Header=BB219_47 Depth=1
	s_mul_i32 s14, s17, 0x140
	v_add_u32_e32 v7, s14, v1
	s_lshl_b32 s14, s17, 4
	s_add_i32 s24, s16, s14
	s_lshl_b32 s14, s18, 4
	s_max_i32 s20, s18, 1
	s_mul_i32 s21, s18, 0xfffffec0
	s_sub_i32 s30, 0, s14
	s_mul_i32 s31, s17, 0x150
	s_mul_i32 s34, s18, 0xfffffeb0
	s_branch .LBB219_50
.LBB219_49:                             ;   in Loop: Header=BB219_50 Depth=2
	s_sub_i32 s17, s17, s18
	s_add_i32 s24, s24, s30
	s_add_i32 s31, s31, s34
	s_cmp_lt_i32 s17, s19
	v_add_u32_e32 v7, s21, v7
	s_cbranch_scc1 .LBB219_46
.LBB219_50:                             ;   Parent Loop BB219_47 Depth=1
                                        ; =>  This Loop Header: Depth=2
                                        ;       Child Loop BB219_51 Depth 3
                                        ;       Child Loop BB219_53 Depth 3
                                        ;         Child Loop BB219_54 Depth 4
                                        ;       Child Loop BB219_58 Depth 3
                                        ;         Child Loop BB219_60 Depth 4
	v_mov_b32_e32 v2, 0
	v_mov_b32_e32 v3, v7
	s_mov_b32 s14, s20
.LBB219_51:                             ;   Parent Loop BB219_47 Depth=1
                                        ;     Parent Loop BB219_50 Depth=2
                                        ; =>    This Inner Loop Header: Depth=3
	ds_read_b128 v[8:11], v3
	s_add_i32 s14, s14, -1
	v_add_u32_e32 v3, 0xfffffec0, v3
	s_cmp_eq_u32 s14, 0
	s_waitcnt lgkmcnt(0)
	buffer_store_dword v11, v2, s[0:3], 0 offen offset:12
	buffer_store_dword v10, v2, s[0:3], 0 offen offset:8
	;; [unrolled: 1-line block ×3, first 2 shown]
	buffer_store_dword v8, v2, s[0:3], 0 offen
	v_add_u32_e32 v2, 16, v2
	s_cbranch_scc0 .LBB219_51
; %bb.52:                               ;   in Loop: Header=BB219_50 Depth=2
	s_cmp_le_i32 s38, s17
	s_mov_b32 s14, s24
	s_mov_b32 s15, s38
	s_cbranch_scc1 .LBB219_56
.LBB219_53:                             ;   Parent Loop BB219_47 Depth=1
                                        ;     Parent Loop BB219_50 Depth=2
                                        ; =>    This Loop Header: Depth=3
                                        ;         Child Loop BB219_54 Depth 4
	s_mul_i32 s35, s15, 20
	v_add_lshl_u32 v2, s35, v0, 4
	ds_read_b128 v[2:5], v2 offset:6400
	v_mov_b32_e32 v8, 0
	s_mov_b32 s35, s20
	s_mov_b32 s36, s14
.LBB219_54:                             ;   Parent Loop BB219_47 Depth=1
                                        ;     Parent Loop BB219_50 Depth=2
                                        ;       Parent Loop BB219_53 Depth=3
                                        ; =>      This Inner Loop Header: Depth=4
	buffer_load_dword v14, v8, s[0:3], 0 offen
	buffer_load_dword v15, v8, s[0:3], 0 offen offset:4
	buffer_load_dword v16, v8, s[0:3], 0 offen offset:8
	;; [unrolled: 1-line block ×3, first 2 shown]
	v_mov_b32_e32 v9, s36
	ds_read_b128 v[10:13], v9
	s_add_i32 s36, s36, -16
	s_add_i32 s35, s35, -1
	s_cmp_eq_u32 s35, 0
	s_waitcnt lgkmcnt(0)
	v_mul_f64 v[18:19], v[4:5], v[12:13]
	v_mul_f64 v[12:13], v[2:3], v[12:13]
	v_fma_f64 v[18:19], v[2:3], v[10:11], -v[18:19]
	v_fmac_f64_e32 v[12:13], v[4:5], v[10:11]
	s_waitcnt vmcnt(2)
	v_add_f64 v[10:11], v[14:15], -v[18:19]
	s_waitcnt vmcnt(0)
	v_add_f64 v[12:13], v[16:17], -v[12:13]
	buffer_store_dword v10, v8, s[0:3], 0 offen
	buffer_store_dword v11, v8, s[0:3], 0 offen offset:4
	buffer_store_dword v12, v8, s[0:3], 0 offen offset:8
	;; [unrolled: 1-line block ×3, first 2 shown]
	v_add_u32_e32 v8, 16, v8
	s_cbranch_scc0 .LBB219_54
; %bb.55:                               ;   in Loop: Header=BB219_53 Depth=3
	s_add_i32 s15, s15, -1
	s_addk_i32 s14, 0xfec0
	s_cmp_le_i32 s15, s17
	s_cbranch_scc0 .LBB219_53
.LBB219_56:                             ;   in Loop: Header=BB219_50 Depth=2
	s_mov_b32 s35, 0
	s_mov_b32 s36, s31
	s_branch .LBB219_58
.LBB219_57:                             ;   in Loop: Header=BB219_58 Depth=3
	s_mul_i32 s14, s37, 0x150
	v_mov_b32_e32 v8, s14
	ds_read_b128 v[8:11], v8
	s_mul_i32 s14, s37, 20
	s_lshl_b32 s15, s35, 4
	s_add_i32 s35, s35, 1
	s_add_i32 s36, s36, -16
	s_waitcnt vmcnt(0) lgkmcnt(0)
	v_mul_f64 v[12:13], v[10:11], v[4:5]
	v_mul_f64 v[14:15], v[8:9], v[4:5]
	v_add_u32_e32 v16, s15, v6
	v_fma_f64 v[12:13], v[8:9], v[2:3], -v[12:13]
	v_fmac_f64_e32 v[14:15], v[10:11], v[2:3]
	v_add_lshl_u32 v2, s14, v0, 4
	s_cmp_eq_u32 s35, s20
	buffer_store_dword v13, v16, s[0:3], 0 offen offset:4
	buffer_store_dword v12, v16, s[0:3], 0 offen
	buffer_store_dword v15, v16, s[0:3], 0 offen offset:12
	buffer_store_dword v14, v16, s[0:3], 0 offen offset:8
	ds_write_b128 v2, v[12:15] offset:6400
	s_cbranch_scc1 .LBB219_49
.LBB219_58:                             ;   Parent Loop BB219_47 Depth=1
                                        ;     Parent Loop BB219_50 Depth=2
                                        ; =>    This Loop Header: Depth=3
                                        ;         Child Loop BB219_60 Depth 4
	s_cmp_lg_u32 s35, 0
	s_cbranch_scc0 .LBB219_62
; %bb.59:                               ;   in Loop: Header=BB219_58 Depth=3
	s_lshl_b32 s14, s35, 4
	v_add_u32_e32 v8, s14, v6
	buffer_load_dword v2, v8, s[0:3], 0 offen
	buffer_load_dword v3, v8, s[0:3], 0 offen offset:4
	buffer_load_dword v4, v8, s[0:3], 0 offen offset:8
	;; [unrolled: 1-line block ×3, first 2 shown]
	s_sub_i32 s37, s17, s35
	v_mov_b32_e32 v9, 0
	s_mov_b32 s14, 0
	s_mov_b32 s15, s36
.LBB219_60:                             ;   Parent Loop BB219_47 Depth=1
                                        ;     Parent Loop BB219_50 Depth=2
                                        ;       Parent Loop BB219_58 Depth=3
                                        ; =>      This Inner Loop Header: Depth=4
	buffer_load_dword v14, v9, s[0:3], 0 offen offset:8
	buffer_load_dword v15, v9, s[0:3], 0 offen offset:12
	buffer_load_dword v16, v9, s[0:3], 0 offen
	buffer_load_dword v17, v9, s[0:3], 0 offen offset:4
	v_mov_b32_e32 v10, s15
	ds_read_b128 v[10:13], v10
	s_add_i32 s14, s14, 1
	s_addk_i32 s15, 0xfec0
	v_add_u32_e32 v9, 16, v9
	s_cmp_ge_u32 s14, s35
	s_waitcnt vmcnt(2) lgkmcnt(0)
	v_mul_f64 v[18:19], v[12:13], v[14:15]
	v_mul_f64 v[14:15], v[10:11], v[14:15]
	s_waitcnt vmcnt(0)
	v_fma_f64 v[10:11], v[10:11], v[16:17], -v[18:19]
	v_fmac_f64_e32 v[14:15], v[12:13], v[16:17]
	v_add_f64 v[2:3], v[2:3], -v[10:11]
	v_add_f64 v[4:5], v[4:5], -v[14:15]
	buffer_store_dword v2, v8, s[0:3], 0 offen
	buffer_store_dword v3, v8, s[0:3], 0 offen offset:4
	buffer_store_dword v4, v8, s[0:3], 0 offen offset:8
	;; [unrolled: 1-line block ×3, first 2 shown]
	s_cbranch_scc0 .LBB219_60
; %bb.61:                               ;   in Loop: Header=BB219_58 Depth=3
	s_branch .LBB219_57
.LBB219_62:                             ;   in Loop: Header=BB219_58 Depth=3
                                        ; implicit-def: $vgpr2_vgpr3
                                        ; implicit-def: $vgpr4_vgpr5
                                        ; implicit-def: $sgpr37
	s_cbranch_execz .LBB219_57
; %bb.63:                               ;   in Loop: Header=BB219_58 Depth=3
	buffer_load_dword v2, off, s[0:3], 0
	buffer_load_dword v3, off, s[0:3], 0 offset:4
	buffer_load_dword v4, off, s[0:3], 0 offset:8
	buffer_load_dword v5, off, s[0:3], 0 offset:12
	s_mov_b32 s37, s17
	s_branch .LBB219_57
.LBB219_64:
	s_waitcnt lgkmcnt(0)
	; wave barrier
	s_waitcnt lgkmcnt(0)
	s_and_saveexec_b64 s[12:13], s[10:11]
	s_cbranch_execz .LBB219_71
; %bb.65:
	s_cmp_lt_i32 s26, 8
	s_mov_b32 s10, 0
	s_cbranch_scc1 .LBB219_68
; %bb.66:
	v_mad_i64_i32 v[2:3], s[10:11], s25, v0, 0
	v_lshlrev_b64 v[2:3], 4, v[2:3]
	v_mov_b32_e32 v4, s29
	v_add_co_u32_e32 v1, vcc, s27, v2
	v_addc_co_u32_e32 v2, vcc, v4, v3, vcc
	v_mov_b32_e32 v3, 0x1900
	s_lshl_b32 s10, s33, 4
	v_lshl_add_u32 v3, v0, 4, v3
	s_and_b32 s11, s10, 0x180
	s_mov_b32 s10, 0
	s_mov_b64 s[12:13], 0
.LBB219_67:                             ; =>This Inner Loop Header: Depth=1
	ds_read2_b64 v[4:7], v3 offset1:1
	ds_read2_b64 v[8:11], v3 offset0:40 offset1:41
	ds_read2_b64 v[12:15], v3 offset0:80 offset1:81
	;; [unrolled: 1-line block ×6, first 2 shown]
	s_add_i32 s10, s10, 8
	v_add_co_u32_e32 v36, vcc, s12, v1
	s_add_u32 s12, s12, 0x80
	v_mov_b32_e32 v32, s13
	s_addc_u32 s13, s13, 0
	v_add_u32_e32 v33, 0x8c0, v3
	v_addc_co_u32_e32 v37, vcc, v2, v32, vcc
	v_add_u32_e32 v3, 0xa00, v3
	s_cmp_lg_u32 s11, s12
	ds_read2_b64 v[32:35], v33 offset1:1
	s_waitcnt lgkmcnt(7)
	global_store_dwordx4 v[36:37], v[4:7], off
	s_waitcnt lgkmcnt(6)
	global_store_dwordx4 v[36:37], v[8:11], off offset:16
	s_waitcnt lgkmcnt(5)
	global_store_dwordx4 v[36:37], v[12:15], off offset:32
	;; [unrolled: 2-line block ×7, first 2 shown]
	s_cbranch_scc1 .LBB219_67
.LBB219_68:
	s_and_b32 s12, s33, 7
	s_cmp_eq_u32 s12, 0
	s_mov_b32 s11, 0
	s_cbranch_scc1 .LBB219_71
; %bb.69:
	s_lshl_b64 s[8:9], s[8:9], 4
	v_lshlrev_b32_e32 v1, 4, v0
	v_mov_b32_e32 v2, s9
	v_add_co_u32_e32 v1, vcc, s8, v1
	s_lshl_b64 s[8:9], s[10:11], 4
	s_add_u32 s8, s22, s8
	s_addc_u32 s9, s23, s9
	s_add_u32 s6, s8, s6
	s_addc_u32 s7, s9, s7
	;; [unrolled: 2-line block ×3, first 2 shown]
	v_addc_co_u32_e32 v4, vcc, 0, v2, vcc
	v_pk_mov_b32 v[2:3], s[4:5], s[4:5] op_sel:[0,1]
	v_mad_u64_u32 v[2:3], s[4:5], v1, s25, v[2:3]
	s_mul_i32 s4, s10, 0x140
	v_mul_lo_u32 v1, v1, s28
	v_mul_lo_u32 v4, v4, s25
	v_lshl_add_u32 v0, v0, 4, s4
	v_add3_u32 v3, v4, v3, v1
	v_add_u32_e32 v0, 0x1900, v0
.LBB219_70:                             ; =>This Inner Loop Header: Depth=1
	ds_read2_b64 v[4:7], v0 offset1:1
	s_add_i32 s12, s12, -1
	v_add_u32_e32 v0, 0x140, v0
	s_cmp_lg_u32 s12, 0
	s_waitcnt lgkmcnt(0)
	global_store_dwordx4 v[2:3], v[4:7], off
	v_add_co_u32_e32 v2, vcc, 16, v2
	v_addc_co_u32_e32 v3, vcc, 0, v3, vcc
	s_cbranch_scc1 .LBB219_70
.LBB219_71:
	s_endpgm
	.section	.rodata,"a",@progbits
	.p2align	6, 0x0
	.amdhsa_kernel _ZL38rocblas_trsm_small_left_device_sharedBILi20ELi20ELb0E19rocblas_complex_numIdES1_PKS1_PS1_Ev13rocblas_fill_18rocblas_operation_17rocblas_diagonal_iiT3_T4_lilT5_lili
		.amdhsa_group_segment_fixed_size 12800
		.amdhsa_private_segment_fixed_size 336
		.amdhsa_kernarg_size 368
		.amdhsa_user_sgpr_count 8
		.amdhsa_user_sgpr_private_segment_buffer 1
		.amdhsa_user_sgpr_dispatch_ptr 0
		.amdhsa_user_sgpr_queue_ptr 0
		.amdhsa_user_sgpr_kernarg_segment_ptr 1
		.amdhsa_user_sgpr_dispatch_id 0
		.amdhsa_user_sgpr_flat_scratch_init 1
		.amdhsa_user_sgpr_kernarg_preload_length 0
		.amdhsa_user_sgpr_kernarg_preload_offset 0
		.amdhsa_user_sgpr_private_segment_size 0
		.amdhsa_uses_dynamic_stack 0
		.amdhsa_system_sgpr_private_segment_wavefront_offset 1
		.amdhsa_system_sgpr_workgroup_id_x 1
		.amdhsa_system_sgpr_workgroup_id_y 0
		.amdhsa_system_sgpr_workgroup_id_z 1
		.amdhsa_system_sgpr_workgroup_info 0
		.amdhsa_system_vgpr_workitem_id 0
		.amdhsa_next_free_vgpr 54
		.amdhsa_next_free_sgpr 43
		.amdhsa_accum_offset 56
		.amdhsa_reserve_vcc 1
		.amdhsa_reserve_flat_scratch 0
		.amdhsa_float_round_mode_32 0
		.amdhsa_float_round_mode_16_64 0
		.amdhsa_float_denorm_mode_32 3
		.amdhsa_float_denorm_mode_16_64 3
		.amdhsa_dx10_clamp 1
		.amdhsa_ieee_mode 1
		.amdhsa_fp16_overflow 0
		.amdhsa_tg_split 0
		.amdhsa_exception_fp_ieee_invalid_op 0
		.amdhsa_exception_fp_denorm_src 0
		.amdhsa_exception_fp_ieee_div_zero 0
		.amdhsa_exception_fp_ieee_overflow 0
		.amdhsa_exception_fp_ieee_underflow 0
		.amdhsa_exception_fp_ieee_inexact 0
		.amdhsa_exception_int_div_zero 0
	.end_amdhsa_kernel
	.section	.text._ZL38rocblas_trsm_small_left_device_sharedBILi20ELi20ELb0E19rocblas_complex_numIdES1_PKS1_PS1_Ev13rocblas_fill_18rocblas_operation_17rocblas_diagonal_iiT3_T4_lilT5_lili,"axG",@progbits,_ZL38rocblas_trsm_small_left_device_sharedBILi20ELi20ELb0E19rocblas_complex_numIdES1_PKS1_PS1_Ev13rocblas_fill_18rocblas_operation_17rocblas_diagonal_iiT3_T4_lilT5_lili,comdat
.Lfunc_end219:
	.size	_ZL38rocblas_trsm_small_left_device_sharedBILi20ELi20ELb0E19rocblas_complex_numIdES1_PKS1_PS1_Ev13rocblas_fill_18rocblas_operation_17rocblas_diagonal_iiT3_T4_lilT5_lili, .Lfunc_end219-_ZL38rocblas_trsm_small_left_device_sharedBILi20ELi20ELb0E19rocblas_complex_numIdES1_PKS1_PS1_Ev13rocblas_fill_18rocblas_operation_17rocblas_diagonal_iiT3_T4_lilT5_lili
                                        ; -- End function
	.section	.AMDGPU.csdata,"",@progbits
; Kernel info:
; codeLenInByte = 4336
; NumSgprs: 47
; NumVgprs: 54
; NumAgprs: 0
; TotalNumVgprs: 54
; ScratchSize: 336
; MemoryBound: 0
; FloatMode: 240
; IeeeMode: 1
; LDSByteSize: 12800 bytes/workgroup (compile time only)
; SGPRBlocks: 5
; VGPRBlocks: 6
; NumSGPRsForWavesPerEU: 47
; NumVGPRsForWavesPerEU: 54
; AccumOffset: 56
; Occupancy: 2
; WaveLimiterHint : 0
; COMPUTE_PGM_RSRC2:SCRATCH_EN: 1
; COMPUTE_PGM_RSRC2:USER_SGPR: 8
; COMPUTE_PGM_RSRC2:TRAP_HANDLER: 0
; COMPUTE_PGM_RSRC2:TGID_X_EN: 1
; COMPUTE_PGM_RSRC2:TGID_Y_EN: 0
; COMPUTE_PGM_RSRC2:TGID_Z_EN: 1
; COMPUTE_PGM_RSRC2:TIDIG_COMP_CNT: 0
; COMPUTE_PGM_RSRC3_GFX90A:ACCUM_OFFSET: 13
; COMPUTE_PGM_RSRC3_GFX90A:TG_SPLIT: 0
	.section	.text._ZL30rocblas_trsm_small_left_deviceILi20ELi20ELb0E19rocblas_complex_numIdES1_PKS1_PS1_Ev13rocblas_fill_18rocblas_operation_17rocblas_diagonal_iiT3_T4_lilT5_lili,"axG",@progbits,_ZL30rocblas_trsm_small_left_deviceILi20ELi20ELb0E19rocblas_complex_numIdES1_PKS1_PS1_Ev13rocblas_fill_18rocblas_operation_17rocblas_diagonal_iiT3_T4_lilT5_lili,comdat
	.globl	_ZL30rocblas_trsm_small_left_deviceILi20ELi20ELb0E19rocblas_complex_numIdES1_PKS1_PS1_Ev13rocblas_fill_18rocblas_operation_17rocblas_diagonal_iiT3_T4_lilT5_lili ; -- Begin function _ZL30rocblas_trsm_small_left_deviceILi20ELi20ELb0E19rocblas_complex_numIdES1_PKS1_PS1_Ev13rocblas_fill_18rocblas_operation_17rocblas_diagonal_iiT3_T4_lilT5_lili
	.p2align	8
	.type	_ZL30rocblas_trsm_small_left_deviceILi20ELi20ELb0E19rocblas_complex_numIdES1_PKS1_PS1_Ev13rocblas_fill_18rocblas_operation_17rocblas_diagonal_iiT3_T4_lilT5_lili,@function
_ZL30rocblas_trsm_small_left_deviceILi20ELi20ELb0E19rocblas_complex_numIdES1_PKS1_PS1_Ev13rocblas_fill_18rocblas_operation_17rocblas_diagonal_iiT3_T4_lilT5_lili: ; @_ZL30rocblas_trsm_small_left_deviceILi20ELi20ELb0E19rocblas_complex_numIdES1_PKS1_PS1_Ev13rocblas_fill_18rocblas_operation_17rocblas_diagonal_iiT3_T4_lilT5_lili
; %bb.0:
	s_add_u32 s0, s0, s10
	s_load_dwordx4 s[24:27], s[4:5], 0x4
	s_load_dwordx8 s[12:19], s[4:5], 0x18
	s_load_dwordx4 s[20:23], s[4:5], 0x40
	s_load_dwordx2 s[10:11], s[4:5], 0x50
	s_load_dword s39, s[4:5], 0x70
	s_addc_u32 s1, s1, 0
	s_waitcnt lgkmcnt(0)
	s_min_i32 s38, s26, 20
	s_mov_b32 s40, 0
	s_add_i32 s33, s38, -1
	v_cmp_gt_i32_e32 vcc, s38, v0
	s_and_saveexec_b64 s[28:29], vcc
	s_cbranch_execz .LBB220_15
; %bb.1:
	s_load_dword s30, s[4:5], 0x38
	v_lshlrev_b32_e32 v1, 4, v0
	s_mul_i32 s26, s21, s9
	s_mul_hi_u32 s41, s20, s9
	s_mul_i32 s20, s20, s9
	s_waitcnt lgkmcnt(0)
	s_ashr_i32 s31, s30, 31
	s_cmpk_eq_i32 s24, 0x71
	s_cselect_b64 vcc, -1, 0
	s_cmp_lt_u32 s33, 3
	s_cbranch_scc1 .LBB220_4
; %bb.2:
	s_add_i32 s21, s41, s26
	s_and_b32 s40, s38, -4
	s_lshl_b64 s[6:7], s[20:21], 4
	s_lshl_b64 s[34:35], s[18:19], 4
	s_add_u32 s6, s6, s34
	s_addc_u32 s7, s7, s35
	s_add_u32 s6, s16, s6
	v_lshlrev_b32_e32 v2, 4, v0
	s_addc_u32 s7, s17, s7
	v_mov_b32_e32 v3, s7
	v_add_co_u32_e64 v2, s[6:7], s6, v2
	v_addc_co_u32_e64 v3, s[6:7], 0, v3, s[6:7]
	v_add_co_u32_e64 v2, s[6:7], 8, v2
	s_lshl_b64 s[34:35], s[30:31], 6
	s_lshl_b64 s[36:37], s[30:31], 4
	v_addc_co_u32_e64 v3, s[6:7], 0, v3, s[6:7]
	s_mov_b32 s21, 0
	v_mov_b32_e32 v4, s37
	v_mov_b32_e32 v5, s35
	;; [unrolled: 1-line block ×3, first 2 shown]
.LBB220_3:                              ; =>This Inner Loop Header: Depth=1
	v_add_co_u32_e64 v20, s[6:7], s36, v2
	v_addc_co_u32_e64 v21, s[6:7], v3, v4, s[6:7]
	v_add_co_u32_e64 v22, s[6:7], s36, v20
	global_load_dwordx4 v[8:11], v[2:3], off offset:-8
	v_addc_co_u32_e64 v23, s[6:7], v21, v4, s[6:7]
	global_load_dwordx4 v[12:15], v[20:21], off offset:-8
	global_load_dwordx4 v[16:19], v[22:23], off offset:-8
	v_add_co_u32_e64 v20, s[6:7], s36, v22
	v_addc_co_u32_e64 v21, s[6:7], v23, v4, s[6:7]
	global_load_dwordx4 v[20:23], v[20:21], off offset:-8
	s_add_i32 s21, s21, 4
	v_add_co_u32_e64 v2, s[6:7], s34, v2
	s_cmp_eq_u32 s40, s21
	v_addc_co_u32_e64 v3, s[6:7], v3, v5, s[6:7]
	s_waitcnt vmcnt(3)
	v_xor_b32_e32 v7, 0x80000000, v11
	v_cndmask_b32_e32 v11, v11, v7, vcc
	s_waitcnt vmcnt(2)
	v_xor_b32_e32 v7, 0x80000000, v15
	v_cndmask_b32_e32 v15, v15, v7, vcc
	;; [unrolled: 3-line block ×3, first 2 shown]
	ds_write_b128 v6, v[8:11]
	ds_write_b128 v6, v[12:15] offset:320
	s_waitcnt vmcnt(0)
	v_xor_b32_e32 v7, 0x80000000, v23
	v_cndmask_b32_e32 v23, v23, v7, vcc
	ds_write_b128 v6, v[16:19] offset:640
	ds_write_b128 v6, v[20:23] offset:960
	v_add_u32_e32 v6, 0x500, v6
	s_cbranch_scc0 .LBB220_3
.LBB220_4:
	s_and_b32 s34, s38, 3
	s_cmp_eq_u32 s34, 0
	s_cbranch_scc1 .LBB220_7
; %bb.5:
	s_mul_i32 s6, s40, 0x140
	s_add_i32 s21, s41, s26
	v_lshl_add_u32 v4, v0, 4, s6
	s_lshl_b64 s[6:7], s[20:21], 4
	s_mul_i32 s20, s31, s40
	s_mul_hi_u32 s21, s30, s40
	s_add_i32 s21, s21, s20
	s_mul_i32 s20, s30, s40
	s_lshl_b64 s[20:21], s[20:21], 4
	s_add_u32 s20, s6, s20
	s_addc_u32 s21, s7, s21
	s_lshl_b64 s[6:7], s[18:19], 4
	s_add_u32 s6, s20, s6
	s_addc_u32 s7, s21, s7
	s_add_u32 s6, s16, s6
	s_addc_u32 s7, s17, s7
	v_mov_b32_e32 v2, s7
	v_add_co_u32_e64 v1, s[6:7], s6, v1
	v_addc_co_u32_e64 v3, s[6:7], 0, v2, s[6:7]
	v_add_co_u32_e64 v2, s[6:7], 8, v1
	s_lshl_b64 s[16:17], s[30:31], 4
	v_addc_co_u32_e64 v3, s[6:7], 0, v3, s[6:7]
	v_mov_b32_e32 v1, s17
.LBB220_6:                              ; =>This Inner Loop Header: Depth=1
	global_load_dwordx4 v[6:9], v[2:3], off offset:-8
	v_add_co_u32_e64 v2, s[6:7], s16, v2
	s_add_i32 s34, s34, -1
	v_addc_co_u32_e64 v3, s[6:7], v3, v1, s[6:7]
	s_cmp_lg_u32 s34, 0
	s_waitcnt vmcnt(0)
	v_xor_b32_e32 v5, 0x80000000, v9
	v_cndmask_b32_e32 v9, v9, v5, vcc
	ds_write_b128 v4, v[6:9]
	v_add_u32_e32 v4, 0x140, v4
	s_cbranch_scc1 .LBB220_6
.LBB220_7:
	v_mul_u32_u24_e32 v1, 21, v0
	s_cmpk_lg_i32 s25, 0x84
	v_lshlrev_b32_e32 v1, 4, v1
	s_cbranch_scc0 .LBB220_13
; %bb.8:
	ds_read_b128 v[2:5], v1
	s_waitcnt lgkmcnt(0)
	v_xor_b32_e32 v7, 0x80000000, v3
	v_cmp_gt_f64_e32 vcc, 0, v[2:3]
	v_xor_b32_e32 v8, 0x80000000, v5
	v_cndmask_b32_e32 v7, v3, v7, vcc
	v_cmp_gt_f64_e32 vcc, 0, v[4:5]
	v_mov_b32_e32 v6, v2
	v_cndmask_b32_e32 v9, v5, v8, vcc
	v_mov_b32_e32 v8, v4
	v_cmp_ngt_f64_e32 vcc, v[6:7], v[8:9]
                                        ; implicit-def: $vgpr8_vgpr9
	s_and_saveexec_b64 s[6:7], vcc
	s_xor_b64 s[6:7], exec, s[6:7]
	s_cbranch_execz .LBB220_10
; %bb.9:
	v_div_scale_f64 v[6:7], s[16:17], v[4:5], v[4:5], v[2:3]
	v_rcp_f64_e32 v[8:9], v[6:7]
	v_div_scale_f64 v[10:11], vcc, v[2:3], v[4:5], v[2:3]
	v_fma_f64 v[12:13], -v[6:7], v[8:9], 1.0
	v_fmac_f64_e32 v[8:9], v[8:9], v[12:13]
	v_fma_f64 v[12:13], -v[6:7], v[8:9], 1.0
	v_fmac_f64_e32 v[8:9], v[8:9], v[12:13]
	v_mul_f64 v[12:13], v[10:11], v[8:9]
	v_fma_f64 v[6:7], -v[6:7], v[12:13], v[10:11]
	v_div_fmas_f64 v[6:7], v[6:7], v[8:9], v[12:13]
	v_div_fixup_f64 v[8:9], v[6:7], v[4:5], v[2:3]
	v_fmac_f64_e32 v[4:5], v[2:3], v[8:9]
	v_div_scale_f64 v[2:3], s[16:17], v[4:5], v[4:5], 1.0
	v_rcp_f64_e32 v[6:7], v[2:3]
	v_fma_f64 v[10:11], -v[2:3], v[6:7], 1.0
	v_fmac_f64_e32 v[6:7], v[6:7], v[10:11]
	v_fma_f64 v[10:11], -v[2:3], v[6:7], 1.0
	v_fmac_f64_e32 v[6:7], v[6:7], v[10:11]
	v_div_scale_f64 v[10:11], vcc, 1.0, v[4:5], 1.0
	v_mul_f64 v[12:13], v[10:11], v[6:7]
	v_fma_f64 v[2:3], -v[2:3], v[12:13], v[10:11]
	s_nop 1
	v_div_fmas_f64 v[2:3], v[2:3], v[6:7], v[12:13]
	v_div_fixup_f64 v[2:3], v[2:3], v[4:5], 1.0
	v_add_f64 v[4:5], v[8:9], 0
	v_mul_f64 v[6:7], v[4:5], v[2:3]
	v_fma_f64 v[4:5], v[8:9], 0, -1.0
	v_mul_f64 v[8:9], v[4:5], v[2:3]
                                        ; implicit-def: $vgpr2_vgpr3
.LBB220_10:
	s_andn2_saveexec_b64 s[6:7], s[6:7]
	s_cbranch_execz .LBB220_12
; %bb.11:
	v_div_scale_f64 v[6:7], s[16:17], v[2:3], v[2:3], v[4:5]
	v_rcp_f64_e32 v[8:9], v[6:7]
	v_div_scale_f64 v[10:11], vcc, v[4:5], v[2:3], v[4:5]
	v_fma_f64 v[12:13], -v[6:7], v[8:9], 1.0
	v_fmac_f64_e32 v[8:9], v[8:9], v[12:13]
	v_fma_f64 v[12:13], -v[6:7], v[8:9], 1.0
	v_fmac_f64_e32 v[8:9], v[8:9], v[12:13]
	v_mul_f64 v[12:13], v[10:11], v[8:9]
	v_fma_f64 v[6:7], -v[6:7], v[12:13], v[10:11]
	v_div_fmas_f64 v[6:7], v[6:7], v[8:9], v[12:13]
	v_div_fixup_f64 v[8:9], v[6:7], v[2:3], v[4:5]
	v_fmac_f64_e32 v[2:3], v[4:5], v[8:9]
	v_div_scale_f64 v[4:5], s[16:17], v[2:3], v[2:3], 1.0
	v_rcp_f64_e32 v[6:7], v[4:5]
	v_fma_f64 v[10:11], -v[4:5], v[6:7], 1.0
	v_fmac_f64_e32 v[6:7], v[6:7], v[10:11]
	v_fma_f64 v[10:11], -v[4:5], v[6:7], 1.0
	v_fmac_f64_e32 v[6:7], v[6:7], v[10:11]
	v_div_scale_f64 v[10:11], vcc, 1.0, v[2:3], 1.0
	v_mul_f64 v[12:13], v[10:11], v[6:7]
	v_fma_f64 v[4:5], -v[4:5], v[12:13], v[10:11]
	s_nop 1
	v_div_fmas_f64 v[4:5], v[4:5], v[6:7], v[12:13]
	v_div_fixup_f64 v[2:3], v[4:5], v[2:3], 1.0
	v_fma_f64 v[4:5], v[8:9], 0, 1.0
	v_mul_f64 v[6:7], v[4:5], v[2:3]
	v_add_f64 v[4:5], -v[8:9], 0
	v_mul_f64 v[8:9], v[4:5], v[2:3]
.LBB220_12:
	s_or_b64 exec, exec, s[6:7]
	s_branch .LBB220_14
.LBB220_13:
	v_mov_b32_e32 v6, 0
	v_mov_b32_e32 v7, 0x3ff00000
	v_pk_mov_b32 v[8:9], 0, 0
.LBB220_14:
	ds_write_b128 v1, v[6:9]
.LBB220_15:
	s_or_b64 exec, exec, s[28:29]
	s_mul_i32 s6, s8, 0xffffffec
	s_add_i32 s39, s39, -1
	s_add_i32 s6, s6, s27
	s_cmp_ge_u32 s8, s39
	s_cselect_b32 s6, s6, 20
	v_cmp_gt_i32_e32 vcc, s6, v0
	s_waitcnt lgkmcnt(0)
	; wave barrier
	s_waitcnt lgkmcnt(0)
	s_and_saveexec_b64 s[6:7], vcc
	s_cbranch_execz .LBB220_58
; %bb.16:
	s_load_dwordx2 s[6:7], s[4:5], 0x60
	s_load_dword s16, s[4:5], 0x58
	s_waitcnt lgkmcnt(0)
	s_mul_i32 s5, s9, s7
	s_mul_hi_u32 s7, s9, s6
	s_mul_i32 s4, s9, s6
	s_add_i32 s5, s7, s5
	s_lshl_b64 s[4:5], s[4:5], 4
	s_add_u32 s9, s22, s4
	s_addc_u32 s17, s23, s5
	s_lshl_b64 s[6:7], s[10:11], 4
	s_add_u32 s10, s9, s6
	v_mad_u64_u32 v[0:1], s[8:9], s8, 20, v[0:1]
	v_mad_i64_i32 v[0:1], s[8:9], s16, v0, 0
	s_addc_u32 s11, s17, s7
	v_lshlrev_b64 v[4:5], 4, v[0:1]
	v_mov_b32_e32 v0, s11
	v_add_co_u32_e32 v8, vcc, s10, v4
	v_addc_co_u32_e32 v9, vcc, v0, v5, vcc
	s_cmpk_eq_i32 s24, 0x6f
	s_mov_b64 s[8:9], -1
	s_cbranch_scc1 .LBB220_38
; %bb.17:
	s_add_u32 s8, s22, s6
	s_addc_u32 s9, s23, s7
	s_add_u32 s8, s8, s4
	s_addc_u32 s9, s9, s5
	v_mov_b32_e32 v0, s9
	v_add_co_u32_e32 v1, vcc, s8, v4
	v_addc_co_u32_e32 v0, vcc, v0, v5, vcc
	v_add_co_u32_e32 v10, vcc, 8, v1
	s_mov_b32 s9, 0
	v_addc_co_u32_e32 v11, vcc, 0, v0, vcc
	v_mov_b32_e32 v12, 0
	s_mov_b32 s10, s9
	s_mov_b32 s16, s9
	s_branch .LBB220_19
.LBB220_18:                             ;   in Loop: Header=BB220_19 Depth=1
	s_cmp_ge_i32 s16, s38
	s_cselect_b64 s[18:19], -1, 0
	s_add_i32 s10, s10, 1
	s_cmp_eq_u32 s10, 3
	s_cselect_b64 s[20:21], -1, 0
	s_or_b64 s[18:19], s[18:19], s[20:21]
	s_andn2_b64 vcc, exec, s[18:19]
	s_cbranch_vccz .LBB220_37
.LBB220_19:                             ; =>This Loop Header: Depth=1
                                        ;     Child Loop BB220_22 Depth 2
                                        ;       Child Loop BB220_23 Depth 3
                                        ;       Child Loop BB220_26 Depth 3
                                        ;         Child Loop BB220_27 Depth 4
                                        ;       Child Loop BB220_31 Depth 3
                                        ;         Child Loop BB220_33 Depth 4
	s_mov_b32 s11, s9
	s_lshl_b64 s[18:19], s[10:11], 2
	s_getpc_b64 s[20:21]
	s_add_u32 s20, s20, __const._ZL30rocblas_trsm_small_left_deviceILi20ELi20ELb0E19rocblas_complex_numIdES1_PKS1_PS1_Ev13rocblas_fill_18rocblas_operation_17rocblas_diagonal_iiT3_T4_lilT5_lili.step_sizes@rel32@lo+4
	s_addc_u32 s21, s21, __const._ZL30rocblas_trsm_small_left_deviceILi20ELi20ELb0E19rocblas_complex_numIdES1_PKS1_PS1_Ev13rocblas_fill_18rocblas_operation_17rocblas_diagonal_iiT3_T4_lilT5_lili.step_sizes@rel32@hi+12
	s_add_u32 s18, s18, s20
	s_addc_u32 s19, s19, s21
	s_load_dword s18, s[18:19], 0x0
	s_waitcnt lgkmcnt(0)
	s_add_i32 s11, s18, -1
	s_add_i32 s8, s11, s16
	s_cmp_ge_i32 s8, s38
	s_cbranch_scc1 .LBB220_18
; %bb.20:                               ;   in Loop: Header=BB220_19 Depth=1
	s_ashr_i32 s17, s16, 31
	s_lshl_b64 s[20:21], s[16:17], 4
	s_ashr_i32 s19, s18, 31
	v_mov_b32_e32 v0, s21
	v_add_co_u32_e32 v6, vcc, s20, v10
	s_lshl_b64 s[20:21], s[18:19], 4
	s_max_i32 s28, s18, 1
	v_addc_co_u32_e32 v7, vcc, v11, v0, vcc
	s_mul_i32 s17, s16, 0x140
	s_mul_i32 s19, s18, 0x140
	;; [unrolled: 1-line block ×4, first 2 shown]
	v_mov_b32_e32 v13, s21
	s_branch .LBB220_22
.LBB220_21:                             ;   in Loop: Header=BB220_22 Depth=2
	s_add_i32 s16, s16, s18
	s_add_i32 s8, s11, s16
	;; [unrolled: 1-line block ×4, first 2 shown]
	v_add_co_u32_e32 v6, vcc, s20, v6
	s_cmp_ge_i32 s8, s38
	v_addc_co_u32_e32 v7, vcc, v7, v13, vcc
	s_cbranch_scc1 .LBB220_18
.LBB220_22:                             ;   Parent Loop BB220_19 Depth=1
                                        ; =>  This Loop Header: Depth=2
                                        ;       Child Loop BB220_23 Depth 3
                                        ;       Child Loop BB220_26 Depth 3
                                        ;         Child Loop BB220_27 Depth 4
                                        ;       Child Loop BB220_31 Depth 3
                                        ;         Child Loop BB220_33 Depth 4
	v_mov_b32_e32 v2, 0
	v_pk_mov_b32 v[0:1], v[6:7], v[6:7] op_sel:[0,1]
	s_mov_b32 s8, s28
.LBB220_23:                             ;   Parent Loop BB220_19 Depth=1
                                        ;     Parent Loop BB220_22 Depth=2
                                        ; =>    This Inner Loop Header: Depth=3
	global_load_dwordx4 v[14:17], v[0:1], off offset:-8
	s_add_i32 s8, s8, -1
	v_add_co_u32_e32 v0, vcc, 16, v0
	v_addc_co_u32_e32 v1, vcc, 0, v1, vcc
	s_cmp_eq_u32 s8, 0
	s_waitcnt vmcnt(0)
	v_mul_f64 v[18:19], s[14:15], v[16:17]
	v_mul_f64 v[16:17], s[12:13], v[16:17]
	v_fma_f64 v[18:19], s[12:13], v[14:15], -v[18:19]
	v_fmac_f64_e32 v[16:17], s[14:15], v[14:15]
	buffer_store_dword v19, v2, s[0:3], 0 offen offset:4
	buffer_store_dword v18, v2, s[0:3], 0 offen
	buffer_store_dword v17, v2, s[0:3], 0 offen offset:12
	buffer_store_dword v16, v2, s[0:3], 0 offen offset:8
	v_add_u32_e32 v2, 16, v2
	s_cbranch_scc0 .LBB220_23
; %bb.24:                               ;   in Loop: Header=BB220_22 Depth=2
	s_cmp_lt_i32 s16, 1
	s_cbranch_scc1 .LBB220_29
; %bb.25:                               ;   in Loop: Header=BB220_22 Depth=2
	s_mov_b32 s8, 0
	s_mov_b32 s21, s17
.LBB220_26:                             ;   Parent Loop BB220_19 Depth=1
                                        ;     Parent Loop BB220_22 Depth=2
                                        ; =>    This Loop Header: Depth=3
                                        ;         Child Loop BB220_27 Depth 4
	s_lshl_b64 s[24:25], s[8:9], 4
	v_mov_b32_e32 v1, s25
	v_add_co_u32_e32 v0, vcc, s24, v8
	v_addc_co_u32_e32 v1, vcc, v9, v1, vcc
	global_load_dwordx4 v[0:3], v[0:1], off
	v_mov_b32_e32 v14, 0
	s_mov_b32 s24, s21
	s_mov_b32 s25, s28
.LBB220_27:                             ;   Parent Loop BB220_19 Depth=1
                                        ;     Parent Loop BB220_22 Depth=2
                                        ;       Parent Loop BB220_26 Depth=3
                                        ; =>      This Inner Loop Header: Depth=4
	buffer_load_dword v20, v14, s[0:3], 0 offen
	buffer_load_dword v21, v14, s[0:3], 0 offen offset:4
	buffer_load_dword v22, v14, s[0:3], 0 offen offset:8
	;; [unrolled: 1-line block ×3, first 2 shown]
	v_mov_b32_e32 v15, s24
	ds_read_b128 v[16:19], v15
	s_add_i32 s25, s25, -1
	s_addk_i32 s24, 0x140
	s_cmp_eq_u32 s25, 0
	s_waitcnt vmcnt(4) lgkmcnt(0)
	v_mul_f64 v[24:25], v[2:3], v[18:19]
	v_mul_f64 v[18:19], v[0:1], v[18:19]
	v_fma_f64 v[24:25], v[0:1], v[16:17], -v[24:25]
	v_fmac_f64_e32 v[18:19], v[2:3], v[16:17]
	s_waitcnt vmcnt(2)
	v_add_f64 v[16:17], v[20:21], -v[24:25]
	s_waitcnt vmcnt(0)
	v_add_f64 v[18:19], v[22:23], -v[18:19]
	buffer_store_dword v16, v14, s[0:3], 0 offen
	buffer_store_dword v17, v14, s[0:3], 0 offen offset:4
	buffer_store_dword v18, v14, s[0:3], 0 offen offset:8
	;; [unrolled: 1-line block ×3, first 2 shown]
	v_add_u32_e32 v14, 16, v14
	s_cbranch_scc0 .LBB220_27
; %bb.28:                               ;   in Loop: Header=BB220_26 Depth=3
	s_add_i32 s8, s8, 1
	s_add_i32 s21, s21, 16
	s_cmp_ge_i32 s8, s16
	s_cbranch_scc0 .LBB220_26
.LBB220_29:                             ;   in Loop: Header=BB220_22 Depth=2
	s_mov_b32 s8, 0
	s_mov_b32 s21, s29
	s_branch .LBB220_31
.LBB220_30:                             ;   in Loop: Header=BB220_31 Depth=3
	s_mul_i32 s25, s24, 0x150
	v_mov_b32_e32 v14, s25
	ds_read_b128 v[14:17], v14
	s_lshl_b32 s25, s8, 4
	v_add_u32_e32 v22, s25, v12
	s_ashr_i32 s25, s24, 31
	s_lshl_b64 s[24:25], s[24:25], 4
	s_waitcnt vmcnt(0) lgkmcnt(0)
	v_mul_f64 v[18:19], v[16:17], v[2:3]
	v_mul_f64 v[20:21], v[14:15], v[2:3]
	v_fma_f64 v[18:19], v[14:15], v[0:1], -v[18:19]
	v_fmac_f64_e32 v[20:21], v[16:17], v[0:1]
	v_mov_b32_e32 v1, s25
	v_add_co_u32_e32 v0, vcc, s24, v8
	s_add_i32 s8, s8, 1
	s_addk_i32 s21, 0x140
	v_addc_co_u32_e32 v1, vcc, v9, v1, vcc
	s_cmp_eq_u32 s8, s28
	buffer_store_dword v19, v22, s[0:3], 0 offen offset:4
	buffer_store_dword v18, v22, s[0:3], 0 offen
	buffer_store_dword v21, v22, s[0:3], 0 offen offset:12
	buffer_store_dword v20, v22, s[0:3], 0 offen offset:8
	global_store_dwordx4 v[0:1], v[18:21], off
	s_cbranch_scc1 .LBB220_21
.LBB220_31:                             ;   Parent Loop BB220_19 Depth=1
                                        ;     Parent Loop BB220_22 Depth=2
                                        ; =>    This Loop Header: Depth=3
                                        ;         Child Loop BB220_33 Depth 4
	s_cmp_lg_u32 s8, 0
	s_cbranch_scc0 .LBB220_35
; %bb.32:                               ;   in Loop: Header=BB220_31 Depth=3
	s_lshl_b32 s24, s8, 4
	v_add_u32_e32 v14, s24, v12
	buffer_load_dword v0, v14, s[0:3], 0 offen
	buffer_load_dword v1, v14, s[0:3], 0 offen offset:4
	buffer_load_dword v2, v14, s[0:3], 0 offen offset:8
	buffer_load_dword v3, v14, s[0:3], 0 offen offset:12
	s_add_i32 s24, s8, s16
	v_mov_b32_e32 v15, 0
	s_mov_b32 s25, 0
	s_mov_b32 s26, s21
.LBB220_33:                             ;   Parent Loop BB220_19 Depth=1
                                        ;     Parent Loop BB220_22 Depth=2
                                        ;       Parent Loop BB220_31 Depth=3
                                        ; =>      This Inner Loop Header: Depth=4
	buffer_load_dword v20, v15, s[0:3], 0 offen offset:8
	buffer_load_dword v21, v15, s[0:3], 0 offen offset:12
	buffer_load_dword v22, v15, s[0:3], 0 offen
	buffer_load_dword v23, v15, s[0:3], 0 offen offset:4
	v_mov_b32_e32 v16, s26
	ds_read_b128 v[16:19], v16
	s_add_i32 s25, s25, 1
	s_add_i32 s26, s26, 16
	v_add_u32_e32 v15, 16, v15
	s_cmp_ge_u32 s25, s8
	s_waitcnt vmcnt(2) lgkmcnt(0)
	v_mul_f64 v[24:25], v[18:19], v[20:21]
	v_mul_f64 v[20:21], v[16:17], v[20:21]
	s_waitcnt vmcnt(0)
	v_fma_f64 v[16:17], v[16:17], v[22:23], -v[24:25]
	v_fmac_f64_e32 v[20:21], v[18:19], v[22:23]
	v_add_f64 v[0:1], v[0:1], -v[16:17]
	v_add_f64 v[2:3], v[2:3], -v[20:21]
	buffer_store_dword v0, v14, s[0:3], 0 offen
	buffer_store_dword v1, v14, s[0:3], 0 offen offset:4
	buffer_store_dword v2, v14, s[0:3], 0 offen offset:8
	;; [unrolled: 1-line block ×3, first 2 shown]
	s_cbranch_scc0 .LBB220_33
; %bb.34:                               ;   in Loop: Header=BB220_31 Depth=3
	s_branch .LBB220_30
.LBB220_35:                             ;   in Loop: Header=BB220_31 Depth=3
                                        ; implicit-def: $vgpr0_vgpr1
                                        ; implicit-def: $vgpr2_vgpr3
                                        ; implicit-def: $sgpr24
	s_cbranch_execz .LBB220_30
; %bb.36:                               ;   in Loop: Header=BB220_31 Depth=3
	buffer_load_dword v0, off, s[0:3], 0
	buffer_load_dword v1, off, s[0:3], 0 offset:4
	buffer_load_dword v2, off, s[0:3], 0 offset:8
	;; [unrolled: 1-line block ×3, first 2 shown]
	s_mov_b32 s24, s16
	s_branch .LBB220_30
.LBB220_37:
	s_mov_b64 s[8:9], 0
.LBB220_38:
	s_and_b64 vcc, exec, s[8:9]
	s_cbranch_vccz .LBB220_58
; %bb.39:
	s_add_u32 s6, s22, s6
	s_addc_u32 s7, s23, s7
	s_add_u32 s4, s6, s4
	s_addc_u32 s5, s7, s5
	v_mov_b32_e32 v0, s5
	v_add_co_u32_e32 v1, vcc, s4, v4
	v_addc_co_u32_e32 v0, vcc, v0, v5, vcc
	v_add_co_u32_e32 v4, vcc, 8, v1
	s_mul_i32 s18, s38, 0x140
	s_mov_b32 s5, 0
	v_addc_co_u32_e32 v5, vcc, 0, v0, vcc
	s_addk_i32 s18, 0xfec0
	v_mov_b32_e32 v6, 0
	s_mov_b32 s6, s33
	s_mov_b32 s4, s5
	s_branch .LBB220_41
.LBB220_40:                             ;   in Loop: Header=BB220_41 Depth=1
	s_cmp_lt_i32 s6, 0
	s_cselect_b64 s[8:9], -1, 0
	s_add_i32 s4, s4, 1
	s_cmp_eq_u32 s4, 3
	s_cselect_b64 s[10:11], -1, 0
	s_or_b64 s[8:9], s[8:9], s[10:11]
	s_and_b64 vcc, exec, s[8:9]
	s_cbranch_vccnz .LBB220_58
.LBB220_41:                             ; =>This Loop Header: Depth=1
                                        ;     Child Loop BB220_44 Depth 2
                                        ;       Child Loop BB220_45 Depth 3
                                        ;       Child Loop BB220_47 Depth 3
                                        ;         Child Loop BB220_48 Depth 4
                                        ;       Child Loop BB220_52 Depth 3
                                        ;         Child Loop BB220_54 Depth 4
	s_lshl_b64 s[8:9], s[4:5], 2
	s_getpc_b64 s[10:11]
	s_add_u32 s10, s10, __const._ZL30rocblas_trsm_small_left_deviceILi20ELi20ELb0E19rocblas_complex_numIdES1_PKS1_PS1_Ev13rocblas_fill_18rocblas_operation_17rocblas_diagonal_iiT3_T4_lilT5_lili.step_sizes@rel32@lo+4
	s_addc_u32 s11, s11, __const._ZL30rocblas_trsm_small_left_deviceILi20ELi20ELb0E19rocblas_complex_numIdES1_PKS1_PS1_Ev13rocblas_fill_18rocblas_operation_17rocblas_diagonal_iiT3_T4_lilT5_lili.step_sizes@rel32@hi+12
	s_add_u32 s8, s8, s10
	s_addc_u32 s9, s9, s11
	s_load_dword s19, s[8:9], 0x0
	s_waitcnt lgkmcnt(0)
	s_add_i32 s20, s19, -1
	s_cmp_lt_i32 s6, s20
	s_cbranch_scc1 .LBB220_40
; %bb.42:                               ;   in Loop: Header=BB220_41 Depth=1
	s_lshl_b32 s7, s6, 4
	s_add_i32 s22, s18, s7
	s_lshl_b32 s7, s19, 4
	s_max_i32 s21, s19, 1
	s_sub_i32 s23, 0, s7
	s_mul_i32 s24, s6, 0x150
	s_mul_i32 s25, s19, 0xfffffeb0
	s_branch .LBB220_44
.LBB220_43:                             ;   in Loop: Header=BB220_44 Depth=2
	s_sub_i32 s6, s6, s19
	s_add_i32 s22, s22, s23
	s_add_i32 s24, s24, s25
	s_cmp_lt_i32 s6, s20
	s_cbranch_scc1 .LBB220_40
.LBB220_44:                             ;   Parent Loop BB220_41 Depth=1
                                        ; =>  This Loop Header: Depth=2
                                        ;       Child Loop BB220_45 Depth 3
                                        ;       Child Loop BB220_47 Depth 3
                                        ;         Child Loop BB220_48 Depth 4
                                        ;       Child Loop BB220_52 Depth 3
                                        ;         Child Loop BB220_54 Depth 4
	s_ashr_i32 s7, s6, 31
	s_lshl_b64 s[8:9], s[6:7], 4
	v_mov_b32_e32 v1, s9
	v_add_co_u32_e32 v0, vcc, s8, v4
	v_addc_co_u32_e32 v1, vcc, v5, v1, vcc
	v_mov_b32_e32 v2, 0
	s_mov_b32 s8, s21
.LBB220_45:                             ;   Parent Loop BB220_41 Depth=1
                                        ;     Parent Loop BB220_44 Depth=2
                                        ; =>    This Inner Loop Header: Depth=3
	global_load_dwordx4 v[10:13], v[0:1], off offset:-8
	s_add_i32 s8, s8, -1
	v_add_co_u32_e32 v0, vcc, -16, v0
	v_addc_co_u32_e32 v1, vcc, -1, v1, vcc
	s_cmp_eq_u32 s8, 0
	s_waitcnt vmcnt(0)
	v_mul_f64 v[14:15], s[14:15], v[12:13]
	v_mul_f64 v[12:13], s[12:13], v[12:13]
	v_fma_f64 v[14:15], s[12:13], v[10:11], -v[14:15]
	v_fmac_f64_e32 v[12:13], s[14:15], v[10:11]
	buffer_store_dword v15, v2, s[0:3], 0 offen offset:4
	buffer_store_dword v14, v2, s[0:3], 0 offen
	buffer_store_dword v13, v2, s[0:3], 0 offen offset:12
	buffer_store_dword v12, v2, s[0:3], 0 offen offset:8
	v_add_u32_e32 v2, 16, v2
	s_cbranch_scc0 .LBB220_45
; %bb.46:                               ;   in Loop: Header=BB220_44 Depth=2
	s_cmp_le_i32 s33, s6
	s_mov_b32 s10, s22
	s_mov_b32 s8, s33
	s_cbranch_scc1 .LBB220_50
.LBB220_47:                             ;   Parent Loop BB220_41 Depth=1
                                        ;     Parent Loop BB220_44 Depth=2
                                        ; =>    This Loop Header: Depth=3
                                        ;         Child Loop BB220_48 Depth 4
	s_ashr_i32 s9, s8, 31
	s_lshl_b64 s[16:17], s[8:9], 4
	v_mov_b32_e32 v1, s17
	v_add_co_u32_e32 v0, vcc, s16, v8
	v_addc_co_u32_e32 v1, vcc, v9, v1, vcc
	global_load_dwordx4 v[0:3], v[0:1], off
	v_mov_b32_e32 v7, 0
	s_mov_b32 s9, s21
	s_mov_b32 s11, s10
.LBB220_48:                             ;   Parent Loop BB220_41 Depth=1
                                        ;     Parent Loop BB220_44 Depth=2
                                        ;       Parent Loop BB220_47 Depth=3
                                        ; =>      This Inner Loop Header: Depth=4
	buffer_load_dword v14, v7, s[0:3], 0 offen
	buffer_load_dword v15, v7, s[0:3], 0 offen offset:4
	buffer_load_dword v16, v7, s[0:3], 0 offen offset:8
	;; [unrolled: 1-line block ×3, first 2 shown]
	v_mov_b32_e32 v10, s11
	ds_read_b128 v[10:13], v10
	s_add_i32 s11, s11, -16
	s_add_i32 s9, s9, -1
	s_cmp_eq_u32 s9, 0
	s_waitcnt vmcnt(4) lgkmcnt(0)
	v_mul_f64 v[18:19], v[2:3], v[12:13]
	v_mul_f64 v[12:13], v[0:1], v[12:13]
	v_fma_f64 v[18:19], v[0:1], v[10:11], -v[18:19]
	v_fmac_f64_e32 v[12:13], v[2:3], v[10:11]
	s_waitcnt vmcnt(2)
	v_add_f64 v[10:11], v[14:15], -v[18:19]
	s_waitcnt vmcnt(0)
	v_add_f64 v[12:13], v[16:17], -v[12:13]
	buffer_store_dword v10, v7, s[0:3], 0 offen
	buffer_store_dword v11, v7, s[0:3], 0 offen offset:4
	buffer_store_dword v12, v7, s[0:3], 0 offen offset:8
	buffer_store_dword v13, v7, s[0:3], 0 offen offset:12
	v_add_u32_e32 v7, 16, v7
	s_cbranch_scc0 .LBB220_48
; %bb.49:                               ;   in Loop: Header=BB220_47 Depth=3
	s_add_i32 s8, s8, -1
	s_addk_i32 s10, 0xfec0
	s_cmp_le_i32 s8, s6
	s_cbranch_scc0 .LBB220_47
.LBB220_50:                             ;   in Loop: Header=BB220_44 Depth=2
	s_mov_b32 s26, 0
	s_mov_b32 s27, s24
	s_branch .LBB220_52
.LBB220_51:                             ;   in Loop: Header=BB220_52 Depth=3
	s_mulk_i32 s10, 0x150
	v_mov_b32_e32 v7, s10
	ds_read_b128 v[10:13], v7
	s_lshl_b64 s[8:9], s[8:9], 4
	s_lshl_b32 s10, s26, 4
	s_add_i32 s26, s26, 1
	s_add_i32 s27, s27, -16
	s_waitcnt vmcnt(0) lgkmcnt(0)
	v_mul_f64 v[14:15], v[12:13], v[2:3]
	v_mul_f64 v[16:17], v[10:11], v[2:3]
	v_fma_f64 v[14:15], v[10:11], v[0:1], -v[14:15]
	v_fmac_f64_e32 v[16:17], v[12:13], v[0:1]
	v_mov_b32_e32 v1, s9
	v_add_co_u32_e32 v0, vcc, s8, v8
	v_add_u32_e32 v7, s10, v6
	v_addc_co_u32_e32 v1, vcc, v9, v1, vcc
	s_cmp_eq_u32 s26, s21
	buffer_store_dword v15, v7, s[0:3], 0 offen offset:4
	buffer_store_dword v14, v7, s[0:3], 0 offen
	buffer_store_dword v17, v7, s[0:3], 0 offen offset:12
	buffer_store_dword v16, v7, s[0:3], 0 offen offset:8
	global_store_dwordx4 v[0:1], v[14:17], off
	s_cbranch_scc1 .LBB220_43
.LBB220_52:                             ;   Parent Loop BB220_41 Depth=1
                                        ;     Parent Loop BB220_44 Depth=2
                                        ; =>    This Loop Header: Depth=3
                                        ;         Child Loop BB220_54 Depth 4
	s_cmp_lg_u32 s26, 0
	s_cbranch_scc0 .LBB220_56
; %bb.53:                               ;   in Loop: Header=BB220_52 Depth=3
	s_lshl_b32 s8, s26, 4
	v_add_u32_e32 v7, s8, v6
	buffer_load_dword v0, v7, s[0:3], 0 offen
	buffer_load_dword v1, v7, s[0:3], 0 offen offset:4
	buffer_load_dword v2, v7, s[0:3], 0 offen offset:8
	;; [unrolled: 1-line block ×3, first 2 shown]
	v_mov_b32_e32 v10, 0
	s_mov_b32 s8, 0
	s_mov_b32 s9, s27
.LBB220_54:                             ;   Parent Loop BB220_41 Depth=1
                                        ;     Parent Loop BB220_44 Depth=2
                                        ;       Parent Loop BB220_52 Depth=3
                                        ; =>      This Inner Loop Header: Depth=4
	buffer_load_dword v16, v10, s[0:3], 0 offen offset:8
	buffer_load_dword v17, v10, s[0:3], 0 offen offset:12
	buffer_load_dword v18, v10, s[0:3], 0 offen
	buffer_load_dword v19, v10, s[0:3], 0 offen offset:4
	v_mov_b32_e32 v11, s9
	ds_read_b128 v[12:15], v11
	s_add_i32 s8, s8, 1
	s_addk_i32 s9, 0xfec0
	v_add_u32_e32 v10, 16, v10
	s_cmp_ge_u32 s8, s26
	s_waitcnt vmcnt(2) lgkmcnt(0)
	v_mul_f64 v[20:21], v[14:15], v[16:17]
	v_mul_f64 v[16:17], v[12:13], v[16:17]
	s_waitcnt vmcnt(0)
	v_fma_f64 v[12:13], v[12:13], v[18:19], -v[20:21]
	v_fmac_f64_e32 v[16:17], v[14:15], v[18:19]
	v_add_f64 v[0:1], v[0:1], -v[12:13]
	v_add_f64 v[2:3], v[2:3], -v[16:17]
	buffer_store_dword v0, v7, s[0:3], 0 offen
	buffer_store_dword v1, v7, s[0:3], 0 offen offset:4
	buffer_store_dword v2, v7, s[0:3], 0 offen offset:8
	buffer_store_dword v3, v7, s[0:3], 0 offen offset:12
	s_cbranch_scc0 .LBB220_54
; %bb.55:                               ;   in Loop: Header=BB220_52 Depth=3
	s_sub_i32 s10, s6, s26
	s_ashr_i32 s11, s10, 31
	s_mov_b64 s[8:9], s[10:11]
	s_branch .LBB220_51
.LBB220_56:                             ;   in Loop: Header=BB220_52 Depth=3
                                        ; implicit-def: $vgpr0_vgpr1
                                        ; implicit-def: $vgpr2_vgpr3
                                        ; implicit-def: $sgpr10
                                        ; implicit-def: $sgpr8_sgpr9
	s_cbranch_execz .LBB220_51
; %bb.57:                               ;   in Loop: Header=BB220_52 Depth=3
	buffer_load_dword v0, off, s[0:3], 0
	buffer_load_dword v1, off, s[0:3], 0 offset:4
	buffer_load_dword v2, off, s[0:3], 0 offset:8
	;; [unrolled: 1-line block ×3, first 2 shown]
	s_mov_b64 s[8:9], s[6:7]
	s_mov_b32 s10, s6
	s_branch .LBB220_51
.LBB220_58:
	s_endpgm
	.section	.rodata,"a",@progbits
	.p2align	6, 0x0
	.amdhsa_kernel _ZL30rocblas_trsm_small_left_deviceILi20ELi20ELb0E19rocblas_complex_numIdES1_PKS1_PS1_Ev13rocblas_fill_18rocblas_operation_17rocblas_diagonal_iiT3_T4_lilT5_lili
		.amdhsa_group_segment_fixed_size 6400
		.amdhsa_private_segment_fixed_size 336
		.amdhsa_kernarg_size 368
		.amdhsa_user_sgpr_count 8
		.amdhsa_user_sgpr_private_segment_buffer 1
		.amdhsa_user_sgpr_dispatch_ptr 0
		.amdhsa_user_sgpr_queue_ptr 0
		.amdhsa_user_sgpr_kernarg_segment_ptr 1
		.amdhsa_user_sgpr_dispatch_id 0
		.amdhsa_user_sgpr_flat_scratch_init 1
		.amdhsa_user_sgpr_kernarg_preload_length 0
		.amdhsa_user_sgpr_kernarg_preload_offset 0
		.amdhsa_user_sgpr_private_segment_size 0
		.amdhsa_uses_dynamic_stack 0
		.amdhsa_system_sgpr_private_segment_wavefront_offset 1
		.amdhsa_system_sgpr_workgroup_id_x 1
		.amdhsa_system_sgpr_workgroup_id_y 0
		.amdhsa_system_sgpr_workgroup_id_z 1
		.amdhsa_system_sgpr_workgroup_info 0
		.amdhsa_system_vgpr_workitem_id 0
		.amdhsa_next_free_vgpr 26
		.amdhsa_next_free_sgpr 42
		.amdhsa_accum_offset 28
		.amdhsa_reserve_vcc 1
		.amdhsa_reserve_flat_scratch 0
		.amdhsa_float_round_mode_32 0
		.amdhsa_float_round_mode_16_64 0
		.amdhsa_float_denorm_mode_32 3
		.amdhsa_float_denorm_mode_16_64 3
		.amdhsa_dx10_clamp 1
		.amdhsa_ieee_mode 1
		.amdhsa_fp16_overflow 0
		.amdhsa_tg_split 0
		.amdhsa_exception_fp_ieee_invalid_op 0
		.amdhsa_exception_fp_denorm_src 0
		.amdhsa_exception_fp_ieee_div_zero 0
		.amdhsa_exception_fp_ieee_overflow 0
		.amdhsa_exception_fp_ieee_underflow 0
		.amdhsa_exception_fp_ieee_inexact 0
		.amdhsa_exception_int_div_zero 0
	.end_amdhsa_kernel
	.section	.text._ZL30rocblas_trsm_small_left_deviceILi20ELi20ELb0E19rocblas_complex_numIdES1_PKS1_PS1_Ev13rocblas_fill_18rocblas_operation_17rocblas_diagonal_iiT3_T4_lilT5_lili,"axG",@progbits,_ZL30rocblas_trsm_small_left_deviceILi20ELi20ELb0E19rocblas_complex_numIdES1_PKS1_PS1_Ev13rocblas_fill_18rocblas_operation_17rocblas_diagonal_iiT3_T4_lilT5_lili,comdat
.Lfunc_end220:
	.size	_ZL30rocblas_trsm_small_left_deviceILi20ELi20ELb0E19rocblas_complex_numIdES1_PKS1_PS1_Ev13rocblas_fill_18rocblas_operation_17rocblas_diagonal_iiT3_T4_lilT5_lili, .Lfunc_end220-_ZL30rocblas_trsm_small_left_deviceILi20ELi20ELb0E19rocblas_complex_numIdES1_PKS1_PS1_Ev13rocblas_fill_18rocblas_operation_17rocblas_diagonal_iiT3_T4_lilT5_lili
                                        ; -- End function
	.section	.AMDGPU.csdata,"",@progbits
; Kernel info:
; codeLenInByte = 3284
; NumSgprs: 46
; NumVgprs: 26
; NumAgprs: 0
; TotalNumVgprs: 26
; ScratchSize: 336
; MemoryBound: 0
; FloatMode: 240
; IeeeMode: 1
; LDSByteSize: 6400 bytes/workgroup (compile time only)
; SGPRBlocks: 5
; VGPRBlocks: 3
; NumSGPRsForWavesPerEU: 46
; NumVGPRsForWavesPerEU: 26
; AccumOffset: 28
; Occupancy: 3
; WaveLimiterHint : 0
; COMPUTE_PGM_RSRC2:SCRATCH_EN: 1
; COMPUTE_PGM_RSRC2:USER_SGPR: 8
; COMPUTE_PGM_RSRC2:TRAP_HANDLER: 0
; COMPUTE_PGM_RSRC2:TGID_X_EN: 1
; COMPUTE_PGM_RSRC2:TGID_Y_EN: 0
; COMPUTE_PGM_RSRC2:TGID_Z_EN: 1
; COMPUTE_PGM_RSRC2:TIDIG_COMP_CNT: 0
; COMPUTE_PGM_RSRC3_GFX90A:ACCUM_OFFSET: 6
; COMPUTE_PGM_RSRC3_GFX90A:TG_SPLIT: 0
	.section	.text._ZL38rocblas_trsm_small_left_device_sharedBILi20ELi20ELb1E19rocblas_complex_numIdES1_PKS1_PS1_Ev13rocblas_fill_18rocblas_operation_17rocblas_diagonal_iiT3_T4_lilT5_lili,"axG",@progbits,_ZL38rocblas_trsm_small_left_device_sharedBILi20ELi20ELb1E19rocblas_complex_numIdES1_PKS1_PS1_Ev13rocblas_fill_18rocblas_operation_17rocblas_diagonal_iiT3_T4_lilT5_lili,comdat
	.globl	_ZL38rocblas_trsm_small_left_device_sharedBILi20ELi20ELb1E19rocblas_complex_numIdES1_PKS1_PS1_Ev13rocblas_fill_18rocblas_operation_17rocblas_diagonal_iiT3_T4_lilT5_lili ; -- Begin function _ZL38rocblas_trsm_small_left_device_sharedBILi20ELi20ELb1E19rocblas_complex_numIdES1_PKS1_PS1_Ev13rocblas_fill_18rocblas_operation_17rocblas_diagonal_iiT3_T4_lilT5_lili
	.p2align	8
	.type	_ZL38rocblas_trsm_small_left_device_sharedBILi20ELi20ELb1E19rocblas_complex_numIdES1_PKS1_PS1_Ev13rocblas_fill_18rocblas_operation_17rocblas_diagonal_iiT3_T4_lilT5_lili,@function
_ZL38rocblas_trsm_small_left_device_sharedBILi20ELi20ELb1E19rocblas_complex_numIdES1_PKS1_PS1_Ev13rocblas_fill_18rocblas_operation_17rocblas_diagonal_iiT3_T4_lilT5_lili: ; @_ZL38rocblas_trsm_small_left_device_sharedBILi20ELi20ELb1E19rocblas_complex_numIdES1_PKS1_PS1_Ev13rocblas_fill_18rocblas_operation_17rocblas_diagonal_iiT3_T4_lilT5_lili
; %bb.0:
	s_add_u32 s0, s0, s10
	s_load_dwordx4 s[24:27], s[4:5], 0x4
	s_load_dwordx8 s[12:19], s[4:5], 0x18
	s_load_dwordx4 s[20:23], s[4:5], 0x40
	s_load_dwordx2 s[10:11], s[4:5], 0x50
	s_load_dword s39, s[4:5], 0x70
	s_addc_u32 s1, s1, 0
	s_waitcnt lgkmcnt(0)
	s_min_i32 s33, s26, 20
	s_mov_b32 s40, 0
	s_add_i32 s38, s33, -1
	v_cmp_gt_i32_e32 vcc, s33, v0
	s_and_saveexec_b64 s[28:29], vcc
	s_cbranch_execz .LBB221_15
; %bb.1:
	s_load_dword s30, s[4:5], 0x38
	s_mul_i32 s41, s21, s9
	s_mul_hi_u32 s42, s20, s9
	s_mul_i32 s20, s20, s9
	s_waitcnt lgkmcnt(0)
	s_ashr_i32 s31, s30, 31
	s_cmpk_eq_i32 s24, 0x71
	s_cselect_b64 vcc, -1, 0
	s_cmp_lt_u32 s38, 3
	s_cbranch_scc1 .LBB221_4
; %bb.2:
	s_add_i32 s21, s42, s41
	s_and_b32 s40, s33, -4
	s_lshl_b64 s[6:7], s[20:21], 4
	s_lshl_b64 s[34:35], s[18:19], 4
	s_add_u32 s6, s6, s34
	s_addc_u32 s7, s7, s35
	s_add_u32 s6, s16, s6
	v_lshlrev_b32_e32 v2, 4, v0
	s_addc_u32 s7, s17, s7
	v_mov_b32_e32 v3, s7
	v_add_co_u32_e64 v2, s[6:7], s6, v2
	v_addc_co_u32_e64 v3, s[6:7], 0, v3, s[6:7]
	v_add_co_u32_e64 v2, s[6:7], 8, v2
	s_lshl_b64 s[34:35], s[30:31], 6
	s_lshl_b64 s[36:37], s[30:31], 4
	v_lshlrev_b32_e32 v1, 4, v0
	v_addc_co_u32_e64 v3, s[6:7], 0, v3, s[6:7]
	s_mov_b32 s21, 0
	v_mov_b32_e32 v4, s37
	v_mov_b32_e32 v5, s35
.LBB221_3:                              ; =>This Inner Loop Header: Depth=1
	v_add_co_u32_e64 v18, s[6:7], s36, v2
	v_addc_co_u32_e64 v19, s[6:7], v3, v4, s[6:7]
	v_add_co_u32_e64 v20, s[6:7], s36, v18
	global_load_dwordx4 v[6:9], v[2:3], off offset:-8
	v_addc_co_u32_e64 v21, s[6:7], v19, v4, s[6:7]
	global_load_dwordx4 v[10:13], v[18:19], off offset:-8
	global_load_dwordx4 v[14:17], v[20:21], off offset:-8
	v_add_co_u32_e64 v18, s[6:7], s36, v20
	v_addc_co_u32_e64 v19, s[6:7], v21, v4, s[6:7]
	global_load_dwordx4 v[18:21], v[18:19], off offset:-8
	s_add_i32 s21, s21, 4
	v_add_co_u32_e64 v2, s[6:7], s34, v2
	s_cmp_eq_u32 s40, s21
	v_addc_co_u32_e64 v3, s[6:7], v3, v5, s[6:7]
	s_waitcnt vmcnt(3)
	v_xor_b32_e32 v22, 0x80000000, v9
	v_cndmask_b32_e32 v9, v9, v22, vcc
	ds_write_b128 v1, v[6:9]
	s_waitcnt vmcnt(1)
	v_xor_b32_e32 v6, 0x80000000, v17
	v_xor_b32_e32 v22, 0x80000000, v13
	v_cndmask_b32_e32 v17, v17, v6, vcc
	v_cndmask_b32_e32 v13, v13, v22, vcc
	ds_write_b128 v1, v[10:13] offset:320
	s_waitcnt vmcnt(0)
	v_xor_b32_e32 v6, 0x80000000, v21
	v_cndmask_b32_e32 v21, v21, v6, vcc
	ds_write_b128 v1, v[14:17] offset:640
	ds_write_b128 v1, v[18:21] offset:960
	v_add_u32_e32 v1, 0x500, v1
	s_cbranch_scc0 .LBB221_3
.LBB221_4:
	s_and_b32 s34, s33, 3
	s_cmp_eq_u32 s34, 0
	s_cbranch_scc1 .LBB221_7
; %bb.5:
	s_mul_i32 s6, s40, 0x140
	s_add_i32 s21, s42, s41
	v_lshl_add_u32 v1, v0, 4, s6
	s_lshl_b64 s[6:7], s[20:21], 4
	s_mul_i32 s20, s31, s40
	s_mul_hi_u32 s21, s30, s40
	s_add_i32 s21, s21, s20
	s_mul_i32 s20, s30, s40
	s_lshl_b64 s[20:21], s[20:21], 4
	s_add_u32 s20, s6, s20
	s_addc_u32 s21, s7, s21
	s_lshl_b64 s[6:7], s[18:19], 4
	s_add_u32 s6, s20, s6
	s_addc_u32 s7, s21, s7
	s_add_u32 s6, s16, s6
	v_lshlrev_b32_e32 v2, 4, v0
	s_addc_u32 s7, s17, s7
	v_mov_b32_e32 v3, s7
	v_add_co_u32_e64 v2, s[6:7], s6, v2
	v_addc_co_u32_e64 v3, s[6:7], 0, v3, s[6:7]
	v_add_co_u32_e64 v2, s[6:7], 8, v2
	s_lshl_b64 s[16:17], s[30:31], 4
	v_addc_co_u32_e64 v3, s[6:7], 0, v3, s[6:7]
	v_mov_b32_e32 v4, s17
.LBB221_6:                              ; =>This Inner Loop Header: Depth=1
	global_load_dwordx4 v[6:9], v[2:3], off offset:-8
	v_add_co_u32_e64 v2, s[6:7], s16, v2
	s_add_i32 s34, s34, -1
	v_addc_co_u32_e64 v3, s[6:7], v3, v4, s[6:7]
	s_cmp_lg_u32 s34, 0
	s_waitcnt vmcnt(0)
	v_xor_b32_e32 v5, 0x80000000, v9
	v_cndmask_b32_e32 v9, v9, v5, vcc
	ds_write_b128 v1, v[6:9]
	v_add_u32_e32 v1, 0x140, v1
	s_cbranch_scc1 .LBB221_6
.LBB221_7:
	v_mul_u32_u24_e32 v1, 21, v0
	s_cmpk_lg_i32 s25, 0x84
	v_lshlrev_b32_e32 v1, 4, v1
	s_cbranch_scc0 .LBB221_13
; %bb.8:
	ds_read_b128 v[2:5], v1
	s_waitcnt lgkmcnt(0)
	v_xor_b32_e32 v7, 0x80000000, v3
	v_cmp_gt_f64_e32 vcc, 0, v[2:3]
	v_xor_b32_e32 v8, 0x80000000, v5
	v_cndmask_b32_e32 v7, v3, v7, vcc
	v_cmp_gt_f64_e32 vcc, 0, v[4:5]
	v_mov_b32_e32 v6, v2
	v_cndmask_b32_e32 v9, v5, v8, vcc
	v_mov_b32_e32 v8, v4
	v_cmp_ngt_f64_e32 vcc, v[6:7], v[8:9]
                                        ; implicit-def: $vgpr8_vgpr9
	s_and_saveexec_b64 s[6:7], vcc
	s_xor_b64 s[6:7], exec, s[6:7]
	s_cbranch_execz .LBB221_10
; %bb.9:
	v_div_scale_f64 v[6:7], s[16:17], v[4:5], v[4:5], v[2:3]
	v_rcp_f64_e32 v[8:9], v[6:7]
	v_div_scale_f64 v[10:11], vcc, v[2:3], v[4:5], v[2:3]
	v_fma_f64 v[12:13], -v[6:7], v[8:9], 1.0
	v_fmac_f64_e32 v[8:9], v[8:9], v[12:13]
	v_fma_f64 v[12:13], -v[6:7], v[8:9], 1.0
	v_fmac_f64_e32 v[8:9], v[8:9], v[12:13]
	v_mul_f64 v[12:13], v[10:11], v[8:9]
	v_fma_f64 v[6:7], -v[6:7], v[12:13], v[10:11]
	v_div_fmas_f64 v[6:7], v[6:7], v[8:9], v[12:13]
	v_div_fixup_f64 v[8:9], v[6:7], v[4:5], v[2:3]
	v_fmac_f64_e32 v[4:5], v[2:3], v[8:9]
	v_div_scale_f64 v[2:3], s[16:17], v[4:5], v[4:5], 1.0
	v_rcp_f64_e32 v[6:7], v[2:3]
	v_fma_f64 v[10:11], -v[2:3], v[6:7], 1.0
	v_fmac_f64_e32 v[6:7], v[6:7], v[10:11]
	v_fma_f64 v[10:11], -v[2:3], v[6:7], 1.0
	v_fmac_f64_e32 v[6:7], v[6:7], v[10:11]
	v_div_scale_f64 v[10:11], vcc, 1.0, v[4:5], 1.0
	v_mul_f64 v[12:13], v[10:11], v[6:7]
	v_fma_f64 v[2:3], -v[2:3], v[12:13], v[10:11]
	s_nop 1
	v_div_fmas_f64 v[2:3], v[2:3], v[6:7], v[12:13]
	v_div_fixup_f64 v[2:3], v[2:3], v[4:5], 1.0
	v_add_f64 v[4:5], v[8:9], 0
	v_mul_f64 v[6:7], v[4:5], v[2:3]
	v_fma_f64 v[4:5], v[8:9], 0, -1.0
	v_mul_f64 v[8:9], v[4:5], v[2:3]
                                        ; implicit-def: $vgpr2_vgpr3
.LBB221_10:
	s_andn2_saveexec_b64 s[6:7], s[6:7]
	s_cbranch_execz .LBB221_12
; %bb.11:
	v_div_scale_f64 v[6:7], s[16:17], v[2:3], v[2:3], v[4:5]
	v_rcp_f64_e32 v[8:9], v[6:7]
	v_div_scale_f64 v[10:11], vcc, v[4:5], v[2:3], v[4:5]
	v_fma_f64 v[12:13], -v[6:7], v[8:9], 1.0
	v_fmac_f64_e32 v[8:9], v[8:9], v[12:13]
	v_fma_f64 v[12:13], -v[6:7], v[8:9], 1.0
	v_fmac_f64_e32 v[8:9], v[8:9], v[12:13]
	v_mul_f64 v[12:13], v[10:11], v[8:9]
	v_fma_f64 v[6:7], -v[6:7], v[12:13], v[10:11]
	v_div_fmas_f64 v[6:7], v[6:7], v[8:9], v[12:13]
	v_div_fixup_f64 v[8:9], v[6:7], v[2:3], v[4:5]
	v_fmac_f64_e32 v[2:3], v[4:5], v[8:9]
	v_div_scale_f64 v[4:5], s[16:17], v[2:3], v[2:3], 1.0
	v_rcp_f64_e32 v[6:7], v[4:5]
	v_fma_f64 v[10:11], -v[4:5], v[6:7], 1.0
	v_fmac_f64_e32 v[6:7], v[6:7], v[10:11]
	v_fma_f64 v[10:11], -v[4:5], v[6:7], 1.0
	v_fmac_f64_e32 v[6:7], v[6:7], v[10:11]
	v_div_scale_f64 v[10:11], vcc, 1.0, v[2:3], 1.0
	v_mul_f64 v[12:13], v[10:11], v[6:7]
	v_fma_f64 v[4:5], -v[4:5], v[12:13], v[10:11]
	s_nop 1
	v_div_fmas_f64 v[4:5], v[4:5], v[6:7], v[12:13]
	v_div_fixup_f64 v[2:3], v[4:5], v[2:3], 1.0
	v_fma_f64 v[4:5], v[8:9], 0, 1.0
	v_mul_f64 v[6:7], v[4:5], v[2:3]
	v_add_f64 v[4:5], -v[8:9], 0
	v_mul_f64 v[8:9], v[4:5], v[2:3]
.LBB221_12:
	s_or_b64 exec, exec, s[6:7]
	s_branch .LBB221_14
.LBB221_13:
	v_mov_b32_e32 v6, 0
	v_mov_b32_e32 v7, 0x3ff00000
	v_pk_mov_b32 v[8:9], 0, 0
.LBB221_14:
	ds_write_b128 v1, v[6:9]
.LBB221_15:
	s_or_b64 exec, exec, s[28:29]
	s_load_dword s25, s[4:5], 0x58
	s_load_dwordx2 s[6:7], s[4:5], 0x60
	s_waitcnt lgkmcnt(0)
	s_ashr_i32 s28, s25, 31
	s_mul_i32 s5, s9, s7
	s_mul_hi_u32 s7, s9, s6
	s_mul_i32 s4, s9, s6
	s_add_i32 s5, s7, s5
	s_lshl_b64 s[4:5], s[4:5], 4
	s_add_u32 s9, s22, s4
	s_addc_u32 s16, s23, s5
	s_lshl_b64 s[6:7], s[10:11], 4
	s_add_u32 s17, s9, s6
	s_mul_i32 s9, s8, 0xffffffec
	s_addc_u32 s16, s16, s7
	s_add_i32 s39, s39, -1
	s_add_i32 s9, s9, s27
	s_cmp_ge_u32 s8, s39
	s_mul_i32 s8, s8, 20
	s_mul_hi_i32 s11, s25, s8
	s_mul_i32 s10, s25, s8
	s_cselect_b32 s18, s9, 20
	s_ashr_i32 s9, s8, 31
	s_lshl_b64 s[10:11], s[10:11], 4
	s_add_u32 s27, s17, s10
	s_addc_u32 s29, s16, s11
	s_cmp_gt_i32 s26, 0
	v_cmp_gt_i32_e32 vcc, s18, v0
	s_cselect_b64 s[10:11], -1, 0
	s_mov_b32 s18, 0
	s_and_b64 s[10:11], vcc, s[10:11]
	s_and_saveexec_b64 s[16:17], s[10:11]
	s_cbranch_execz .LBB221_22
; %bb.16:
	s_cmp_lt_i32 s26, 8
	s_cbranch_scc1 .LBB221_19
; %bb.17:
	v_mad_i64_i32 v[2:3], s[18:19], s25, v0, 0
	v_lshlrev_b64 v[2:3], 4, v[2:3]
	v_mov_b32_e32 v4, s29
	v_add_co_u32_e32 v1, vcc, s27, v2
	v_addc_co_u32_e32 v2, vcc, v4, v3, vcc
	v_mov_b32_e32 v3, 0x1900
	s_lshl_b32 s18, s33, 4
	v_lshl_add_u32 v3, v0, 4, v3
	s_and_b32 s19, s18, 0x180
	s_mov_b32 s18, 0
	s_mov_b64 s[20:21], 0
.LBB221_18:                             ; =>This Inner Loop Header: Depth=1
	v_mov_b32_e32 v4, s21
	v_add_co_u32_e32 v36, vcc, s20, v1
	v_addc_co_u32_e32 v37, vcc, v2, v4, vcc
	global_load_dwordx4 v[4:7], v[36:37], off
	global_load_dwordx4 v[8:11], v[36:37], off offset:16
	global_load_dwordx4 v[12:15], v[36:37], off offset:32
	;; [unrolled: 1-line block ×7, first 2 shown]
	s_add_i32 s18, s18, 8
	s_add_u32 s20, s20, 0x80
	s_addc_u32 s21, s21, 0
	s_cmp_lg_u32 s19, s20
	s_waitcnt vmcnt(7)
	v_mul_f64 v[38:39], s[14:15], v[6:7]
	v_mul_f64 v[36:37], s[12:13], v[6:7]
	s_waitcnt vmcnt(6)
	v_mul_f64 v[40:41], s[14:15], v[10:11]
	v_mul_f64 v[6:7], s[12:13], v[10:11]
	;; [unrolled: 3-line block ×8, first 2 shown]
	v_fma_f64 v[34:35], s[12:13], v[4:5], -v[38:39]
	v_fmac_f64_e32 v[36:37], s[14:15], v[4:5]
	v_fma_f64 v[4:5], s[12:13], v[8:9], -v[40:41]
	v_fmac_f64_e32 v[6:7], s[14:15], v[8:9]
	v_fma_f64 v[8:9], s[12:13], v[12:13], -v[42:43]
	v_fmac_f64_e32 v[10:11], s[14:15], v[12:13]
	v_fma_f64 v[12:13], s[12:13], v[16:17], -v[44:45]
	v_fmac_f64_e32 v[14:15], s[14:15], v[16:17]
	v_fma_f64 v[16:17], s[12:13], v[20:21], -v[46:47]
	v_fmac_f64_e32 v[18:19], s[14:15], v[20:21]
	v_fma_f64 v[20:21], s[12:13], v[24:25], -v[48:49]
	v_fmac_f64_e32 v[22:23], s[14:15], v[24:25]
	v_fma_f64 v[24:25], s[12:13], v[28:29], -v[50:51]
	v_fmac_f64_e32 v[26:27], s[14:15], v[28:29]
	v_fma_f64 v[28:29], s[12:13], v[32:33], -v[52:53]
	v_fmac_f64_e32 v[30:31], s[14:15], v[32:33]
	ds_write_b128 v3, v[34:37]
	ds_write_b128 v3, v[4:7] offset:320
	ds_write_b128 v3, v[8:11] offset:640
	;; [unrolled: 1-line block ×7, first 2 shown]
	v_add_u32_e32 v3, 0xa00, v3
	s_cbranch_scc1 .LBB221_18
.LBB221_19:
	s_and_b32 s20, s33, 7
	s_cmp_eq_u32 s20, 0
	s_mov_b32 s19, 0
	s_cbranch_scc1 .LBB221_22
; %bb.20:
	s_mul_i32 s21, s18, 0x140
	s_lshl_b64 s[30:31], s[8:9], 4
	s_lshl_b64 s[18:19], s[18:19], 4
	s_add_u32 s18, s22, s18
	s_addc_u32 s19, s23, s19
	s_add_u32 s18, s18, s6
	s_addc_u32 s19, s19, s7
	v_lshlrev_b32_e32 v2, 4, v0
	s_add_u32 s18, s18, s4
	v_mov_b32_e32 v3, s31
	v_add_co_u32_e32 v4, vcc, s30, v2
	s_addc_u32 s19, s19, s5
	v_addc_co_u32_e32 v5, vcc, 0, v3, vcc
	v_pk_mov_b32 v[2:3], s[18:19], s[18:19] op_sel:[0,1]
	v_mad_u64_u32 v[2:3], s[18:19], v4, s25, v[2:3]
	v_mul_lo_u32 v4, v4, s28
	v_mul_lo_u32 v5, v5, s25
	v_lshl_add_u32 v1, v0, 4, s21
	v_add3_u32 v3, v5, v3, v4
	v_add_co_u32_e32 v2, vcc, 8, v2
	v_add_u32_e32 v1, 0x1900, v1
	v_addc_co_u32_e32 v3, vcc, 0, v3, vcc
.LBB221_21:                             ; =>This Inner Loop Header: Depth=1
	global_load_dwordx4 v[4:7], v[2:3], off offset:-8
	v_add_co_u32_e32 v2, vcc, 16, v2
	s_add_i32 s20, s20, -1
	v_addc_co_u32_e32 v3, vcc, 0, v3, vcc
	s_cmp_lg_u32 s20, 0
	s_waitcnt vmcnt(0)
	v_mul_f64 v[10:11], s[14:15], v[6:7]
	v_mul_f64 v[8:9], s[12:13], v[6:7]
	v_fma_f64 v[6:7], s[12:13], v[4:5], -v[10:11]
	v_fmac_f64_e32 v[8:9], s[14:15], v[4:5]
	ds_write_b128 v1, v[6:9]
	v_add_u32_e32 v1, 0x140, v1
	s_cbranch_scc1 .LBB221_21
.LBB221_22:
	s_or_b64 exec, exec, s[16:17]
	s_cmpk_eq_i32 s24, 0x6f
	s_mov_b64 s[12:13], -1
	s_waitcnt lgkmcnt(0)
	; wave barrier
	s_waitcnt lgkmcnt(0)
	s_cbranch_scc1 .LBB221_43
; %bb.23:
	v_mov_b32_e32 v1, 0x1900
	s_lshl_b32 s16, s33, 4
	s_mov_b32 s13, 0
	v_lshl_add_u32 v1, v0, 4, v1
	s_add_i32 s16, s16, -16
	v_mov_b32_e32 v6, 0
	s_mov_b32 s12, s13
	s_mov_b32 s17, s38
	s_branch .LBB221_25
.LBB221_24:                             ;   in Loop: Header=BB221_25 Depth=1
	s_cmp_lt_i32 s17, 0
	s_cselect_b64 s[14:15], -1, 0
	s_add_i32 s12, s12, 1
	s_cmp_eq_u32 s12, 3
	s_cselect_b64 s[18:19], -1, 0
	s_or_b64 s[14:15], s[14:15], s[18:19]
	s_andn2_b64 vcc, exec, s[14:15]
	s_cbranch_vccz .LBB221_42
.LBB221_25:                             ; =>This Loop Header: Depth=1
                                        ;     Child Loop BB221_28 Depth 2
                                        ;       Child Loop BB221_29 Depth 3
                                        ;       Child Loop BB221_31 Depth 3
                                        ;         Child Loop BB221_32 Depth 4
                                        ;       Child Loop BB221_36 Depth 3
                                        ;         Child Loop BB221_38 Depth 4
	s_lshl_b64 s[14:15], s[12:13], 2
	s_getpc_b64 s[18:19]
	s_add_u32 s18, s18, __const._ZL38rocblas_trsm_small_left_device_sharedBILi20ELi20ELb1E19rocblas_complex_numIdES1_PKS1_PS1_Ev13rocblas_fill_18rocblas_operation_17rocblas_diagonal_iiT3_T4_lilT5_lili.step_sizes@rel32@lo+4
	s_addc_u32 s19, s19, __const._ZL38rocblas_trsm_small_left_device_sharedBILi20ELi20ELb1E19rocblas_complex_numIdES1_PKS1_PS1_Ev13rocblas_fill_18rocblas_operation_17rocblas_diagonal_iiT3_T4_lilT5_lili.step_sizes@rel32@hi+12
	s_add_u32 s14, s14, s18
	s_addc_u32 s15, s15, s19
	s_load_dword s18, s[14:15], 0x0
	s_waitcnt lgkmcnt(0)
	s_add_i32 s19, s18, -1
	s_cmp_lt_i32 s17, s19
	s_cbranch_scc1 .LBB221_24
; %bb.26:                               ;   in Loop: Header=BB221_25 Depth=1
	s_mul_i32 s14, s17, 0x140
	s_max_i32 s20, s18, 1
	v_add_u32_e32 v7, s14, v1
	s_mul_i32 s21, s18, 0xfffffec0
	s_add_i32 s24, s16, s14
	s_mul_i32 s30, s17, 0x150
	s_mul_i32 s31, s18, 0xfffffeb0
	s_branch .LBB221_28
.LBB221_27:                             ;   in Loop: Header=BB221_28 Depth=2
	s_sub_i32 s17, s17, s18
	s_add_i32 s24, s24, s21
	s_add_i32 s30, s30, s31
	s_cmp_lt_i32 s17, s19
	v_add_u32_e32 v7, s21, v7
	s_cbranch_scc1 .LBB221_24
.LBB221_28:                             ;   Parent Loop BB221_25 Depth=1
                                        ; =>  This Loop Header: Depth=2
                                        ;       Child Loop BB221_29 Depth 3
                                        ;       Child Loop BB221_31 Depth 3
                                        ;         Child Loop BB221_32 Depth 4
                                        ;       Child Loop BB221_36 Depth 3
                                        ;         Child Loop BB221_38 Depth 4
	v_mov_b32_e32 v2, 0
	v_mov_b32_e32 v3, v7
	s_mov_b32 s14, s20
.LBB221_29:                             ;   Parent Loop BB221_25 Depth=1
                                        ;     Parent Loop BB221_28 Depth=2
                                        ; =>    This Inner Loop Header: Depth=3
	ds_read_b128 v[8:11], v3
	s_add_i32 s14, s14, -1
	v_add_u32_e32 v3, 0xfffffec0, v3
	s_cmp_eq_u32 s14, 0
	s_waitcnt lgkmcnt(0)
	buffer_store_dword v11, v2, s[0:3], 0 offen offset:12
	buffer_store_dword v10, v2, s[0:3], 0 offen offset:8
	;; [unrolled: 1-line block ×3, first 2 shown]
	buffer_store_dword v8, v2, s[0:3], 0 offen
	v_add_u32_e32 v2, 16, v2
	s_cbranch_scc0 .LBB221_29
; %bb.30:                               ;   in Loop: Header=BB221_28 Depth=2
	s_cmp_le_i32 s38, s17
	s_mov_b32 s14, s24
	s_mov_b32 s15, s38
	s_cbranch_scc1 .LBB221_34
.LBB221_31:                             ;   Parent Loop BB221_25 Depth=1
                                        ;     Parent Loop BB221_28 Depth=2
                                        ; =>    This Loop Header: Depth=3
                                        ;         Child Loop BB221_32 Depth 4
	s_mul_i32 s34, s15, 20
	v_add_lshl_u32 v2, s34, v0, 4
	ds_read_b128 v[2:5], v2 offset:6400
	v_mov_b32_e32 v8, 0
	s_mov_b32 s34, s14
	s_mov_b32 s35, s20
.LBB221_32:                             ;   Parent Loop BB221_25 Depth=1
                                        ;     Parent Loop BB221_28 Depth=2
                                        ;       Parent Loop BB221_31 Depth=3
                                        ; =>      This Inner Loop Header: Depth=4
	buffer_load_dword v14, v8, s[0:3], 0 offen
	buffer_load_dword v15, v8, s[0:3], 0 offen offset:4
	buffer_load_dword v16, v8, s[0:3], 0 offen offset:8
	;; [unrolled: 1-line block ×3, first 2 shown]
	v_mov_b32_e32 v9, s34
	ds_read_b128 v[10:13], v9
	s_add_i32 s35, s35, -1
	s_addk_i32 s34, 0xfec0
	s_cmp_eq_u32 s35, 0
	s_waitcnt lgkmcnt(0)
	v_mul_f64 v[18:19], v[4:5], v[12:13]
	v_mul_f64 v[12:13], v[2:3], v[12:13]
	v_fma_f64 v[18:19], v[2:3], v[10:11], -v[18:19]
	v_fmac_f64_e32 v[12:13], v[4:5], v[10:11]
	s_waitcnt vmcnt(2)
	v_add_f64 v[10:11], v[14:15], -v[18:19]
	s_waitcnt vmcnt(0)
	v_add_f64 v[12:13], v[16:17], -v[12:13]
	buffer_store_dword v10, v8, s[0:3], 0 offen
	buffer_store_dword v11, v8, s[0:3], 0 offen offset:4
	buffer_store_dword v12, v8, s[0:3], 0 offen offset:8
	;; [unrolled: 1-line block ×3, first 2 shown]
	v_add_u32_e32 v8, 16, v8
	s_cbranch_scc0 .LBB221_32
; %bb.33:                               ;   in Loop: Header=BB221_31 Depth=3
	s_add_i32 s15, s15, -1
	s_add_i32 s14, s14, -16
	s_cmp_le_i32 s15, s17
	s_cbranch_scc0 .LBB221_31
.LBB221_34:                             ;   in Loop: Header=BB221_28 Depth=2
	s_mul_i32 s34, s17, 20
	s_mov_b32 s35, 0
	s_mov_b32 s36, s30
	s_branch .LBB221_36
.LBB221_35:                             ;   in Loop: Header=BB221_36 Depth=3
	s_mul_i32 s14, s39, 0x150
	v_mov_b32_e32 v8, s14
	ds_read_b128 v[8:11], v8
	s_lshl_b32 s14, s35, 4
	s_add_i32 s35, s35, 1
	s_addk_i32 s36, 0xfec0
	v_add_u32_e32 v16, s14, v6
	s_waitcnt vmcnt(0) lgkmcnt(0)
	v_mul_f64 v[12:13], v[10:11], v[4:5]
	v_mul_f64 v[14:15], v[8:9], v[4:5]
	v_fma_f64 v[12:13], v[8:9], v[2:3], -v[12:13]
	v_fmac_f64_e32 v[14:15], v[10:11], v[2:3]
	v_add_lshl_u32 v2, s37, v0, 4
	s_cmp_eq_u32 s35, s20
	buffer_store_dword v13, v16, s[0:3], 0 offen offset:4
	buffer_store_dword v12, v16, s[0:3], 0 offen
	buffer_store_dword v15, v16, s[0:3], 0 offen offset:12
	buffer_store_dword v14, v16, s[0:3], 0 offen offset:8
	ds_write_b128 v2, v[12:15] offset:6400
	s_cbranch_scc1 .LBB221_27
.LBB221_36:                             ;   Parent Loop BB221_25 Depth=1
                                        ;     Parent Loop BB221_28 Depth=2
                                        ; =>    This Loop Header: Depth=3
                                        ;         Child Loop BB221_38 Depth 4
	s_cmp_lg_u32 s35, 0
	s_cbranch_scc0 .LBB221_40
; %bb.37:                               ;   in Loop: Header=BB221_36 Depth=3
	s_lshl_b32 s14, s35, 4
	v_add_u32_e32 v8, s14, v6
	buffer_load_dword v2, v8, s[0:3], 0 offen
	buffer_load_dword v3, v8, s[0:3], 0 offen offset:4
	buffer_load_dword v4, v8, s[0:3], 0 offen offset:8
	buffer_load_dword v5, v8, s[0:3], 0 offen offset:12
	s_sub_i32 s39, s17, s35
	s_mul_i32 s37, s39, 20
	v_mov_b32_e32 v9, 0
	s_mov_b32 s14, 0
	s_mov_b32 s15, s36
.LBB221_38:                             ;   Parent Loop BB221_25 Depth=1
                                        ;     Parent Loop BB221_28 Depth=2
                                        ;       Parent Loop BB221_36 Depth=3
                                        ; =>      This Inner Loop Header: Depth=4
	buffer_load_dword v14, v9, s[0:3], 0 offen offset:8
	buffer_load_dword v15, v9, s[0:3], 0 offen offset:12
	buffer_load_dword v16, v9, s[0:3], 0 offen
	buffer_load_dword v17, v9, s[0:3], 0 offen offset:4
	v_mov_b32_e32 v10, s15
	ds_read_b128 v[10:13], v10
	s_add_i32 s14, s14, 1
	s_add_i32 s15, s15, -16
	v_add_u32_e32 v9, 16, v9
	s_cmp_ge_u32 s14, s35
	s_waitcnt vmcnt(2) lgkmcnt(0)
	v_mul_f64 v[18:19], v[12:13], v[14:15]
	v_mul_f64 v[14:15], v[10:11], v[14:15]
	s_waitcnt vmcnt(0)
	v_fma_f64 v[10:11], v[10:11], v[16:17], -v[18:19]
	v_fmac_f64_e32 v[14:15], v[12:13], v[16:17]
	v_add_f64 v[2:3], v[2:3], -v[10:11]
	v_add_f64 v[4:5], v[4:5], -v[14:15]
	buffer_store_dword v2, v8, s[0:3], 0 offen
	buffer_store_dword v3, v8, s[0:3], 0 offen offset:4
	buffer_store_dword v4, v8, s[0:3], 0 offen offset:8
	;; [unrolled: 1-line block ×3, first 2 shown]
	s_cbranch_scc0 .LBB221_38
; %bb.39:                               ;   in Loop: Header=BB221_36 Depth=3
	s_branch .LBB221_35
.LBB221_40:                             ;   in Loop: Header=BB221_36 Depth=3
                                        ; implicit-def: $vgpr2_vgpr3
                                        ; implicit-def: $vgpr4_vgpr5
                                        ; implicit-def: $sgpr39
                                        ; implicit-def: $sgpr37
	s_cbranch_execz .LBB221_35
; %bb.41:                               ;   in Loop: Header=BB221_36 Depth=3
	buffer_load_dword v2, off, s[0:3], 0
	buffer_load_dword v3, off, s[0:3], 0 offset:4
	buffer_load_dword v4, off, s[0:3], 0 offset:8
	;; [unrolled: 1-line block ×3, first 2 shown]
	s_mov_b32 s37, s34
	s_mov_b32 s39, s17
	s_branch .LBB221_35
.LBB221_42:
	s_mov_b64 s[12:13], 0
.LBB221_43:
	s_and_b64 vcc, exec, s[12:13]
	s_cbranch_vccz .LBB221_64
; %bb.44:
	v_mov_b32_e32 v1, 0x1900
	s_mov_b32 s13, 0
	v_lshl_add_u32 v1, v0, 4, v1
	v_mov_b32_e32 v6, 0
	s_mov_b32 s12, s13
	s_mov_b32 s16, s13
	s_branch .LBB221_46
.LBB221_45:                             ;   in Loop: Header=BB221_46 Depth=1
	s_cmp_ge_i32 s16, s33
	s_cselect_b64 s[14:15], -1, 0
	s_add_i32 s12, s12, 1
	s_cmp_eq_u32 s12, 3
	s_cselect_b64 s[18:19], -1, 0
	s_or_b64 s[14:15], s[14:15], s[18:19]
	s_and_b64 vcc, exec, s[14:15]
	s_cbranch_vccnz .LBB221_64
.LBB221_46:                             ; =>This Loop Header: Depth=1
                                        ;     Child Loop BB221_49 Depth 2
                                        ;       Child Loop BB221_50 Depth 3
                                        ;       Child Loop BB221_53 Depth 3
                                        ;         Child Loop BB221_54 Depth 4
                                        ;       Child Loop BB221_58 Depth 3
                                        ;         Child Loop BB221_60 Depth 4
	s_lshl_b64 s[14:15], s[12:13], 2
	s_getpc_b64 s[18:19]
	s_add_u32 s18, s18, __const._ZL38rocblas_trsm_small_left_device_sharedBILi20ELi20ELb1E19rocblas_complex_numIdES1_PKS1_PS1_Ev13rocblas_fill_18rocblas_operation_17rocblas_diagonal_iiT3_T4_lilT5_lili.step_sizes@rel32@lo+4
	s_addc_u32 s19, s19, __const._ZL38rocblas_trsm_small_left_device_sharedBILi20ELi20ELb1E19rocblas_complex_numIdES1_PKS1_PS1_Ev13rocblas_fill_18rocblas_operation_17rocblas_diagonal_iiT3_T4_lilT5_lili.step_sizes@rel32@hi+12
	s_add_u32 s14, s14, s18
	s_addc_u32 s15, s15, s19
	s_load_dword s17, s[14:15], 0x0
	s_waitcnt lgkmcnt(0)
	s_add_i32 s18, s17, -1
	s_add_i32 s14, s18, s16
	s_cmp_ge_i32 s14, s33
	s_cbranch_scc1 .LBB221_45
; %bb.47:                               ;   in Loop: Header=BB221_46 Depth=1
	s_mul_i32 s14, s16, 0x140
	s_max_i32 s19, s17, 1
	v_add_u32_e32 v7, s14, v1
	s_mul_i32 s20, s17, 0x140
	s_lshl_b32 s21, s16, 4
	s_lshl_b32 s24, s17, 4
	s_mul_i32 s30, s16, 0x150
	s_mul_i32 s31, s17, 0x150
	s_branch .LBB221_49
.LBB221_48:                             ;   in Loop: Header=BB221_49 Depth=2
	s_add_i32 s16, s16, s17
	s_add_i32 s14, s18, s16
	;; [unrolled: 1-line block ×4, first 2 shown]
	s_cmp_ge_i32 s14, s33
	v_add_u32_e32 v7, s20, v7
	s_cbranch_scc1 .LBB221_45
.LBB221_49:                             ;   Parent Loop BB221_46 Depth=1
                                        ; =>  This Loop Header: Depth=2
                                        ;       Child Loop BB221_50 Depth 3
                                        ;       Child Loop BB221_53 Depth 3
                                        ;         Child Loop BB221_54 Depth 4
                                        ;       Child Loop BB221_58 Depth 3
                                        ;         Child Loop BB221_60 Depth 4
	v_mov_b32_e32 v2, 0
	v_mov_b32_e32 v3, v7
	s_mov_b32 s14, s19
.LBB221_50:                             ;   Parent Loop BB221_46 Depth=1
                                        ;     Parent Loop BB221_49 Depth=2
                                        ; =>    This Inner Loop Header: Depth=3
	ds_read_b128 v[8:11], v3
	s_add_i32 s14, s14, -1
	v_add_u32_e32 v3, 0x140, v3
	s_cmp_eq_u32 s14, 0
	s_waitcnt lgkmcnt(0)
	buffer_store_dword v11, v2, s[0:3], 0 offen offset:12
	buffer_store_dword v10, v2, s[0:3], 0 offen offset:8
	;; [unrolled: 1-line block ×3, first 2 shown]
	buffer_store_dword v8, v2, s[0:3], 0 offen
	v_add_u32_e32 v2, 16, v2
	s_cbranch_scc0 .LBB221_50
; %bb.51:                               ;   in Loop: Header=BB221_49 Depth=2
	s_cmp_lt_i32 s16, 1
	s_cbranch_scc1 .LBB221_56
; %bb.52:                               ;   in Loop: Header=BB221_49 Depth=2
	s_mov_b32 s14, 0
	s_mov_b32 s15, s21
.LBB221_53:                             ;   Parent Loop BB221_46 Depth=1
                                        ;     Parent Loop BB221_49 Depth=2
                                        ; =>    This Loop Header: Depth=3
                                        ;         Child Loop BB221_54 Depth 4
	s_mul_i32 s34, s14, 20
	v_add_lshl_u32 v2, s34, v0, 4
	ds_read_b128 v[2:5], v2 offset:6400
	v_mov_b32_e32 v8, 0
	s_mov_b32 s34, s15
	s_mov_b32 s35, s19
.LBB221_54:                             ;   Parent Loop BB221_46 Depth=1
                                        ;     Parent Loop BB221_49 Depth=2
                                        ;       Parent Loop BB221_53 Depth=3
                                        ; =>      This Inner Loop Header: Depth=4
	buffer_load_dword v14, v8, s[0:3], 0 offen
	buffer_load_dword v15, v8, s[0:3], 0 offen offset:4
	buffer_load_dword v16, v8, s[0:3], 0 offen offset:8
	;; [unrolled: 1-line block ×3, first 2 shown]
	v_mov_b32_e32 v9, s34
	ds_read_b128 v[10:13], v9
	s_add_i32 s35, s35, -1
	s_add_i32 s34, s34, 16
	s_cmp_eq_u32 s35, 0
	s_waitcnt lgkmcnt(0)
	v_mul_f64 v[18:19], v[4:5], v[12:13]
	v_mul_f64 v[12:13], v[2:3], v[12:13]
	v_fma_f64 v[18:19], v[2:3], v[10:11], -v[18:19]
	v_fmac_f64_e32 v[12:13], v[4:5], v[10:11]
	s_waitcnt vmcnt(2)
	v_add_f64 v[10:11], v[14:15], -v[18:19]
	s_waitcnt vmcnt(0)
	v_add_f64 v[12:13], v[16:17], -v[12:13]
	buffer_store_dword v10, v8, s[0:3], 0 offen
	buffer_store_dword v11, v8, s[0:3], 0 offen offset:4
	buffer_store_dword v12, v8, s[0:3], 0 offen offset:8
	;; [unrolled: 1-line block ×3, first 2 shown]
	v_add_u32_e32 v8, 16, v8
	s_cbranch_scc0 .LBB221_54
; %bb.55:                               ;   in Loop: Header=BB221_53 Depth=3
	s_add_i32 s14, s14, 1
	s_addk_i32 s15, 0x140
	s_cmp_ge_i32 s14, s16
	s_cbranch_scc0 .LBB221_53
.LBB221_56:                             ;   in Loop: Header=BB221_49 Depth=2
	s_mov_b32 s34, 0
	s_mov_b32 s35, s30
	s_branch .LBB221_58
.LBB221_57:                             ;   in Loop: Header=BB221_58 Depth=3
	s_mul_i32 s14, s36, 0x150
	v_mov_b32_e32 v8, s14
	ds_read_b128 v[8:11], v8
	s_mul_i32 s14, s36, 20
	s_lshl_b32 s15, s34, 4
	s_add_i32 s34, s34, 1
	s_add_i32 s35, s35, 16
	s_waitcnt vmcnt(0) lgkmcnt(0)
	v_mul_f64 v[12:13], v[10:11], v[4:5]
	v_mul_f64 v[14:15], v[8:9], v[4:5]
	v_add_u32_e32 v16, s15, v6
	v_fma_f64 v[12:13], v[8:9], v[2:3], -v[12:13]
	v_fmac_f64_e32 v[14:15], v[10:11], v[2:3]
	v_add_lshl_u32 v2, s14, v0, 4
	s_cmp_eq_u32 s34, s19
	buffer_store_dword v13, v16, s[0:3], 0 offen offset:4
	buffer_store_dword v12, v16, s[0:3], 0 offen
	buffer_store_dword v15, v16, s[0:3], 0 offen offset:12
	buffer_store_dword v14, v16, s[0:3], 0 offen offset:8
	ds_write_b128 v2, v[12:15] offset:6400
	s_cbranch_scc1 .LBB221_48
.LBB221_58:                             ;   Parent Loop BB221_46 Depth=1
                                        ;     Parent Loop BB221_49 Depth=2
                                        ; =>    This Loop Header: Depth=3
                                        ;         Child Loop BB221_60 Depth 4
	s_cmp_lg_u32 s34, 0
	s_cbranch_scc0 .LBB221_62
; %bb.59:                               ;   in Loop: Header=BB221_58 Depth=3
	s_lshl_b32 s14, s34, 4
	v_add_u32_e32 v8, s14, v6
	buffer_load_dword v2, v8, s[0:3], 0 offen
	buffer_load_dword v3, v8, s[0:3], 0 offen offset:4
	buffer_load_dword v4, v8, s[0:3], 0 offen offset:8
	;; [unrolled: 1-line block ×3, first 2 shown]
	s_add_i32 s36, s34, s16
	v_mov_b32_e32 v9, 0
	s_mov_b32 s14, 0
	s_mov_b32 s15, s35
.LBB221_60:                             ;   Parent Loop BB221_46 Depth=1
                                        ;     Parent Loop BB221_49 Depth=2
                                        ;       Parent Loop BB221_58 Depth=3
                                        ; =>      This Inner Loop Header: Depth=4
	buffer_load_dword v14, v9, s[0:3], 0 offen offset:8
	buffer_load_dword v15, v9, s[0:3], 0 offen offset:12
	buffer_load_dword v16, v9, s[0:3], 0 offen
	buffer_load_dword v17, v9, s[0:3], 0 offen offset:4
	v_mov_b32_e32 v10, s15
	ds_read_b128 v[10:13], v10
	s_add_i32 s14, s14, 1
	s_addk_i32 s15, 0x140
	v_add_u32_e32 v9, 16, v9
	s_cmp_ge_u32 s14, s34
	s_waitcnt vmcnt(2) lgkmcnt(0)
	v_mul_f64 v[18:19], v[12:13], v[14:15]
	v_mul_f64 v[14:15], v[10:11], v[14:15]
	s_waitcnt vmcnt(0)
	v_fma_f64 v[10:11], v[10:11], v[16:17], -v[18:19]
	v_fmac_f64_e32 v[14:15], v[12:13], v[16:17]
	v_add_f64 v[2:3], v[2:3], -v[10:11]
	v_add_f64 v[4:5], v[4:5], -v[14:15]
	buffer_store_dword v2, v8, s[0:3], 0 offen
	buffer_store_dword v3, v8, s[0:3], 0 offen offset:4
	buffer_store_dword v4, v8, s[0:3], 0 offen offset:8
	;; [unrolled: 1-line block ×3, first 2 shown]
	s_cbranch_scc0 .LBB221_60
; %bb.61:                               ;   in Loop: Header=BB221_58 Depth=3
	s_branch .LBB221_57
.LBB221_62:                             ;   in Loop: Header=BB221_58 Depth=3
                                        ; implicit-def: $vgpr2_vgpr3
                                        ; implicit-def: $vgpr4_vgpr5
                                        ; implicit-def: $sgpr36
	s_cbranch_execz .LBB221_57
; %bb.63:                               ;   in Loop: Header=BB221_58 Depth=3
	buffer_load_dword v2, off, s[0:3], 0
	buffer_load_dword v3, off, s[0:3], 0 offset:4
	buffer_load_dword v4, off, s[0:3], 0 offset:8
	;; [unrolled: 1-line block ×3, first 2 shown]
	s_mov_b32 s36, s16
	s_branch .LBB221_57
.LBB221_64:
	s_waitcnt lgkmcnt(0)
	; wave barrier
	s_waitcnt lgkmcnt(0)
	s_and_saveexec_b64 s[12:13], s[10:11]
	s_cbranch_execz .LBB221_71
; %bb.65:
	s_cmp_lt_i32 s26, 8
	s_mov_b32 s10, 0
	s_cbranch_scc1 .LBB221_68
; %bb.66:
	v_mad_i64_i32 v[2:3], s[10:11], s25, v0, 0
	v_lshlrev_b64 v[2:3], 4, v[2:3]
	v_mov_b32_e32 v4, s29
	v_add_co_u32_e32 v1, vcc, s27, v2
	v_addc_co_u32_e32 v2, vcc, v4, v3, vcc
	v_mov_b32_e32 v3, 0x1900
	s_lshl_b32 s10, s33, 4
	v_lshl_add_u32 v3, v0, 4, v3
	s_and_b32 s11, s10, 0x180
	s_mov_b32 s10, 0
	s_mov_b64 s[12:13], 0
.LBB221_67:                             ; =>This Inner Loop Header: Depth=1
	ds_read2_b64 v[4:7], v3 offset1:1
	ds_read2_b64 v[8:11], v3 offset0:40 offset1:41
	ds_read2_b64 v[12:15], v3 offset0:80 offset1:81
	;; [unrolled: 1-line block ×6, first 2 shown]
	s_add_i32 s10, s10, 8
	v_add_co_u32_e32 v36, vcc, s12, v1
	s_add_u32 s12, s12, 0x80
	v_mov_b32_e32 v32, s13
	s_addc_u32 s13, s13, 0
	v_add_u32_e32 v33, 0x8c0, v3
	v_addc_co_u32_e32 v37, vcc, v2, v32, vcc
	v_add_u32_e32 v3, 0xa00, v3
	s_cmp_lg_u32 s11, s12
	ds_read2_b64 v[32:35], v33 offset1:1
	s_waitcnt lgkmcnt(7)
	global_store_dwordx4 v[36:37], v[4:7], off
	s_waitcnt lgkmcnt(6)
	global_store_dwordx4 v[36:37], v[8:11], off offset:16
	s_waitcnt lgkmcnt(5)
	global_store_dwordx4 v[36:37], v[12:15], off offset:32
	;; [unrolled: 2-line block ×7, first 2 shown]
	s_cbranch_scc1 .LBB221_67
.LBB221_68:
	s_and_b32 s12, s33, 7
	s_cmp_eq_u32 s12, 0
	s_mov_b32 s11, 0
	s_cbranch_scc1 .LBB221_71
; %bb.69:
	s_lshl_b64 s[8:9], s[8:9], 4
	v_lshlrev_b32_e32 v1, 4, v0
	v_mov_b32_e32 v2, s9
	v_add_co_u32_e32 v1, vcc, s8, v1
	s_lshl_b64 s[8:9], s[10:11], 4
	s_add_u32 s8, s22, s8
	s_addc_u32 s9, s23, s9
	s_add_u32 s6, s8, s6
	s_addc_u32 s7, s9, s7
	;; [unrolled: 2-line block ×3, first 2 shown]
	v_addc_co_u32_e32 v4, vcc, 0, v2, vcc
	v_pk_mov_b32 v[2:3], s[4:5], s[4:5] op_sel:[0,1]
	v_mad_u64_u32 v[2:3], s[4:5], v1, s25, v[2:3]
	s_mul_i32 s4, s10, 0x140
	v_mul_lo_u32 v1, v1, s28
	v_mul_lo_u32 v4, v4, s25
	v_lshl_add_u32 v0, v0, 4, s4
	v_add3_u32 v3, v4, v3, v1
	v_add_u32_e32 v0, 0x1900, v0
.LBB221_70:                             ; =>This Inner Loop Header: Depth=1
	ds_read2_b64 v[4:7], v0 offset1:1
	s_add_i32 s12, s12, -1
	v_add_u32_e32 v0, 0x140, v0
	s_cmp_lg_u32 s12, 0
	s_waitcnt lgkmcnt(0)
	global_store_dwordx4 v[2:3], v[4:7], off
	v_add_co_u32_e32 v2, vcc, 16, v2
	v_addc_co_u32_e32 v3, vcc, 0, v3, vcc
	s_cbranch_scc1 .LBB221_70
.LBB221_71:
	s_endpgm
	.section	.rodata,"a",@progbits
	.p2align	6, 0x0
	.amdhsa_kernel _ZL38rocblas_trsm_small_left_device_sharedBILi20ELi20ELb1E19rocblas_complex_numIdES1_PKS1_PS1_Ev13rocblas_fill_18rocblas_operation_17rocblas_diagonal_iiT3_T4_lilT5_lili
		.amdhsa_group_segment_fixed_size 12800
		.amdhsa_private_segment_fixed_size 336
		.amdhsa_kernarg_size 368
		.amdhsa_user_sgpr_count 8
		.amdhsa_user_sgpr_private_segment_buffer 1
		.amdhsa_user_sgpr_dispatch_ptr 0
		.amdhsa_user_sgpr_queue_ptr 0
		.amdhsa_user_sgpr_kernarg_segment_ptr 1
		.amdhsa_user_sgpr_dispatch_id 0
		.amdhsa_user_sgpr_flat_scratch_init 1
		.amdhsa_user_sgpr_kernarg_preload_length 0
		.amdhsa_user_sgpr_kernarg_preload_offset 0
		.amdhsa_user_sgpr_private_segment_size 0
		.amdhsa_uses_dynamic_stack 0
		.amdhsa_system_sgpr_private_segment_wavefront_offset 1
		.amdhsa_system_sgpr_workgroup_id_x 1
		.amdhsa_system_sgpr_workgroup_id_y 0
		.amdhsa_system_sgpr_workgroup_id_z 1
		.amdhsa_system_sgpr_workgroup_info 0
		.amdhsa_system_vgpr_workitem_id 0
		.amdhsa_next_free_vgpr 54
		.amdhsa_next_free_sgpr 43
		.amdhsa_accum_offset 56
		.amdhsa_reserve_vcc 1
		.amdhsa_reserve_flat_scratch 0
		.amdhsa_float_round_mode_32 0
		.amdhsa_float_round_mode_16_64 0
		.amdhsa_float_denorm_mode_32 3
		.amdhsa_float_denorm_mode_16_64 3
		.amdhsa_dx10_clamp 1
		.amdhsa_ieee_mode 1
		.amdhsa_fp16_overflow 0
		.amdhsa_tg_split 0
		.amdhsa_exception_fp_ieee_invalid_op 0
		.amdhsa_exception_fp_denorm_src 0
		.amdhsa_exception_fp_ieee_div_zero 0
		.amdhsa_exception_fp_ieee_overflow 0
		.amdhsa_exception_fp_ieee_underflow 0
		.amdhsa_exception_fp_ieee_inexact 0
		.amdhsa_exception_int_div_zero 0
	.end_amdhsa_kernel
	.section	.text._ZL38rocblas_trsm_small_left_device_sharedBILi20ELi20ELb1E19rocblas_complex_numIdES1_PKS1_PS1_Ev13rocblas_fill_18rocblas_operation_17rocblas_diagonal_iiT3_T4_lilT5_lili,"axG",@progbits,_ZL38rocblas_trsm_small_left_device_sharedBILi20ELi20ELb1E19rocblas_complex_numIdES1_PKS1_PS1_Ev13rocblas_fill_18rocblas_operation_17rocblas_diagonal_iiT3_T4_lilT5_lili,comdat
.Lfunc_end221:
	.size	_ZL38rocblas_trsm_small_left_device_sharedBILi20ELi20ELb1E19rocblas_complex_numIdES1_PKS1_PS1_Ev13rocblas_fill_18rocblas_operation_17rocblas_diagonal_iiT3_T4_lilT5_lili, .Lfunc_end221-_ZL38rocblas_trsm_small_left_device_sharedBILi20ELi20ELb1E19rocblas_complex_numIdES1_PKS1_PS1_Ev13rocblas_fill_18rocblas_operation_17rocblas_diagonal_iiT3_T4_lilT5_lili
                                        ; -- End function
	.section	.AMDGPU.csdata,"",@progbits
; Kernel info:
; codeLenInByte = 4328
; NumSgprs: 47
; NumVgprs: 54
; NumAgprs: 0
; TotalNumVgprs: 54
; ScratchSize: 336
; MemoryBound: 0
; FloatMode: 240
; IeeeMode: 1
; LDSByteSize: 12800 bytes/workgroup (compile time only)
; SGPRBlocks: 5
; VGPRBlocks: 6
; NumSGPRsForWavesPerEU: 47
; NumVGPRsForWavesPerEU: 54
; AccumOffset: 56
; Occupancy: 2
; WaveLimiterHint : 0
; COMPUTE_PGM_RSRC2:SCRATCH_EN: 1
; COMPUTE_PGM_RSRC2:USER_SGPR: 8
; COMPUTE_PGM_RSRC2:TRAP_HANDLER: 0
; COMPUTE_PGM_RSRC2:TGID_X_EN: 1
; COMPUTE_PGM_RSRC2:TGID_Y_EN: 0
; COMPUTE_PGM_RSRC2:TGID_Z_EN: 1
; COMPUTE_PGM_RSRC2:TIDIG_COMP_CNT: 0
; COMPUTE_PGM_RSRC3_GFX90A:ACCUM_OFFSET: 13
; COMPUTE_PGM_RSRC3_GFX90A:TG_SPLIT: 0
	.section	.text._ZL30rocblas_trsm_small_left_deviceILi20ELi20ELb1E19rocblas_complex_numIdES1_PKS1_PS1_Ev13rocblas_fill_18rocblas_operation_17rocblas_diagonal_iiT3_T4_lilT5_lili,"axG",@progbits,_ZL30rocblas_trsm_small_left_deviceILi20ELi20ELb1E19rocblas_complex_numIdES1_PKS1_PS1_Ev13rocblas_fill_18rocblas_operation_17rocblas_diagonal_iiT3_T4_lilT5_lili,comdat
	.globl	_ZL30rocblas_trsm_small_left_deviceILi20ELi20ELb1E19rocblas_complex_numIdES1_PKS1_PS1_Ev13rocblas_fill_18rocblas_operation_17rocblas_diagonal_iiT3_T4_lilT5_lili ; -- Begin function _ZL30rocblas_trsm_small_left_deviceILi20ELi20ELb1E19rocblas_complex_numIdES1_PKS1_PS1_Ev13rocblas_fill_18rocblas_operation_17rocblas_diagonal_iiT3_T4_lilT5_lili
	.p2align	8
	.type	_ZL30rocblas_trsm_small_left_deviceILi20ELi20ELb1E19rocblas_complex_numIdES1_PKS1_PS1_Ev13rocblas_fill_18rocblas_operation_17rocblas_diagonal_iiT3_T4_lilT5_lili,@function
_ZL30rocblas_trsm_small_left_deviceILi20ELi20ELb1E19rocblas_complex_numIdES1_PKS1_PS1_Ev13rocblas_fill_18rocblas_operation_17rocblas_diagonal_iiT3_T4_lilT5_lili: ; @_ZL30rocblas_trsm_small_left_deviceILi20ELi20ELb1E19rocblas_complex_numIdES1_PKS1_PS1_Ev13rocblas_fill_18rocblas_operation_17rocblas_diagonal_iiT3_T4_lilT5_lili
; %bb.0:
	s_add_u32 s0, s0, s10
	s_load_dwordx4 s[24:27], s[4:5], 0x4
	s_load_dwordx8 s[12:19], s[4:5], 0x18
	s_load_dwordx4 s[20:23], s[4:5], 0x40
	s_load_dwordx2 s[10:11], s[4:5], 0x50
	s_load_dword s38, s[4:5], 0x70
	s_addc_u32 s1, s1, 0
	s_waitcnt lgkmcnt(0)
	s_min_i32 s26, s26, 20
	s_mov_b32 s39, 0
	s_add_i32 s33, s26, -1
	v_cmp_gt_i32_e32 vcc, s26, v0
	s_and_saveexec_b64 s[28:29], vcc
	s_cbranch_execz .LBB222_15
; %bb.1:
	s_load_dword s30, s[4:5], 0x38
	v_lshlrev_b32_e32 v1, 4, v0
	s_mul_i32 s40, s21, s9
	s_mul_hi_u32 s41, s20, s9
	s_mul_i32 s20, s20, s9
	s_waitcnt lgkmcnt(0)
	s_ashr_i32 s31, s30, 31
	s_cmpk_eq_i32 s24, 0x71
	s_cselect_b64 vcc, -1, 0
	s_cmp_lt_u32 s33, 3
	s_cbranch_scc1 .LBB222_4
; %bb.2:
	s_add_i32 s21, s41, s40
	s_and_b32 s39, s26, -4
	s_lshl_b64 s[6:7], s[20:21], 4
	s_lshl_b64 s[34:35], s[18:19], 4
	s_add_u32 s6, s6, s34
	s_addc_u32 s7, s7, s35
	s_add_u32 s6, s16, s6
	v_lshlrev_b32_e32 v2, 4, v0
	s_addc_u32 s7, s17, s7
	v_mov_b32_e32 v3, s7
	v_add_co_u32_e64 v2, s[6:7], s6, v2
	v_addc_co_u32_e64 v3, s[6:7], 0, v3, s[6:7]
	v_add_co_u32_e64 v2, s[6:7], 8, v2
	s_lshl_b64 s[34:35], s[30:31], 6
	s_lshl_b64 s[36:37], s[30:31], 4
	v_addc_co_u32_e64 v3, s[6:7], 0, v3, s[6:7]
	s_mov_b32 s21, 0
	v_mov_b32_e32 v4, s37
	v_mov_b32_e32 v5, s35
	v_mov_b32_e32 v6, v1
.LBB222_3:                              ; =>This Inner Loop Header: Depth=1
	v_add_co_u32_e64 v20, s[6:7], s36, v2
	v_addc_co_u32_e64 v21, s[6:7], v3, v4, s[6:7]
	v_add_co_u32_e64 v22, s[6:7], s36, v20
	global_load_dwordx4 v[8:11], v[2:3], off offset:-8
	v_addc_co_u32_e64 v23, s[6:7], v21, v4, s[6:7]
	global_load_dwordx4 v[12:15], v[20:21], off offset:-8
	global_load_dwordx4 v[16:19], v[22:23], off offset:-8
	v_add_co_u32_e64 v20, s[6:7], s36, v22
	v_addc_co_u32_e64 v21, s[6:7], v23, v4, s[6:7]
	global_load_dwordx4 v[20:23], v[20:21], off offset:-8
	s_add_i32 s21, s21, 4
	v_add_co_u32_e64 v2, s[6:7], s34, v2
	s_cmp_eq_u32 s39, s21
	v_addc_co_u32_e64 v3, s[6:7], v3, v5, s[6:7]
	s_waitcnt vmcnt(3)
	v_xor_b32_e32 v7, 0x80000000, v11
	v_cndmask_b32_e32 v11, v11, v7, vcc
	s_waitcnt vmcnt(2)
	v_xor_b32_e32 v7, 0x80000000, v15
	v_cndmask_b32_e32 v15, v15, v7, vcc
	;; [unrolled: 3-line block ×3, first 2 shown]
	ds_write_b128 v6, v[8:11]
	ds_write_b128 v6, v[12:15] offset:320
	s_waitcnt vmcnt(0)
	v_xor_b32_e32 v7, 0x80000000, v23
	v_cndmask_b32_e32 v23, v23, v7, vcc
	ds_write_b128 v6, v[16:19] offset:640
	ds_write_b128 v6, v[20:23] offset:960
	v_add_u32_e32 v6, 0x500, v6
	s_cbranch_scc0 .LBB222_3
.LBB222_4:
	s_and_b32 s34, s26, 3
	s_cmp_eq_u32 s34, 0
	s_cbranch_scc1 .LBB222_7
; %bb.5:
	s_mul_i32 s6, s39, 0x140
	s_add_i32 s21, s41, s40
	v_lshl_add_u32 v4, v0, 4, s6
	s_lshl_b64 s[6:7], s[20:21], 4
	s_mul_i32 s20, s31, s39
	s_mul_hi_u32 s21, s30, s39
	s_add_i32 s21, s21, s20
	s_mul_i32 s20, s30, s39
	s_lshl_b64 s[20:21], s[20:21], 4
	s_add_u32 s20, s6, s20
	s_addc_u32 s21, s7, s21
	s_lshl_b64 s[6:7], s[18:19], 4
	s_add_u32 s6, s20, s6
	s_addc_u32 s7, s21, s7
	s_add_u32 s6, s16, s6
	s_addc_u32 s7, s17, s7
	v_mov_b32_e32 v2, s7
	v_add_co_u32_e64 v1, s[6:7], s6, v1
	v_addc_co_u32_e64 v3, s[6:7], 0, v2, s[6:7]
	v_add_co_u32_e64 v2, s[6:7], 8, v1
	s_lshl_b64 s[16:17], s[30:31], 4
	v_addc_co_u32_e64 v3, s[6:7], 0, v3, s[6:7]
	v_mov_b32_e32 v1, s17
.LBB222_6:                              ; =>This Inner Loop Header: Depth=1
	global_load_dwordx4 v[6:9], v[2:3], off offset:-8
	v_add_co_u32_e64 v2, s[6:7], s16, v2
	s_add_i32 s34, s34, -1
	v_addc_co_u32_e64 v3, s[6:7], v3, v1, s[6:7]
	s_cmp_lg_u32 s34, 0
	s_waitcnt vmcnt(0)
	v_xor_b32_e32 v5, 0x80000000, v9
	v_cndmask_b32_e32 v9, v9, v5, vcc
	ds_write_b128 v4, v[6:9]
	v_add_u32_e32 v4, 0x140, v4
	s_cbranch_scc1 .LBB222_6
.LBB222_7:
	v_mul_u32_u24_e32 v1, 21, v0
	s_cmpk_lg_i32 s25, 0x84
	v_lshlrev_b32_e32 v1, 4, v1
	s_cbranch_scc0 .LBB222_13
; %bb.8:
	ds_read_b128 v[2:5], v1
	s_waitcnt lgkmcnt(0)
	v_xor_b32_e32 v7, 0x80000000, v3
	v_cmp_gt_f64_e32 vcc, 0, v[2:3]
	v_xor_b32_e32 v8, 0x80000000, v5
	v_cndmask_b32_e32 v7, v3, v7, vcc
	v_cmp_gt_f64_e32 vcc, 0, v[4:5]
	v_mov_b32_e32 v6, v2
	v_cndmask_b32_e32 v9, v5, v8, vcc
	v_mov_b32_e32 v8, v4
	v_cmp_ngt_f64_e32 vcc, v[6:7], v[8:9]
                                        ; implicit-def: $vgpr8_vgpr9
	s_and_saveexec_b64 s[6:7], vcc
	s_xor_b64 s[6:7], exec, s[6:7]
	s_cbranch_execz .LBB222_10
; %bb.9:
	v_div_scale_f64 v[6:7], s[16:17], v[4:5], v[4:5], v[2:3]
	v_rcp_f64_e32 v[8:9], v[6:7]
	v_div_scale_f64 v[10:11], vcc, v[2:3], v[4:5], v[2:3]
	v_fma_f64 v[12:13], -v[6:7], v[8:9], 1.0
	v_fmac_f64_e32 v[8:9], v[8:9], v[12:13]
	v_fma_f64 v[12:13], -v[6:7], v[8:9], 1.0
	v_fmac_f64_e32 v[8:9], v[8:9], v[12:13]
	v_mul_f64 v[12:13], v[10:11], v[8:9]
	v_fma_f64 v[6:7], -v[6:7], v[12:13], v[10:11]
	v_div_fmas_f64 v[6:7], v[6:7], v[8:9], v[12:13]
	v_div_fixup_f64 v[8:9], v[6:7], v[4:5], v[2:3]
	v_fmac_f64_e32 v[4:5], v[2:3], v[8:9]
	v_div_scale_f64 v[2:3], s[16:17], v[4:5], v[4:5], 1.0
	v_rcp_f64_e32 v[6:7], v[2:3]
	v_fma_f64 v[10:11], -v[2:3], v[6:7], 1.0
	v_fmac_f64_e32 v[6:7], v[6:7], v[10:11]
	v_fma_f64 v[10:11], -v[2:3], v[6:7], 1.0
	v_fmac_f64_e32 v[6:7], v[6:7], v[10:11]
	v_div_scale_f64 v[10:11], vcc, 1.0, v[4:5], 1.0
	v_mul_f64 v[12:13], v[10:11], v[6:7]
	v_fma_f64 v[2:3], -v[2:3], v[12:13], v[10:11]
	s_nop 1
	v_div_fmas_f64 v[2:3], v[2:3], v[6:7], v[12:13]
	v_div_fixup_f64 v[2:3], v[2:3], v[4:5], 1.0
	v_add_f64 v[4:5], v[8:9], 0
	v_mul_f64 v[6:7], v[4:5], v[2:3]
	v_fma_f64 v[4:5], v[8:9], 0, -1.0
	v_mul_f64 v[8:9], v[4:5], v[2:3]
                                        ; implicit-def: $vgpr2_vgpr3
.LBB222_10:
	s_andn2_saveexec_b64 s[6:7], s[6:7]
	s_cbranch_execz .LBB222_12
; %bb.11:
	v_div_scale_f64 v[6:7], s[16:17], v[2:3], v[2:3], v[4:5]
	v_rcp_f64_e32 v[8:9], v[6:7]
	v_div_scale_f64 v[10:11], vcc, v[4:5], v[2:3], v[4:5]
	v_fma_f64 v[12:13], -v[6:7], v[8:9], 1.0
	v_fmac_f64_e32 v[8:9], v[8:9], v[12:13]
	v_fma_f64 v[12:13], -v[6:7], v[8:9], 1.0
	v_fmac_f64_e32 v[8:9], v[8:9], v[12:13]
	v_mul_f64 v[12:13], v[10:11], v[8:9]
	v_fma_f64 v[6:7], -v[6:7], v[12:13], v[10:11]
	v_div_fmas_f64 v[6:7], v[6:7], v[8:9], v[12:13]
	v_div_fixup_f64 v[8:9], v[6:7], v[2:3], v[4:5]
	v_fmac_f64_e32 v[2:3], v[4:5], v[8:9]
	v_div_scale_f64 v[4:5], s[16:17], v[2:3], v[2:3], 1.0
	v_rcp_f64_e32 v[6:7], v[4:5]
	v_fma_f64 v[10:11], -v[4:5], v[6:7], 1.0
	v_fmac_f64_e32 v[6:7], v[6:7], v[10:11]
	v_fma_f64 v[10:11], -v[4:5], v[6:7], 1.0
	v_fmac_f64_e32 v[6:7], v[6:7], v[10:11]
	v_div_scale_f64 v[10:11], vcc, 1.0, v[2:3], 1.0
	v_mul_f64 v[12:13], v[10:11], v[6:7]
	v_fma_f64 v[4:5], -v[4:5], v[12:13], v[10:11]
	s_nop 1
	v_div_fmas_f64 v[4:5], v[4:5], v[6:7], v[12:13]
	v_div_fixup_f64 v[2:3], v[4:5], v[2:3], 1.0
	v_fma_f64 v[4:5], v[8:9], 0, 1.0
	v_mul_f64 v[6:7], v[4:5], v[2:3]
	v_add_f64 v[4:5], -v[8:9], 0
	v_mul_f64 v[8:9], v[4:5], v[2:3]
.LBB222_12:
	s_or_b64 exec, exec, s[6:7]
	s_branch .LBB222_14
.LBB222_13:
	v_mov_b32_e32 v6, 0
	v_mov_b32_e32 v7, 0x3ff00000
	v_pk_mov_b32 v[8:9], 0, 0
.LBB222_14:
	ds_write_b128 v1, v[6:9]
.LBB222_15:
	s_or_b64 exec, exec, s[28:29]
	s_mul_i32 s6, s8, 0xffffffec
	s_add_i32 s38, s38, -1
	s_add_i32 s6, s6, s27
	s_cmp_ge_u32 s8, s38
	s_cselect_b32 s6, s6, 20
	v_cmp_gt_i32_e32 vcc, s6, v0
	s_waitcnt lgkmcnt(0)
	; wave barrier
	s_waitcnt lgkmcnt(0)
	s_and_saveexec_b64 s[6:7], vcc
	s_cbranch_execz .LBB222_58
; %bb.16:
	s_load_dwordx2 s[6:7], s[4:5], 0x60
	s_load_dword s16, s[4:5], 0x58
	s_waitcnt lgkmcnt(0)
	s_mul_i32 s5, s9, s7
	s_mul_hi_u32 s7, s9, s6
	s_mul_i32 s4, s9, s6
	s_add_i32 s5, s7, s5
	s_lshl_b64 s[4:5], s[4:5], 4
	s_add_u32 s9, s22, s4
	s_addc_u32 s17, s23, s5
	s_lshl_b64 s[6:7], s[10:11], 4
	s_add_u32 s10, s9, s6
	v_mad_u64_u32 v[0:1], s[8:9], s8, 20, v[0:1]
	v_mad_i64_i32 v[0:1], s[8:9], s16, v0, 0
	s_addc_u32 s11, s17, s7
	v_lshlrev_b64 v[4:5], 4, v[0:1]
	v_mov_b32_e32 v0, s11
	v_add_co_u32_e32 v6, vcc, s10, v4
	v_addc_co_u32_e32 v7, vcc, v0, v5, vcc
	s_cmpk_eq_i32 s24, 0x6f
	s_mov_b64 s[8:9], -1
	s_cbranch_scc1 .LBB222_37
; %bb.17:
	s_add_u32 s8, s22, s6
	s_addc_u32 s9, s23, s7
	s_add_u32 s8, s8, s4
	s_addc_u32 s9, s9, s5
	v_mov_b32_e32 v0, s9
	v_add_co_u32_e32 v1, vcc, s8, v4
	v_addc_co_u32_e32 v0, vcc, v0, v5, vcc
	v_add_co_u32_e32 v8, vcc, 8, v1
	s_lshl_b32 s24, s26, 4
	s_mov_b32 s9, 0
	v_addc_co_u32_e32 v9, vcc, 0, v0, vcc
	s_add_i32 s24, s24, -16
	v_mov_b32_e32 v10, 0
	s_mov_b32 s8, s9
	s_mov_b32 s10, s33
	s_branch .LBB222_19
.LBB222_18:                             ;   in Loop: Header=BB222_19 Depth=1
	s_cmp_lt_i32 s10, 0
	s_cselect_b64 s[16:17], -1, 0
	s_add_i32 s8, s8, 1
	s_cmp_eq_u32 s8, 3
	s_cselect_b64 s[18:19], -1, 0
	s_or_b64 s[16:17], s[16:17], s[18:19]
	s_andn2_b64 vcc, exec, s[16:17]
	s_cbranch_vccz .LBB222_36
.LBB222_19:                             ; =>This Loop Header: Depth=1
                                        ;     Child Loop BB222_22 Depth 2
                                        ;       Child Loop BB222_23 Depth 3
                                        ;       Child Loop BB222_25 Depth 3
                                        ;         Child Loop BB222_26 Depth 4
                                        ;       Child Loop BB222_30 Depth 3
                                        ;         Child Loop BB222_32 Depth 4
	s_lshl_b64 s[16:17], s[8:9], 2
	s_getpc_b64 s[18:19]
	s_add_u32 s18, s18, __const._ZL30rocblas_trsm_small_left_deviceILi20ELi20ELb1E19rocblas_complex_numIdES1_PKS1_PS1_Ev13rocblas_fill_18rocblas_operation_17rocblas_diagonal_iiT3_T4_lilT5_lili.step_sizes@rel32@lo+4
	s_addc_u32 s19, s19, __const._ZL30rocblas_trsm_small_left_deviceILi20ELi20ELb1E19rocblas_complex_numIdES1_PKS1_PS1_Ev13rocblas_fill_18rocblas_operation_17rocblas_diagonal_iiT3_T4_lilT5_lili.step_sizes@rel32@hi+12
	s_add_u32 s16, s16, s18
	s_addc_u32 s17, s17, s19
	s_load_dword s25, s[16:17], 0x0
	s_waitcnt lgkmcnt(0)
	s_add_i32 s27, s25, -1
	s_cmp_lt_i32 s10, s27
	s_cbranch_scc1 .LBB222_18
; %bb.20:                               ;   in Loop: Header=BB222_19 Depth=1
	s_mul_i32 s11, s10, 0x140
	s_max_i32 s28, s25, 1
	s_add_i32 s29, s24, s11
	s_mul_i32 s30, s25, 0xfffffec0
	s_mul_i32 s31, s10, 0x150
	;; [unrolled: 1-line block ×3, first 2 shown]
	s_branch .LBB222_22
.LBB222_21:                             ;   in Loop: Header=BB222_22 Depth=2
	s_sub_i32 s10, s10, s25
	s_add_i32 s29, s29, s30
	s_add_i32 s31, s31, s34
	s_cmp_lt_i32 s10, s27
	s_cbranch_scc1 .LBB222_18
.LBB222_22:                             ;   Parent Loop BB222_19 Depth=1
                                        ; =>  This Loop Header: Depth=2
                                        ;       Child Loop BB222_23 Depth 3
                                        ;       Child Loop BB222_25 Depth 3
                                        ;         Child Loop BB222_26 Depth 4
                                        ;       Child Loop BB222_30 Depth 3
                                        ;         Child Loop BB222_32 Depth 4
	s_ashr_i32 s11, s10, 31
	s_lshl_b64 s[16:17], s[10:11], 4
	v_mov_b32_e32 v1, s17
	v_add_co_u32_e32 v0, vcc, s16, v8
	v_addc_co_u32_e32 v1, vcc, v9, v1, vcc
	v_mov_b32_e32 v2, 0
	s_mov_b32 s16, s28
.LBB222_23:                             ;   Parent Loop BB222_19 Depth=1
                                        ;     Parent Loop BB222_22 Depth=2
                                        ; =>    This Inner Loop Header: Depth=3
	global_load_dwordx4 v[12:15], v[0:1], off offset:-8
	s_add_i32 s16, s16, -1
	v_add_co_u32_e32 v0, vcc, -16, v0
	v_addc_co_u32_e32 v1, vcc, -1, v1, vcc
	s_cmp_eq_u32 s16, 0
	s_waitcnt vmcnt(0)
	v_mul_f64 v[16:17], s[14:15], v[14:15]
	v_mul_f64 v[14:15], s[12:13], v[14:15]
	v_fma_f64 v[16:17], s[12:13], v[12:13], -v[16:17]
	v_fmac_f64_e32 v[14:15], s[14:15], v[12:13]
	buffer_store_dword v17, v2, s[0:3], 0 offen offset:4
	buffer_store_dword v16, v2, s[0:3], 0 offen
	buffer_store_dword v15, v2, s[0:3], 0 offen offset:12
	buffer_store_dword v14, v2, s[0:3], 0 offen offset:8
	v_add_u32_e32 v2, 16, v2
	s_cbranch_scc0 .LBB222_23
; %bb.24:                               ;   in Loop: Header=BB222_22 Depth=2
	s_cmp_le_i32 s33, s10
	s_mov_b32 s18, s29
	s_mov_b32 s16, s33
	s_cbranch_scc1 .LBB222_28
.LBB222_25:                             ;   Parent Loop BB222_19 Depth=1
                                        ;     Parent Loop BB222_22 Depth=2
                                        ; =>    This Loop Header: Depth=3
                                        ;         Child Loop BB222_26 Depth 4
	s_ashr_i32 s17, s16, 31
	s_lshl_b64 s[20:21], s[16:17], 4
	v_mov_b32_e32 v1, s21
	v_add_co_u32_e32 v0, vcc, s20, v6
	v_addc_co_u32_e32 v1, vcc, v7, v1, vcc
	global_load_dwordx4 v[0:3], v[0:1], off
	v_mov_b32_e32 v11, 0
	s_mov_b32 s17, s18
	s_mov_b32 s19, s28
.LBB222_26:                             ;   Parent Loop BB222_19 Depth=1
                                        ;     Parent Loop BB222_22 Depth=2
                                        ;       Parent Loop BB222_25 Depth=3
                                        ; =>      This Inner Loop Header: Depth=4
	buffer_load_dword v16, v11, s[0:3], 0 offen
	buffer_load_dword v17, v11, s[0:3], 0 offen offset:4
	buffer_load_dword v18, v11, s[0:3], 0 offen offset:8
	;; [unrolled: 1-line block ×3, first 2 shown]
	v_mov_b32_e32 v12, s17
	ds_read_b128 v[12:15], v12
	s_add_i32 s19, s19, -1
	s_addk_i32 s17, 0xfec0
	s_cmp_eq_u32 s19, 0
	s_waitcnt vmcnt(4) lgkmcnt(0)
	v_mul_f64 v[20:21], v[2:3], v[14:15]
	v_mul_f64 v[14:15], v[0:1], v[14:15]
	v_fma_f64 v[20:21], v[0:1], v[12:13], -v[20:21]
	v_fmac_f64_e32 v[14:15], v[2:3], v[12:13]
	s_waitcnt vmcnt(2)
	v_add_f64 v[12:13], v[16:17], -v[20:21]
	s_waitcnt vmcnt(0)
	v_add_f64 v[14:15], v[18:19], -v[14:15]
	buffer_store_dword v12, v11, s[0:3], 0 offen
	buffer_store_dword v13, v11, s[0:3], 0 offen offset:4
	buffer_store_dword v14, v11, s[0:3], 0 offen offset:8
	;; [unrolled: 1-line block ×3, first 2 shown]
	v_add_u32_e32 v11, 16, v11
	s_cbranch_scc0 .LBB222_26
; %bb.27:                               ;   in Loop: Header=BB222_25 Depth=3
	s_add_i32 s16, s16, -1
	s_add_i32 s18, s18, -16
	s_cmp_le_i32 s16, s10
	s_cbranch_scc0 .LBB222_25
.LBB222_28:                             ;   in Loop: Header=BB222_22 Depth=2
	s_mov_b32 s35, 0
	s_mov_b32 s36, s31
	s_branch .LBB222_30
.LBB222_29:                             ;   in Loop: Header=BB222_30 Depth=3
	s_mulk_i32 s18, 0x150
	v_mov_b32_e32 v11, s18
	ds_read_b128 v[12:15], v11
	s_lshl_b64 s[16:17], s[16:17], 4
	s_lshl_b32 s18, s35, 4
	s_add_i32 s35, s35, 1
	s_addk_i32 s36, 0xfec0
	s_waitcnt vmcnt(0) lgkmcnt(0)
	v_mul_f64 v[16:17], v[14:15], v[2:3]
	v_mul_f64 v[18:19], v[12:13], v[2:3]
	v_fma_f64 v[16:17], v[12:13], v[0:1], -v[16:17]
	v_fmac_f64_e32 v[18:19], v[14:15], v[0:1]
	v_mov_b32_e32 v1, s17
	v_add_co_u32_e32 v0, vcc, s16, v6
	v_add_u32_e32 v11, s18, v10
	v_addc_co_u32_e32 v1, vcc, v7, v1, vcc
	s_cmp_eq_u32 s35, s28
	buffer_store_dword v17, v11, s[0:3], 0 offen offset:4
	buffer_store_dword v16, v11, s[0:3], 0 offen
	buffer_store_dword v19, v11, s[0:3], 0 offen offset:12
	buffer_store_dword v18, v11, s[0:3], 0 offen offset:8
	global_store_dwordx4 v[0:1], v[16:19], off
	s_cbranch_scc1 .LBB222_21
.LBB222_30:                             ;   Parent Loop BB222_19 Depth=1
                                        ;     Parent Loop BB222_22 Depth=2
                                        ; =>    This Loop Header: Depth=3
                                        ;         Child Loop BB222_32 Depth 4
	s_cmp_lg_u32 s35, 0
	s_cbranch_scc0 .LBB222_34
; %bb.31:                               ;   in Loop: Header=BB222_30 Depth=3
	s_lshl_b32 s16, s35, 4
	v_add_u32_e32 v11, s16, v10
	buffer_load_dword v0, v11, s[0:3], 0 offen
	buffer_load_dword v1, v11, s[0:3], 0 offen offset:4
	buffer_load_dword v2, v11, s[0:3], 0 offen offset:8
	;; [unrolled: 1-line block ×3, first 2 shown]
	v_mov_b32_e32 v12, 0
	s_mov_b32 s16, 0
	s_mov_b32 s17, s36
.LBB222_32:                             ;   Parent Loop BB222_19 Depth=1
                                        ;     Parent Loop BB222_22 Depth=2
                                        ;       Parent Loop BB222_30 Depth=3
                                        ; =>      This Inner Loop Header: Depth=4
	buffer_load_dword v18, v12, s[0:3], 0 offen offset:8
	buffer_load_dword v19, v12, s[0:3], 0 offen offset:12
	buffer_load_dword v20, v12, s[0:3], 0 offen
	buffer_load_dword v21, v12, s[0:3], 0 offen offset:4
	v_mov_b32_e32 v13, s17
	ds_read_b128 v[14:17], v13
	s_add_i32 s16, s16, 1
	s_add_i32 s17, s17, -16
	v_add_u32_e32 v12, 16, v12
	s_cmp_ge_u32 s16, s35
	s_waitcnt vmcnt(2) lgkmcnt(0)
	v_mul_f64 v[22:23], v[16:17], v[18:19]
	v_mul_f64 v[18:19], v[14:15], v[18:19]
	s_waitcnt vmcnt(0)
	v_fma_f64 v[14:15], v[14:15], v[20:21], -v[22:23]
	v_fmac_f64_e32 v[18:19], v[16:17], v[20:21]
	v_add_f64 v[0:1], v[0:1], -v[14:15]
	v_add_f64 v[2:3], v[2:3], -v[18:19]
	buffer_store_dword v0, v11, s[0:3], 0 offen
	buffer_store_dword v1, v11, s[0:3], 0 offen offset:4
	buffer_store_dword v2, v11, s[0:3], 0 offen offset:8
	;; [unrolled: 1-line block ×3, first 2 shown]
	s_cbranch_scc0 .LBB222_32
; %bb.33:                               ;   in Loop: Header=BB222_30 Depth=3
	s_sub_i32 s18, s10, s35
	s_ashr_i32 s19, s18, 31
	s_mov_b64 s[16:17], s[18:19]
	s_branch .LBB222_29
.LBB222_34:                             ;   in Loop: Header=BB222_30 Depth=3
                                        ; implicit-def: $vgpr0_vgpr1
                                        ; implicit-def: $vgpr2_vgpr3
                                        ; implicit-def: $sgpr18
                                        ; implicit-def: $sgpr16_sgpr17
	s_cbranch_execz .LBB222_29
; %bb.35:                               ;   in Loop: Header=BB222_30 Depth=3
	buffer_load_dword v0, off, s[0:3], 0
	buffer_load_dword v1, off, s[0:3], 0 offset:4
	buffer_load_dword v2, off, s[0:3], 0 offset:8
	;; [unrolled: 1-line block ×3, first 2 shown]
	s_mov_b64 s[16:17], s[10:11]
	s_mov_b32 s18, s10
	s_branch .LBB222_29
.LBB222_36:
	s_mov_b64 s[8:9], 0
.LBB222_37:
	s_and_b64 vcc, exec, s[8:9]
	s_cbranch_vccz .LBB222_58
; %bb.38:
	s_add_u32 s6, s22, s6
	s_addc_u32 s7, s23, s7
	s_add_u32 s4, s6, s4
	s_addc_u32 s5, s7, s5
	v_mov_b32_e32 v0, s5
	v_add_co_u32_e32 v1, vcc, s4, v4
	v_addc_co_u32_e32 v0, vcc, v0, v5, vcc
	v_add_co_u32_e32 v8, vcc, 8, v1
	s_mov_b32 s5, 0
	v_addc_co_u32_e32 v9, vcc, 0, v0, vcc
	v_mov_b32_e32 v10, 0
	s_mov_b32 s6, s5
	s_mov_b32 s8, s5
	s_branch .LBB222_40
.LBB222_39:                             ;   in Loop: Header=BB222_40 Depth=1
	s_cmp_ge_i32 s6, s26
	s_cselect_b64 s[10:11], -1, 0
	s_add_i32 s8, s8, 1
	s_cmp_eq_u32 s8, 3
	s_cselect_b64 s[16:17], -1, 0
	s_or_b64 s[10:11], s[10:11], s[16:17]
	s_and_b64 vcc, exec, s[10:11]
	s_cbranch_vccnz .LBB222_58
.LBB222_40:                             ; =>This Loop Header: Depth=1
                                        ;     Child Loop BB222_43 Depth 2
                                        ;       Child Loop BB222_44 Depth 3
                                        ;       Child Loop BB222_47 Depth 3
                                        ;         Child Loop BB222_48 Depth 4
                                        ;       Child Loop BB222_52 Depth 3
                                        ;         Child Loop BB222_54 Depth 4
	s_mov_b32 s9, s5
	s_lshl_b64 s[10:11], s[8:9], 2
	s_getpc_b64 s[16:17]
	s_add_u32 s16, s16, __const._ZL30rocblas_trsm_small_left_deviceILi20ELi20ELb1E19rocblas_complex_numIdES1_PKS1_PS1_Ev13rocblas_fill_18rocblas_operation_17rocblas_diagonal_iiT3_T4_lilT5_lili.step_sizes@rel32@lo+4
	s_addc_u32 s17, s17, __const._ZL30rocblas_trsm_small_left_deviceILi20ELi20ELb1E19rocblas_complex_numIdES1_PKS1_PS1_Ev13rocblas_fill_18rocblas_operation_17rocblas_diagonal_iiT3_T4_lilT5_lili.step_sizes@rel32@hi+12
	s_add_u32 s10, s10, s16
	s_addc_u32 s11, s11, s17
	s_load_dword s10, s[10:11], 0x0
	s_waitcnt lgkmcnt(0)
	s_add_i32 s9, s10, -1
	s_add_i32 s4, s9, s6
	s_cmp_ge_i32 s4, s26
	s_cbranch_scc1 .LBB222_39
; %bb.41:                               ;   in Loop: Header=BB222_40 Depth=1
	s_ashr_i32 s7, s6, 31
	s_lshl_b64 s[16:17], s[6:7], 4
	s_ashr_i32 s11, s10, 31
	v_mov_b32_e32 v0, s17
	v_add_co_u32_e32 v4, vcc, s16, v8
	s_lshl_b64 s[16:17], s[10:11], 4
	s_max_i32 s22, s10, 1
	v_addc_co_u32_e32 v5, vcc, v9, v0, vcc
	s_lshl_b32 s7, s6, 4
	s_lshl_b32 s11, s10, 4
	s_mul_i32 s23, s6, 0x150
	s_mul_i32 s24, s10, 0x150
	v_mov_b32_e32 v11, s17
	s_branch .LBB222_43
.LBB222_42:                             ;   in Loop: Header=BB222_43 Depth=2
	s_add_i32 s6, s6, s10
	s_add_i32 s4, s9, s6
	;; [unrolled: 1-line block ×4, first 2 shown]
	v_add_co_u32_e32 v4, vcc, s16, v4
	s_cmp_ge_i32 s4, s26
	v_addc_co_u32_e32 v5, vcc, v5, v11, vcc
	s_cbranch_scc1 .LBB222_39
.LBB222_43:                             ;   Parent Loop BB222_40 Depth=1
                                        ; =>  This Loop Header: Depth=2
                                        ;       Child Loop BB222_44 Depth 3
                                        ;       Child Loop BB222_47 Depth 3
                                        ;         Child Loop BB222_48 Depth 4
                                        ;       Child Loop BB222_52 Depth 3
                                        ;         Child Loop BB222_54 Depth 4
	v_mov_b32_e32 v2, 0
	v_pk_mov_b32 v[0:1], v[4:5], v[4:5] op_sel:[0,1]
	s_mov_b32 s4, s22
.LBB222_44:                             ;   Parent Loop BB222_40 Depth=1
                                        ;     Parent Loop BB222_43 Depth=2
                                        ; =>    This Inner Loop Header: Depth=3
	global_load_dwordx4 v[12:15], v[0:1], off offset:-8
	s_add_i32 s4, s4, -1
	v_add_co_u32_e32 v0, vcc, 16, v0
	v_addc_co_u32_e32 v1, vcc, 0, v1, vcc
	s_cmp_eq_u32 s4, 0
	s_waitcnt vmcnt(0)
	v_mul_f64 v[16:17], s[14:15], v[14:15]
	v_mul_f64 v[14:15], s[12:13], v[14:15]
	v_fma_f64 v[16:17], s[12:13], v[12:13], -v[16:17]
	v_fmac_f64_e32 v[14:15], s[14:15], v[12:13]
	buffer_store_dword v17, v2, s[0:3], 0 offen offset:4
	buffer_store_dword v16, v2, s[0:3], 0 offen
	buffer_store_dword v15, v2, s[0:3], 0 offen offset:12
	buffer_store_dword v14, v2, s[0:3], 0 offen offset:8
	v_add_u32_e32 v2, 16, v2
	s_cbranch_scc0 .LBB222_44
; %bb.45:                               ;   in Loop: Header=BB222_43 Depth=2
	s_cmp_lt_i32 s6, 1
	s_cbranch_scc1 .LBB222_50
; %bb.46:                               ;   in Loop: Header=BB222_43 Depth=2
	s_mov_b32 s4, 0
	s_mov_b32 s17, s7
.LBB222_47:                             ;   Parent Loop BB222_40 Depth=1
                                        ;     Parent Loop BB222_43 Depth=2
                                        ; =>    This Loop Header: Depth=3
                                        ;         Child Loop BB222_48 Depth 4
	s_lshl_b64 s[18:19], s[4:5], 4
	v_mov_b32_e32 v1, s19
	v_add_co_u32_e32 v0, vcc, s18, v6
	v_addc_co_u32_e32 v1, vcc, v7, v1, vcc
	global_load_dwordx4 v[0:3], v[0:1], off
	v_mov_b32_e32 v12, 0
	s_mov_b32 s18, s17
	s_mov_b32 s19, s22
.LBB222_48:                             ;   Parent Loop BB222_40 Depth=1
                                        ;     Parent Loop BB222_43 Depth=2
                                        ;       Parent Loop BB222_47 Depth=3
                                        ; =>      This Inner Loop Header: Depth=4
	buffer_load_dword v18, v12, s[0:3], 0 offen
	buffer_load_dword v19, v12, s[0:3], 0 offen offset:4
	buffer_load_dword v20, v12, s[0:3], 0 offen offset:8
	;; [unrolled: 1-line block ×3, first 2 shown]
	v_mov_b32_e32 v13, s18
	ds_read_b128 v[14:17], v13
	s_add_i32 s19, s19, -1
	s_add_i32 s18, s18, 16
	s_cmp_eq_u32 s19, 0
	s_waitcnt vmcnt(4) lgkmcnt(0)
	v_mul_f64 v[22:23], v[2:3], v[16:17]
	v_mul_f64 v[16:17], v[0:1], v[16:17]
	v_fma_f64 v[22:23], v[0:1], v[14:15], -v[22:23]
	v_fmac_f64_e32 v[16:17], v[2:3], v[14:15]
	s_waitcnt vmcnt(2)
	v_add_f64 v[14:15], v[18:19], -v[22:23]
	s_waitcnt vmcnt(0)
	v_add_f64 v[16:17], v[20:21], -v[16:17]
	buffer_store_dword v14, v12, s[0:3], 0 offen
	buffer_store_dword v15, v12, s[0:3], 0 offen offset:4
	buffer_store_dword v16, v12, s[0:3], 0 offen offset:8
	;; [unrolled: 1-line block ×3, first 2 shown]
	v_add_u32_e32 v12, 16, v12
	s_cbranch_scc0 .LBB222_48
; %bb.49:                               ;   in Loop: Header=BB222_47 Depth=3
	s_add_i32 s4, s4, 1
	s_addk_i32 s17, 0x140
	s_cmp_ge_i32 s4, s6
	s_cbranch_scc0 .LBB222_47
.LBB222_50:                             ;   in Loop: Header=BB222_43 Depth=2
	s_mov_b32 s4, 0
	s_mov_b32 s17, s23
	s_branch .LBB222_52
.LBB222_51:                             ;   in Loop: Header=BB222_52 Depth=3
	s_mul_i32 s19, s18, 0x150
	v_mov_b32_e32 v12, s19
	ds_read_b128 v[12:15], v12
	s_lshl_b32 s19, s4, 4
	v_add_u32_e32 v20, s19, v10
	s_ashr_i32 s19, s18, 31
	s_lshl_b64 s[18:19], s[18:19], 4
	s_waitcnt vmcnt(0) lgkmcnt(0)
	v_mul_f64 v[16:17], v[14:15], v[2:3]
	v_mul_f64 v[18:19], v[12:13], v[2:3]
	v_fma_f64 v[16:17], v[12:13], v[0:1], -v[16:17]
	v_fmac_f64_e32 v[18:19], v[14:15], v[0:1]
	v_mov_b32_e32 v1, s19
	v_add_co_u32_e32 v0, vcc, s18, v6
	s_add_i32 s4, s4, 1
	s_add_i32 s17, s17, 16
	v_addc_co_u32_e32 v1, vcc, v7, v1, vcc
	s_cmp_eq_u32 s4, s22
	buffer_store_dword v17, v20, s[0:3], 0 offen offset:4
	buffer_store_dword v16, v20, s[0:3], 0 offen
	buffer_store_dword v19, v20, s[0:3], 0 offen offset:12
	buffer_store_dword v18, v20, s[0:3], 0 offen offset:8
	global_store_dwordx4 v[0:1], v[16:19], off
	s_cbranch_scc1 .LBB222_42
.LBB222_52:                             ;   Parent Loop BB222_40 Depth=1
                                        ;     Parent Loop BB222_43 Depth=2
                                        ; =>    This Loop Header: Depth=3
                                        ;         Child Loop BB222_54 Depth 4
	s_cmp_lg_u32 s4, 0
	s_cbranch_scc0 .LBB222_56
; %bb.53:                               ;   in Loop: Header=BB222_52 Depth=3
	s_lshl_b32 s18, s4, 4
	v_add_u32_e32 v12, s18, v10
	buffer_load_dword v0, v12, s[0:3], 0 offen
	buffer_load_dword v1, v12, s[0:3], 0 offen offset:4
	buffer_load_dword v2, v12, s[0:3], 0 offen offset:8
	;; [unrolled: 1-line block ×3, first 2 shown]
	s_add_i32 s18, s4, s6
	v_mov_b32_e32 v13, 0
	s_mov_b32 s19, 0
	s_mov_b32 s20, s17
.LBB222_54:                             ;   Parent Loop BB222_40 Depth=1
                                        ;     Parent Loop BB222_43 Depth=2
                                        ;       Parent Loop BB222_52 Depth=3
                                        ; =>      This Inner Loop Header: Depth=4
	buffer_load_dword v18, v13, s[0:3], 0 offen offset:8
	buffer_load_dword v19, v13, s[0:3], 0 offen offset:12
	buffer_load_dword v20, v13, s[0:3], 0 offen
	buffer_load_dword v21, v13, s[0:3], 0 offen offset:4
	v_mov_b32_e32 v14, s20
	ds_read_b128 v[14:17], v14
	s_add_i32 s19, s19, 1
	s_addk_i32 s20, 0x140
	v_add_u32_e32 v13, 16, v13
	s_cmp_ge_u32 s19, s4
	s_waitcnt vmcnt(2) lgkmcnt(0)
	v_mul_f64 v[22:23], v[16:17], v[18:19]
	v_mul_f64 v[18:19], v[14:15], v[18:19]
	s_waitcnt vmcnt(0)
	v_fma_f64 v[14:15], v[14:15], v[20:21], -v[22:23]
	v_fmac_f64_e32 v[18:19], v[16:17], v[20:21]
	v_add_f64 v[0:1], v[0:1], -v[14:15]
	v_add_f64 v[2:3], v[2:3], -v[18:19]
	buffer_store_dword v0, v12, s[0:3], 0 offen
	buffer_store_dword v1, v12, s[0:3], 0 offen offset:4
	buffer_store_dword v2, v12, s[0:3], 0 offen offset:8
	;; [unrolled: 1-line block ×3, first 2 shown]
	s_cbranch_scc0 .LBB222_54
; %bb.55:                               ;   in Loop: Header=BB222_52 Depth=3
	s_branch .LBB222_51
.LBB222_56:                             ;   in Loop: Header=BB222_52 Depth=3
                                        ; implicit-def: $vgpr0_vgpr1
                                        ; implicit-def: $vgpr2_vgpr3
                                        ; implicit-def: $sgpr18
	s_cbranch_execz .LBB222_51
; %bb.57:                               ;   in Loop: Header=BB222_52 Depth=3
	buffer_load_dword v0, off, s[0:3], 0
	buffer_load_dword v1, off, s[0:3], 0 offset:4
	buffer_load_dword v2, off, s[0:3], 0 offset:8
	;; [unrolled: 1-line block ×3, first 2 shown]
	s_mov_b32 s18, s6
	s_branch .LBB222_51
.LBB222_58:
	s_endpgm
	.section	.rodata,"a",@progbits
	.p2align	6, 0x0
	.amdhsa_kernel _ZL30rocblas_trsm_small_left_deviceILi20ELi20ELb1E19rocblas_complex_numIdES1_PKS1_PS1_Ev13rocblas_fill_18rocblas_operation_17rocblas_diagonal_iiT3_T4_lilT5_lili
		.amdhsa_group_segment_fixed_size 6400
		.amdhsa_private_segment_fixed_size 336
		.amdhsa_kernarg_size 368
		.amdhsa_user_sgpr_count 8
		.amdhsa_user_sgpr_private_segment_buffer 1
		.amdhsa_user_sgpr_dispatch_ptr 0
		.amdhsa_user_sgpr_queue_ptr 0
		.amdhsa_user_sgpr_kernarg_segment_ptr 1
		.amdhsa_user_sgpr_dispatch_id 0
		.amdhsa_user_sgpr_flat_scratch_init 1
		.amdhsa_user_sgpr_kernarg_preload_length 0
		.amdhsa_user_sgpr_kernarg_preload_offset 0
		.amdhsa_user_sgpr_private_segment_size 0
		.amdhsa_uses_dynamic_stack 0
		.amdhsa_system_sgpr_private_segment_wavefront_offset 1
		.amdhsa_system_sgpr_workgroup_id_x 1
		.amdhsa_system_sgpr_workgroup_id_y 0
		.amdhsa_system_sgpr_workgroup_id_z 1
		.amdhsa_system_sgpr_workgroup_info 0
		.amdhsa_system_vgpr_workitem_id 0
		.amdhsa_next_free_vgpr 24
		.amdhsa_next_free_sgpr 42
		.amdhsa_accum_offset 24
		.amdhsa_reserve_vcc 1
		.amdhsa_reserve_flat_scratch 0
		.amdhsa_float_round_mode_32 0
		.amdhsa_float_round_mode_16_64 0
		.amdhsa_float_denorm_mode_32 3
		.amdhsa_float_denorm_mode_16_64 3
		.amdhsa_dx10_clamp 1
		.amdhsa_ieee_mode 1
		.amdhsa_fp16_overflow 0
		.amdhsa_tg_split 0
		.amdhsa_exception_fp_ieee_invalid_op 0
		.amdhsa_exception_fp_denorm_src 0
		.amdhsa_exception_fp_ieee_div_zero 0
		.amdhsa_exception_fp_ieee_overflow 0
		.amdhsa_exception_fp_ieee_underflow 0
		.amdhsa_exception_fp_ieee_inexact 0
		.amdhsa_exception_int_div_zero 0
	.end_amdhsa_kernel
	.section	.text._ZL30rocblas_trsm_small_left_deviceILi20ELi20ELb1E19rocblas_complex_numIdES1_PKS1_PS1_Ev13rocblas_fill_18rocblas_operation_17rocblas_diagonal_iiT3_T4_lilT5_lili,"axG",@progbits,_ZL30rocblas_trsm_small_left_deviceILi20ELi20ELb1E19rocblas_complex_numIdES1_PKS1_PS1_Ev13rocblas_fill_18rocblas_operation_17rocblas_diagonal_iiT3_T4_lilT5_lili,comdat
.Lfunc_end222:
	.size	_ZL30rocblas_trsm_small_left_deviceILi20ELi20ELb1E19rocblas_complex_numIdES1_PKS1_PS1_Ev13rocblas_fill_18rocblas_operation_17rocblas_diagonal_iiT3_T4_lilT5_lili, .Lfunc_end222-_ZL30rocblas_trsm_small_left_deviceILi20ELi20ELb1E19rocblas_complex_numIdES1_PKS1_PS1_Ev13rocblas_fill_18rocblas_operation_17rocblas_diagonal_iiT3_T4_lilT5_lili
                                        ; -- End function
	.section	.AMDGPU.csdata,"",@progbits
; Kernel info:
; codeLenInByte = 3276
; NumSgprs: 46
; NumVgprs: 24
; NumAgprs: 0
; TotalNumVgprs: 24
; ScratchSize: 336
; MemoryBound: 0
; FloatMode: 240
; IeeeMode: 1
; LDSByteSize: 6400 bytes/workgroup (compile time only)
; SGPRBlocks: 5
; VGPRBlocks: 2
; NumSGPRsForWavesPerEU: 46
; NumVGPRsForWavesPerEU: 24
; AccumOffset: 24
; Occupancy: 3
; WaveLimiterHint : 0
; COMPUTE_PGM_RSRC2:SCRATCH_EN: 1
; COMPUTE_PGM_RSRC2:USER_SGPR: 8
; COMPUTE_PGM_RSRC2:TRAP_HANDLER: 0
; COMPUTE_PGM_RSRC2:TGID_X_EN: 1
; COMPUTE_PGM_RSRC2:TGID_Y_EN: 0
; COMPUTE_PGM_RSRC2:TGID_Z_EN: 1
; COMPUTE_PGM_RSRC2:TIDIG_COMP_CNT: 0
; COMPUTE_PGM_RSRC3_GFX90A:ACCUM_OFFSET: 5
; COMPUTE_PGM_RSRC3_GFX90A:TG_SPLIT: 0
	.section	.text._ZL31rocblas_trsm_small_right_deviceI19rocblas_complex_numIdES1_PKS1_PS1_Li20EEv13rocblas_fill_18rocblas_operation_17rocblas_diagonal_iiT0_T1_lilT2_lili,"axG",@progbits,_ZL31rocblas_trsm_small_right_deviceI19rocblas_complex_numIdES1_PKS1_PS1_Li20EEv13rocblas_fill_18rocblas_operation_17rocblas_diagonal_iiT0_T1_lilT2_lili,comdat
	.globl	_ZL31rocblas_trsm_small_right_deviceI19rocblas_complex_numIdES1_PKS1_PS1_Li20EEv13rocblas_fill_18rocblas_operation_17rocblas_diagonal_iiT0_T1_lilT2_lili ; -- Begin function _ZL31rocblas_trsm_small_right_deviceI19rocblas_complex_numIdES1_PKS1_PS1_Li20EEv13rocblas_fill_18rocblas_operation_17rocblas_diagonal_iiT0_T1_lilT2_lili
	.p2align	8
	.type	_ZL31rocblas_trsm_small_right_deviceI19rocblas_complex_numIdES1_PKS1_PS1_Li20EEv13rocblas_fill_18rocblas_operation_17rocblas_diagonal_iiT0_T1_lilT2_lili,@function
_ZL31rocblas_trsm_small_right_deviceI19rocblas_complex_numIdES1_PKS1_PS1_Li20EEv13rocblas_fill_18rocblas_operation_17rocblas_diagonal_iiT0_T1_lilT2_lili: ; @_ZL31rocblas_trsm_small_right_deviceI19rocblas_complex_numIdES1_PKS1_PS1_Li20EEv13rocblas_fill_18rocblas_operation_17rocblas_diagonal_iiT0_T1_lilT2_lili
; %bb.0:
	s_load_dwordx4 s[16:19], s[4:5], 0x0
	s_load_dword s33, s[4:5], 0x10
	s_load_dwordx8 s[8:15], s[4:5], 0x18
	s_load_dwordx2 s[20:21], s[4:5], 0x50
	s_load_dwordx4 s[0:3], s[4:5], 0x40
	s_mov_b32 s36, 0
	s_waitcnt lgkmcnt(0)
	s_min_i32 s34, s33, 20
	s_add_i32 s35, s34, -1
	v_cmp_gt_i32_e32 vcc, s34, v0
	s_and_saveexec_b64 s[22:23], vcc
	s_cbranch_execz .LBB223_9
; %bb.1:
	s_load_dword s24, s[4:5], 0x38
	s_mul_i32 s37, s1, s7
	s_mul_hi_u32 s38, s0, s7
	s_mul_i32 s26, s0, s7
	s_waitcnt lgkmcnt(0)
	s_ashr_i32 s25, s24, 31
	s_cmpk_eq_i32 s17, 0x71
	s_cselect_b64 vcc, -1, 0
	s_cmp_lt_u32 s35, 3
	s_cbranch_scc1 .LBB223_4
; %bb.2:
	s_add_i32 s27, s38, s37
	s_and_b32 s36, s34, -4
	s_lshl_b64 s[0:1], s[26:27], 4
	s_lshl_b64 s[28:29], s[14:15], 4
	s_add_u32 s0, s0, s28
	s_addc_u32 s1, s1, s29
	s_add_u32 s0, s12, s0
	v_lshlrev_b32_e32 v2, 4, v0
	s_addc_u32 s1, s13, s1
	v_mov_b32_e32 v3, s1
	v_add_co_u32_e64 v2, s[0:1], s0, v2
	v_addc_co_u32_e64 v3, s[0:1], 0, v3, s[0:1]
	v_add_co_u32_e64 v2, s[0:1], 8, v2
	s_lshl_b64 s[28:29], s[24:25], 6
	s_lshl_b64 s[30:31], s[24:25], 4
	v_lshlrev_b32_e32 v1, 4, v0
	v_addc_co_u32_e64 v3, s[0:1], 0, v3, s[0:1]
	s_mov_b32 s27, 0
	v_mov_b32_e32 v4, s31
	v_mov_b32_e32 v5, s29
.LBB223_3:                              ; =>This Inner Loop Header: Depth=1
	v_add_co_u32_e64 v18, s[0:1], s30, v2
	v_addc_co_u32_e64 v19, s[0:1], v3, v4, s[0:1]
	v_add_co_u32_e64 v20, s[0:1], s30, v18
	global_load_dwordx4 v[6:9], v[2:3], off offset:-8
	v_addc_co_u32_e64 v21, s[0:1], v19, v4, s[0:1]
	global_load_dwordx4 v[10:13], v[18:19], off offset:-8
	global_load_dwordx4 v[14:17], v[20:21], off offset:-8
	v_add_co_u32_e64 v18, s[0:1], s30, v20
	v_addc_co_u32_e64 v19, s[0:1], v21, v4, s[0:1]
	global_load_dwordx4 v[18:21], v[18:19], off offset:-8
	s_add_i32 s27, s27, 4
	v_add_co_u32_e64 v2, s[0:1], s28, v2
	s_cmp_eq_u32 s36, s27
	v_addc_co_u32_e64 v3, s[0:1], v3, v5, s[0:1]
	s_waitcnt vmcnt(3)
	v_xor_b32_e32 v22, 0x80000000, v9
	v_cndmask_b32_e32 v9, v9, v22, vcc
	ds_write_b128 v1, v[6:9]
	s_waitcnt vmcnt(1)
	v_xor_b32_e32 v6, 0x80000000, v17
	v_xor_b32_e32 v22, 0x80000000, v13
	v_cndmask_b32_e32 v17, v17, v6, vcc
	v_cndmask_b32_e32 v13, v13, v22, vcc
	ds_write_b128 v1, v[10:13] offset:320
	s_waitcnt vmcnt(0)
	v_xor_b32_e32 v6, 0x80000000, v21
	v_cndmask_b32_e32 v21, v21, v6, vcc
	ds_write_b128 v1, v[14:17] offset:640
	ds_write_b128 v1, v[18:21] offset:960
	v_add_u32_e32 v1, 0x500, v1
	s_cbranch_scc0 .LBB223_3
.LBB223_4:
	s_and_b32 s28, s34, 3
	s_cmp_eq_u32 s28, 0
	s_cbranch_scc1 .LBB223_7
; %bb.5:
	s_mul_i32 s0, s36, 0x140
	s_add_i32 s27, s38, s37
	v_lshl_add_u32 v1, v0, 4, s0
	s_lshl_b64 s[0:1], s[26:27], 4
	s_mul_i32 s26, s25, s36
	s_mul_hi_u32 s27, s24, s36
	s_add_i32 s27, s27, s26
	s_mul_i32 s26, s24, s36
	s_lshl_b64 s[26:27], s[26:27], 4
	s_add_u32 s26, s0, s26
	s_addc_u32 s27, s1, s27
	s_lshl_b64 s[0:1], s[14:15], 4
	s_add_u32 s0, s26, s0
	s_addc_u32 s1, s27, s1
	s_add_u32 s0, s12, s0
	v_lshlrev_b32_e32 v2, 4, v0
	s_addc_u32 s1, s13, s1
	v_mov_b32_e32 v3, s1
	v_add_co_u32_e64 v2, s[0:1], s0, v2
	v_addc_co_u32_e64 v3, s[0:1], 0, v3, s[0:1]
	v_add_co_u32_e64 v2, s[0:1], 8, v2
	s_lshl_b64 s[12:13], s[24:25], 4
	v_addc_co_u32_e64 v3, s[0:1], 0, v3, s[0:1]
	v_mov_b32_e32 v4, s13
.LBB223_6:                              ; =>This Inner Loop Header: Depth=1
	global_load_dwordx4 v[6:9], v[2:3], off offset:-8
	v_add_co_u32_e64 v2, s[0:1], s12, v2
	s_add_i32 s28, s28, -1
	v_addc_co_u32_e64 v3, s[0:1], v3, v4, s[0:1]
	s_cmp_lg_u32 s28, 0
	s_waitcnt vmcnt(0)
	v_xor_b32_e32 v5, 0x80000000, v9
	v_cndmask_b32_e32 v9, v9, v5, vcc
	ds_write_b128 v1, v[6:9]
	v_add_u32_e32 v1, 0x140, v1
	s_cbranch_scc1 .LBB223_6
.LBB223_7:
	s_cmpk_eq_i32 s18, 0x84
	s_cbranch_scc0 .LBB223_9
; %bb.8:
	v_mul_u32_u24_e32 v1, 21, v0
	v_mov_b32_e32 v2, 0
	v_lshlrev_b32_e32 v1, 4, v1
	v_mov_b32_e32 v3, 0x3ff00000
	v_mov_b32_e32 v4, v2
	;; [unrolled: 1-line block ×3, first 2 shown]
	ds_write_b128 v1, v[2:5]
.LBB223_9:
	s_or_b64 exec, exec, s[22:23]
	s_load_dword s1, s[4:5], 0x70
	s_load_dwordx2 s[12:13], s[4:5], 0x60
	s_load_dword s0, s[4:5], 0x58
	s_mul_i32 s15, s6, 0xffffffec
	s_mul_i32 s23, s6, 0x140
	s_mul_hi_i32 s22, s6, 0x140
	s_waitcnt lgkmcnt(0)
	s_mul_i32 s5, s7, s13
	s_mul_hi_u32 s13, s7, s12
	s_mul_i32 s4, s7, s12
	s_add_i32 s5, s13, s5
	s_lshl_b64 s[12:13], s[4:5], 4
	s_add_u32 s7, s2, s12
	s_addc_u32 s14, s3, s13
	s_lshl_b64 s[4:5], s[20:21], 4
	s_add_u32 s7, s7, s4
	s_addc_u32 s14, s14, s5
	s_add_i32 s1, s1, -1
	s_add_i32 s15, s15, s19
	s_cmp_ge_u32 s6, s1
	s_cselect_b32 s1, s15, 20
	s_add_u32 s24, s7, s23
	s_addc_u32 s25, s14, s22
	s_cmp_gt_i32 s33, 0
	v_cmp_gt_i32_e32 vcc, s1, v0
	s_cselect_b64 s[6:7], -1, 0
	s_mov_b32 s26, 0
	s_and_b64 s[6:7], vcc, s[6:7]
	s_and_saveexec_b64 s[14:15], s[6:7]
	s_cbranch_execz .LBB223_16
; %bb.10:
	s_ashr_i32 s1, s0, 31
	s_cmp_lt_u32 s33, 4
	s_cbranch_scc1 .LBB223_13
; %bb.11:
	v_lshlrev_b32_e32 v1, 4, v0
	v_mov_b32_e32 v3, s25
	v_add_co_u32_e32 v2, vcc, s24, v1
	v_mov_b32_e32 v1, 0x1900
	s_lshl_b64 s[18:19], s[0:1], 6
	s_lshl_b64 s[20:21], s[0:1], 4
	v_addc_co_u32_e32 v3, vcc, 0, v3, vcc
	s_and_b32 s26, s33, 0x7ffffffc
	v_lshl_add_u32 v1, v0, 4, v1
	s_mov_b32 s27, 0
	v_mov_b32_e32 v4, s21
	v_mov_b32_e32 v5, s19
.LBB223_12:                             ; =>This Inner Loop Header: Depth=1
	v_add_co_u32_e32 v14, vcc, s20, v2
	v_addc_co_u32_e32 v15, vcc, v3, v4, vcc
	v_add_co_u32_e32 v18, vcc, s20, v14
	global_load_dwordx4 v[6:9], v[2:3], off
	global_load_dwordx4 v[10:13], v[14:15], off
	v_addc_co_u32_e32 v19, vcc, v15, v4, vcc
	global_load_dwordx4 v[14:17], v[18:19], off
	v_add_co_u32_e32 v18, vcc, s20, v18
	v_addc_co_u32_e32 v19, vcc, v19, v4, vcc
	global_load_dwordx4 v[18:21], v[18:19], off
	s_add_i32 s27, s27, 4
	v_add_co_u32_e32 v2, vcc, s18, v2
	s_cmp_lg_u32 s26, s27
	v_addc_co_u32_e32 v3, vcc, v3, v5, vcc
	s_waitcnt vmcnt(3)
	v_mul_f64 v[22:23], s[10:11], v[8:9]
	v_mul_f64 v[24:25], s[8:9], v[8:9]
	v_fma_f64 v[22:23], s[8:9], v[6:7], -v[22:23]
	v_fmac_f64_e32 v[24:25], s[10:11], v[6:7]
	s_waitcnt vmcnt(2)
	v_mul_f64 v[6:7], s[10:11], v[12:13]
	v_mul_f64 v[8:9], s[8:9], v[12:13]
	v_fma_f64 v[6:7], s[8:9], v[10:11], -v[6:7]
	v_fmac_f64_e32 v[8:9], s[10:11], v[10:11]
	s_waitcnt vmcnt(1)
	v_mul_f64 v[12:13], s[10:11], v[16:17]
	v_mul_f64 v[10:11], s[8:9], v[16:17]
	ds_write_b128 v1, v[6:9] offset:320
	v_fma_f64 v[8:9], s[8:9], v[14:15], -v[12:13]
	v_fmac_f64_e32 v[10:11], s[10:11], v[14:15]
	s_waitcnt vmcnt(0)
	v_mul_f64 v[6:7], s[10:11], v[20:21]
	v_mul_f64 v[12:13], s[8:9], v[20:21]
	ds_write_b128 v1, v[8:11] offset:640
	v_fma_f64 v[10:11], s[8:9], v[18:19], -v[6:7]
	v_fmac_f64_e32 v[12:13], s[10:11], v[18:19]
	ds_write_b128 v1, v[22:25]
	ds_write_b128 v1, v[10:13] offset:960
	v_add_u32_e32 v1, 0x500, v1
	s_cbranch_scc1 .LBB223_12
.LBB223_13:
	s_and_b32 s20, s33, 3
	s_cmp_eq_u32 s20, 0
	s_cbranch_scc1 .LBB223_16
; %bb.14:
	s_mul_i32 s18, s26, 0x140
	v_lshl_add_u32 v1, v0, 4, s18
	s_mul_hi_i32 s19, s0, s26
	s_mul_i32 s18, s0, s26
	s_lshl_b64 s[18:19], s[18:19], 4
	s_add_u32 s18, s12, s18
	s_addc_u32 s19, s13, s19
	s_add_u32 s18, s18, s23
	s_addc_u32 s19, s19, s22
	;; [unrolled: 2-line block ×3, first 2 shown]
	s_add_u32 s18, s2, s18
	v_lshlrev_b32_e32 v2, 4, v0
	s_addc_u32 s19, s3, s19
	v_mov_b32_e32 v3, s19
	v_add_co_u32_e32 v2, vcc, s18, v2
	v_addc_co_u32_e32 v3, vcc, 0, v3, vcc
	v_add_co_u32_e32 v2, vcc, 8, v2
	s_lshl_b64 s[18:19], s[0:1], 4
	v_add_u32_e32 v1, 0x1900, v1
	v_addc_co_u32_e32 v3, vcc, 0, v3, vcc
	v_mov_b32_e32 v4, s19
.LBB223_15:                             ; =>This Inner Loop Header: Depth=1
	global_load_dwordx4 v[6:9], v[2:3], off offset:-8
	s_add_i32 s20, s20, -1
	v_add_co_u32_e32 v2, vcc, s18, v2
	v_addc_co_u32_e32 v3, vcc, v3, v4, vcc
	s_cmp_lg_u32 s20, 0
	s_waitcnt vmcnt(0)
	v_mul_f64 v[12:13], s[10:11], v[8:9]
	v_mul_f64 v[10:11], s[8:9], v[8:9]
	v_fma_f64 v[8:9], s[8:9], v[6:7], -v[12:13]
	v_fmac_f64_e32 v[10:11], s[10:11], v[6:7]
	ds_write_b128 v1, v[8:11]
	v_add_u32_e32 v1, 0x140, v1
	s_cbranch_scc1 .LBB223_15
.LBB223_16:
	s_or_b64 exec, exec, s[14:15]
	s_cmpk_eq_i32 s17, 0x6f
	s_cselect_b64 s[8:9], -1, 0
	s_cmpk_eq_i32 s16, 0x79
	s_cselect_b64 s[14:15], -1, 0
	s_cmpk_lg_i32 s16, 0x79
	s_cselect_b64 s[10:11], -1, 0
	s_and_b64 s[14:15], s[14:15], s[8:9]
	s_andn2_b64 vcc, exec, s[14:15]
	s_mov_b64 s[14:15], -1
	s_waitcnt lgkmcnt(0)
	; wave barrier
	s_waitcnt lgkmcnt(0)
	s_cbranch_vccz .LBB223_124
; %bb.17:
	s_cmpk_lg_i32 s16, 0x7a
	s_cselect_b64 s[16:17], -1, 0
	s_xor_b64 s[8:9], s[8:9], -1
	s_or_b64 s[16:17], s[16:17], s[8:9]
	s_cmp_gt_i32 s33, 3
	s_cselect_b64 s[8:9], -1, 0
	s_and_b64 vcc, exec, s[16:17]
	s_cbranch_vccz .LBB223_91
; %bb.18:
	s_andn2_b64 vcc, exec, s[10:11]
	s_mov_b64 s[10:11], -1
	s_cbranch_vccnz .LBB223_58
; %bb.19:
	s_andn2_b64 vcc, exec, s[8:9]
	s_mov_b32 s15, 0
	s_cbranch_vccnz .LBB223_42
; %bb.20:
	v_mov_b32_e32 v1, 0x1900
	v_lshl_add_u32 v1, v0, 4, v1
	s_mov_b32 s1, 0
	s_mov_b32 s14, 0
.LBB223_21:                             ; =>This Loop Header: Depth=1
                                        ;     Child Loop BB223_23 Depth 2
	s_mul_i32 s15, s14, 20
	v_add_lshl_u32 v14, s15, v0, 4
	s_add_i32 s16, s15, 20
	s_add_i32 s15, s15, 40
	v_add_lshl_u32 v16, s15, v0, 4
	v_add_lshl_u32 v15, s16, v0, 4
	ds_read_b128 v[18:21], v14 offset:6400
	ds_read_b128 v[10:13], v15 offset:6400
	;; [unrolled: 1-line block ×4, first 2 shown]
	s_cmp_eq_u32 s14, 0
	s_cbranch_scc1 .LBB223_24
; %bb.22:                               ;   in Loop: Header=BB223_21 Depth=1
	s_mov_b32 s10, 0
	v_mov_b32_e32 v17, v1
	s_mov_b32 s11, s1
.LBB223_23:                             ;   Parent Loop BB223_21 Depth=1
                                        ; =>  This Inner Loop Header: Depth=2
	v_mov_b32_e32 v58, s11
	ds_read_b128 v[22:25], v17
	ds_read_b128 v[26:29], v17 offset:320
	ds_read_b128 v[30:33], v58
	ds_read_b128 v[34:37], v58 offset:16
	ds_read_b128 v[38:41], v58 offset:32
	;; [unrolled: 1-line block ×7, first 2 shown]
	s_add_i32 s10, s10, 2
	s_addk_i32 s11, 0x280
	s_waitcnt lgkmcnt(7)
	v_mul_f64 v[62:63], v[24:25], v[32:33]
	v_mul_f64 v[32:33], v[22:23], v[32:33]
	s_waitcnt lgkmcnt(6)
	v_mul_f64 v[64:65], v[24:25], v[36:37]
	v_mul_f64 v[36:37], v[22:23], v[36:37]
	;; [unrolled: 3-line block ×8, first 2 shown]
	v_fma_f64 v[62:63], v[22:23], v[30:31], -v[62:63]
	v_fmac_f64_e32 v[32:33], v[24:25], v[30:31]
	v_fma_f64 v[30:31], v[22:23], v[34:35], -v[64:65]
	v_fmac_f64_e32 v[36:37], v[24:25], v[34:35]
	v_fma_f64 v[34:35], v[22:23], v[38:39], -v[66:67]
	v_fmac_f64_e32 v[40:41], v[24:25], v[38:39]
	v_fma_f64 v[22:23], v[22:23], v[42:43], -v[68:69]
	v_fmac_f64_e32 v[44:45], v[24:25], v[42:43]
	v_fma_f64 v[24:25], v[26:27], v[46:47], -v[70:71]
	v_fmac_f64_e32 v[48:49], v[28:29], v[46:47]
	v_fma_f64 v[38:39], v[26:27], v[50:51], -v[72:73]
	v_fmac_f64_e32 v[52:53], v[28:29], v[50:51]
	v_fma_f64 v[42:43], v[26:27], v[54:55], -v[74:75]
	v_fmac_f64_e32 v[56:57], v[28:29], v[54:55]
	v_fma_f64 v[26:27], v[26:27], v[58:59], -v[76:77]
	v_fmac_f64_e32 v[60:61], v[28:29], v[58:59]
	v_add_f64 v[18:19], v[18:19], -v[62:63]
	v_add_f64 v[20:21], v[20:21], -v[32:33]
	;; [unrolled: 1-line block ×8, first 2 shown]
	v_add_u32_e32 v17, 0x280, v17
	s_cmp_ge_u32 s10, s14
	v_add_f64 v[18:19], v[18:19], -v[24:25]
	v_add_f64 v[20:21], v[20:21], -v[48:49]
	;; [unrolled: 1-line block ×8, first 2 shown]
	s_cbranch_scc0 .LBB223_23
.LBB223_24:                             ;   in Loop: Header=BB223_21 Depth=1
	s_mul_i32 s17, s14, 0x150
	v_add_u32_e32 v28, 0x1900, v14
	v_mov_b32_e32 v14, s17
	ds_read_b128 v[22:25], v14
	v_add_u32_e32 v27, 0x1900, v15
	v_add_u32_e32 v26, 0x1900, v16
	s_waitcnt lgkmcnt(0)
	v_xor_b32_e32 v15, 0x80000000, v23
	v_cmp_gt_f64_e32 vcc, 0, v[22:23]
	v_xor_b32_e32 v16, 0x80000000, v25
	v_cndmask_b32_e32 v15, v23, v15, vcc
	v_cmp_gt_f64_e32 vcc, 0, v[24:25]
	v_mov_b32_e32 v14, v22
	v_cndmask_b32_e32 v17, v25, v16, vcc
	v_mov_b32_e32 v16, v24
	v_cmp_ngt_f64_e32 vcc, v[14:15], v[16:17]
	s_cbranch_vccz .LBB223_26
; %bb.25:                               ;   in Loop: Header=BB223_21 Depth=1
	v_div_scale_f64 v[14:15], s[10:11], v[24:25], v[24:25], v[22:23]
	v_rcp_f64_e32 v[16:17], v[14:15]
	v_div_scale_f64 v[30:31], vcc, v[22:23], v[24:25], v[22:23]
	v_fma_f64 v[32:33], -v[14:15], v[16:17], 1.0
	v_fmac_f64_e32 v[16:17], v[16:17], v[32:33]
	v_fma_f64 v[32:33], -v[14:15], v[16:17], 1.0
	v_fmac_f64_e32 v[16:17], v[16:17], v[32:33]
	v_mul_f64 v[32:33], v[30:31], v[16:17]
	v_fma_f64 v[14:15], -v[14:15], v[32:33], v[30:31]
	v_div_fmas_f64 v[14:15], v[14:15], v[16:17], v[32:33]
	v_div_fixup_f64 v[16:17], v[14:15], v[24:25], v[22:23]
	v_fma_f64 v[14:15], v[22:23], v[16:17], v[24:25]
	v_div_scale_f64 v[30:31], s[10:11], v[14:15], v[14:15], 1.0
	v_rcp_f64_e32 v[32:33], v[30:31]
	v_fma_f64 v[34:35], -v[30:31], v[32:33], 1.0
	v_fmac_f64_e32 v[32:33], v[32:33], v[34:35]
	v_fma_f64 v[34:35], -v[30:31], v[32:33], 1.0
	v_fmac_f64_e32 v[32:33], v[32:33], v[34:35]
	v_div_scale_f64 v[34:35], vcc, 1.0, v[14:15], 1.0
	v_mul_f64 v[36:37], v[34:35], v[32:33]
	v_fma_f64 v[30:31], -v[30:31], v[36:37], v[34:35]
	s_nop 1
	v_div_fmas_f64 v[30:31], v[30:31], v[32:33], v[36:37]
	v_div_fixup_f64 v[30:31], v[30:31], v[14:15], 1.0
	v_fma_f64 v[14:15], v[18:19], v[16:17], v[20:21]
	v_fma_f64 v[16:17], v[20:21], v[16:17], -v[18:19]
	v_mul_f64 v[14:15], v[14:15], v[30:31]
	v_mul_f64 v[16:17], v[16:17], v[30:31]
	s_cbranch_execz .LBB223_27
	s_branch .LBB223_28
.LBB223_26:                             ;   in Loop: Header=BB223_21 Depth=1
                                        ; implicit-def: $vgpr16_vgpr17
.LBB223_27:                             ;   in Loop: Header=BB223_21 Depth=1
	v_div_scale_f64 v[14:15], s[10:11], v[22:23], v[22:23], v[24:25]
	v_rcp_f64_e32 v[16:17], v[14:15]
	v_div_scale_f64 v[30:31], vcc, v[24:25], v[22:23], v[24:25]
	v_fma_f64 v[32:33], -v[14:15], v[16:17], 1.0
	v_fmac_f64_e32 v[16:17], v[16:17], v[32:33]
	v_fma_f64 v[32:33], -v[14:15], v[16:17], 1.0
	v_fmac_f64_e32 v[16:17], v[16:17], v[32:33]
	v_mul_f64 v[32:33], v[30:31], v[16:17]
	v_fma_f64 v[14:15], -v[14:15], v[32:33], v[30:31]
	v_div_fmas_f64 v[14:15], v[14:15], v[16:17], v[32:33]
	v_div_fixup_f64 v[16:17], v[14:15], v[22:23], v[24:25]
	v_fmac_f64_e32 v[22:23], v[24:25], v[16:17]
	v_div_scale_f64 v[14:15], s[10:11], v[22:23], v[22:23], 1.0
	v_rcp_f64_e32 v[24:25], v[14:15]
	v_fma_f64 v[30:31], -v[14:15], v[24:25], 1.0
	v_fmac_f64_e32 v[24:25], v[24:25], v[30:31]
	v_fma_f64 v[30:31], -v[14:15], v[24:25], 1.0
	v_fmac_f64_e32 v[24:25], v[24:25], v[30:31]
	v_div_scale_f64 v[30:31], vcc, 1.0, v[22:23], 1.0
	v_mul_f64 v[32:33], v[30:31], v[24:25]
	v_fma_f64 v[14:15], -v[14:15], v[32:33], v[30:31]
	s_nop 1
	v_div_fmas_f64 v[14:15], v[14:15], v[24:25], v[32:33]
	v_div_fixup_f64 v[22:23], v[14:15], v[22:23], 1.0
	v_fma_f64 v[14:15], v[20:21], v[16:17], v[18:19]
	v_fma_f64 v[16:17], -v[18:19], v[16:17], v[20:21]
	v_mul_f64 v[14:15], v[14:15], v[22:23]
	v_mul_f64 v[16:17], v[16:17], v[22:23]
.LBB223_28:                             ;   in Loop: Header=BB223_21 Depth=1
	v_mov_b32_e32 v18, s17
	ds_read_b128 v[22:25], v18 offset:16
	ds_read_b128 v[18:21], v18 offset:336
	ds_write_b128 v28, v[14:17]
	s_waitcnt lgkmcnt(2)
	v_mul_f64 v[28:29], v[16:17], v[24:25]
	v_mul_f64 v[24:25], v[14:15], v[24:25]
	v_fma_f64 v[28:29], v[14:15], v[22:23], -v[28:29]
	v_fmac_f64_e32 v[24:25], v[16:17], v[22:23]
	v_add_f64 v[22:23], v[10:11], -v[28:29]
	s_waitcnt lgkmcnt(1)
	v_xor_b32_e32 v10, 0x80000000, v19
	v_cmp_gt_f64_e32 vcc, 0, v[18:19]
	v_add_f64 v[24:25], v[12:13], -v[24:25]
	v_cndmask_b32_e32 v11, v19, v10, vcc
	v_xor_b32_e32 v12, 0x80000000, v21
	v_cmp_gt_f64_e32 vcc, 0, v[20:21]
	v_mov_b32_e32 v10, v18
	v_cndmask_b32_e32 v13, v21, v12, vcc
	v_mov_b32_e32 v12, v20
	v_cmp_ngt_f64_e32 vcc, v[10:11], v[12:13]
	s_cbranch_vccz .LBB223_30
; %bb.29:                               ;   in Loop: Header=BB223_21 Depth=1
	v_div_scale_f64 v[10:11], s[10:11], v[20:21], v[20:21], v[18:19]
	v_rcp_f64_e32 v[12:13], v[10:11]
	v_div_scale_f64 v[28:29], vcc, v[18:19], v[20:21], v[18:19]
	v_fma_f64 v[30:31], -v[10:11], v[12:13], 1.0
	v_fmac_f64_e32 v[12:13], v[12:13], v[30:31]
	v_fma_f64 v[30:31], -v[10:11], v[12:13], 1.0
	v_fmac_f64_e32 v[12:13], v[12:13], v[30:31]
	v_mul_f64 v[30:31], v[28:29], v[12:13]
	v_fma_f64 v[10:11], -v[10:11], v[30:31], v[28:29]
	v_div_fmas_f64 v[10:11], v[10:11], v[12:13], v[30:31]
	v_div_fixup_f64 v[12:13], v[10:11], v[20:21], v[18:19]
	v_fma_f64 v[10:11], v[18:19], v[12:13], v[20:21]
	v_div_scale_f64 v[28:29], s[10:11], v[10:11], v[10:11], 1.0
	v_rcp_f64_e32 v[30:31], v[28:29]
	v_fma_f64 v[32:33], -v[28:29], v[30:31], 1.0
	v_fmac_f64_e32 v[30:31], v[30:31], v[32:33]
	v_fma_f64 v[32:33], -v[28:29], v[30:31], 1.0
	v_fmac_f64_e32 v[30:31], v[30:31], v[32:33]
	v_div_scale_f64 v[32:33], vcc, 1.0, v[10:11], 1.0
	v_mul_f64 v[34:35], v[32:33], v[30:31]
	v_fma_f64 v[28:29], -v[28:29], v[34:35], v[32:33]
	s_nop 1
	v_div_fmas_f64 v[28:29], v[28:29], v[30:31], v[34:35]
	v_div_fixup_f64 v[28:29], v[28:29], v[10:11], 1.0
	v_fma_f64 v[10:11], v[12:13], v[22:23], v[24:25]
	v_fma_f64 v[12:13], v[12:13], v[24:25], -v[22:23]
	v_mul_f64 v[10:11], v[10:11], v[28:29]
	v_mul_f64 v[12:13], v[12:13], v[28:29]
	s_cbranch_execz .LBB223_31
	s_branch .LBB223_32
.LBB223_30:                             ;   in Loop: Header=BB223_21 Depth=1
                                        ; implicit-def: $vgpr12_vgpr13
.LBB223_31:                             ;   in Loop: Header=BB223_21 Depth=1
	v_div_scale_f64 v[10:11], s[10:11], v[18:19], v[18:19], v[20:21]
	v_rcp_f64_e32 v[12:13], v[10:11]
	v_div_scale_f64 v[28:29], vcc, v[20:21], v[18:19], v[20:21]
	v_fma_f64 v[30:31], -v[10:11], v[12:13], 1.0
	v_fmac_f64_e32 v[12:13], v[12:13], v[30:31]
	v_fma_f64 v[30:31], -v[10:11], v[12:13], 1.0
	v_fmac_f64_e32 v[12:13], v[12:13], v[30:31]
	v_mul_f64 v[30:31], v[28:29], v[12:13]
	v_fma_f64 v[10:11], -v[10:11], v[30:31], v[28:29]
	v_div_fmas_f64 v[10:11], v[10:11], v[12:13], v[30:31]
	v_div_fixup_f64 v[12:13], v[10:11], v[18:19], v[20:21]
	v_fmac_f64_e32 v[18:19], v[20:21], v[12:13]
	v_div_scale_f64 v[10:11], s[10:11], v[18:19], v[18:19], 1.0
	v_rcp_f64_e32 v[20:21], v[10:11]
	v_fma_f64 v[28:29], -v[10:11], v[20:21], 1.0
	v_fmac_f64_e32 v[20:21], v[20:21], v[28:29]
	v_fma_f64 v[28:29], -v[10:11], v[20:21], 1.0
	v_fmac_f64_e32 v[20:21], v[20:21], v[28:29]
	v_div_scale_f64 v[28:29], vcc, 1.0, v[18:19], 1.0
	v_mul_f64 v[30:31], v[28:29], v[20:21]
	v_fma_f64 v[10:11], -v[10:11], v[30:31], v[28:29]
	s_nop 1
	v_div_fmas_f64 v[10:11], v[10:11], v[20:21], v[30:31]
	v_div_fixup_f64 v[18:19], v[10:11], v[18:19], 1.0
	v_fma_f64 v[10:11], v[12:13], v[24:25], v[22:23]
	v_fma_f64 v[12:13], -v[12:13], v[22:23], v[24:25]
	v_mul_f64 v[10:11], v[10:11], v[18:19]
	v_mul_f64 v[12:13], v[12:13], v[18:19]
.LBB223_32:                             ;   in Loop: Header=BB223_21 Depth=1
	v_mov_b32_e32 v18, s17
	ds_read_b128 v[22:25], v18 offset:32
	s_add_i32 s16, s16, s14
	s_lshl_b32 s16, s16, 4
	ds_write_b128 v27, v[10:13]
	v_mov_b32_e32 v27, s16
	s_waitcnt lgkmcnt(1)
	v_mul_f64 v[28:29], v[16:17], v[24:25]
	ds_read_b128 v[18:21], v18 offset:672
	v_fma_f64 v[32:33], v[14:15], v[22:23], -v[28:29]
	ds_read_b128 v[28:31], v27 offset:32
	v_mul_f64 v[24:25], v[14:15], v[24:25]
	v_fmac_f64_e32 v[24:25], v[16:17], v[22:23]
	v_add_f64 v[6:7], v[6:7], -v[32:33]
	v_add_f64 v[8:9], v[8:9], -v[24:25]
	s_waitcnt lgkmcnt(0)
	v_mul_f64 v[22:23], v[12:13], v[30:31]
	v_fma_f64 v[22:23], v[10:11], v[28:29], -v[22:23]
	v_mul_f64 v[24:25], v[10:11], v[30:31]
	v_fmac_f64_e32 v[24:25], v[12:13], v[28:29]
	v_add_f64 v[6:7], v[6:7], -v[22:23]
	v_xor_b32_e32 v22, 0x80000000, v19
	v_cmp_gt_f64_e32 vcc, 0, v[18:19]
	v_add_f64 v[8:9], v[8:9], -v[24:25]
	v_cndmask_b32_e32 v23, v19, v22, vcc
	v_xor_b32_e32 v24, 0x80000000, v21
	v_cmp_gt_f64_e32 vcc, 0, v[20:21]
	v_mov_b32_e32 v22, v18
	v_cndmask_b32_e32 v25, v21, v24, vcc
	v_mov_b32_e32 v24, v20
	v_cmp_ngt_f64_e32 vcc, v[22:23], v[24:25]
	s_cbranch_vccz .LBB223_34
; %bb.33:                               ;   in Loop: Header=BB223_21 Depth=1
	v_div_scale_f64 v[22:23], s[10:11], v[20:21], v[20:21], v[18:19]
	v_rcp_f64_e32 v[24:25], v[22:23]
	v_div_scale_f64 v[28:29], vcc, v[18:19], v[20:21], v[18:19]
	v_fma_f64 v[30:31], -v[22:23], v[24:25], 1.0
	v_fmac_f64_e32 v[24:25], v[24:25], v[30:31]
	v_fma_f64 v[30:31], -v[22:23], v[24:25], 1.0
	v_fmac_f64_e32 v[24:25], v[24:25], v[30:31]
	v_mul_f64 v[30:31], v[28:29], v[24:25]
	v_fma_f64 v[22:23], -v[22:23], v[30:31], v[28:29]
	v_div_fmas_f64 v[22:23], v[22:23], v[24:25], v[30:31]
	v_div_fixup_f64 v[24:25], v[22:23], v[20:21], v[18:19]
	v_fma_f64 v[22:23], v[18:19], v[24:25], v[20:21]
	v_div_scale_f64 v[28:29], s[10:11], v[22:23], v[22:23], 1.0
	v_rcp_f64_e32 v[30:31], v[28:29]
	v_fma_f64 v[32:33], -v[28:29], v[30:31], 1.0
	v_fmac_f64_e32 v[30:31], v[30:31], v[32:33]
	v_fma_f64 v[32:33], -v[28:29], v[30:31], 1.0
	v_fmac_f64_e32 v[30:31], v[30:31], v[32:33]
	v_div_scale_f64 v[32:33], vcc, 1.0, v[22:23], 1.0
	v_mul_f64 v[34:35], v[32:33], v[30:31]
	v_fma_f64 v[28:29], -v[28:29], v[34:35], v[32:33]
	s_nop 1
	v_div_fmas_f64 v[28:29], v[28:29], v[30:31], v[34:35]
	v_div_fixup_f64 v[28:29], v[28:29], v[22:23], 1.0
	v_fma_f64 v[22:23], v[24:25], v[6:7], v[8:9]
	v_fma_f64 v[24:25], v[24:25], v[8:9], -v[6:7]
	v_mul_f64 v[22:23], v[22:23], v[28:29]
	v_mul_f64 v[24:25], v[24:25], v[28:29]
	s_cbranch_execz .LBB223_35
	s_branch .LBB223_36
.LBB223_34:                             ;   in Loop: Header=BB223_21 Depth=1
                                        ; implicit-def: $vgpr24_vgpr25
.LBB223_35:                             ;   in Loop: Header=BB223_21 Depth=1
	v_div_scale_f64 v[22:23], s[10:11], v[18:19], v[18:19], v[20:21]
	v_rcp_f64_e32 v[24:25], v[22:23]
	v_div_scale_f64 v[28:29], vcc, v[20:21], v[18:19], v[20:21]
	v_fma_f64 v[30:31], -v[22:23], v[24:25], 1.0
	v_fmac_f64_e32 v[24:25], v[24:25], v[30:31]
	v_fma_f64 v[30:31], -v[22:23], v[24:25], 1.0
	v_fmac_f64_e32 v[24:25], v[24:25], v[30:31]
	v_mul_f64 v[30:31], v[28:29], v[24:25]
	v_fma_f64 v[22:23], -v[22:23], v[30:31], v[28:29]
	v_div_fmas_f64 v[22:23], v[22:23], v[24:25], v[30:31]
	v_div_fixup_f64 v[24:25], v[22:23], v[18:19], v[20:21]
	v_fmac_f64_e32 v[18:19], v[20:21], v[24:25]
	v_div_scale_f64 v[20:21], s[10:11], v[18:19], v[18:19], 1.0
	v_rcp_f64_e32 v[22:23], v[20:21]
	v_fma_f64 v[28:29], -v[20:21], v[22:23], 1.0
	v_fmac_f64_e32 v[22:23], v[22:23], v[28:29]
	v_fma_f64 v[28:29], -v[20:21], v[22:23], 1.0
	v_fmac_f64_e32 v[22:23], v[22:23], v[28:29]
	v_div_scale_f64 v[28:29], vcc, 1.0, v[18:19], 1.0
	v_mul_f64 v[30:31], v[28:29], v[22:23]
	v_fma_f64 v[20:21], -v[20:21], v[30:31], v[28:29]
	s_nop 1
	v_div_fmas_f64 v[20:21], v[20:21], v[22:23], v[30:31]
	v_div_fixup_f64 v[18:19], v[20:21], v[18:19], 1.0
	v_fma_f64 v[20:21], v[24:25], v[8:9], v[6:7]
	v_fma_f64 v[6:7], -v[24:25], v[6:7], v[8:9]
	v_mul_f64 v[22:23], v[20:21], v[18:19]
	v_mul_f64 v[24:25], v[6:7], v[18:19]
.LBB223_36:                             ;   in Loop: Header=BB223_21 Depth=1
	v_mov_b32_e32 v6, s17
	ds_read_b128 v[18:21], v6 offset:48
	s_add_i32 s15, s15, s14
	s_lshl_b32 s10, s15, 4
	ds_read_b128 v[6:9], v6 offset:1008
	ds_write_b128 v26, v[22:25]
	s_waitcnt lgkmcnt(2)
	v_mul_f64 v[28:29], v[16:17], v[20:21]
	v_mul_f64 v[20:21], v[14:15], v[20:21]
	v_fma_f64 v[14:15], v[14:15], v[18:19], -v[28:29]
	v_fmac_f64_e32 v[20:21], v[16:17], v[18:19]
	v_add_f64 v[18:19], v[2:3], -v[14:15]
	v_mov_b32_e32 v2, s16
	v_add_f64 v[20:21], v[4:5], -v[20:21]
	ds_read_b128 v[2:5], v2 offset:48
	v_mov_b32_e32 v14, s10
	ds_read_b128 v[14:17], v14 offset:48
	s_waitcnt lgkmcnt(3)
	v_cmp_gt_f64_e32 vcc, 0, v[6:7]
	s_waitcnt lgkmcnt(1)
	v_mul_f64 v[28:29], v[12:13], v[4:5]
	v_fma_f64 v[28:29], v[10:11], v[2:3], -v[28:29]
	v_mul_f64 v[4:5], v[10:11], v[4:5]
	s_waitcnt lgkmcnt(0)
	v_mul_f64 v[10:11], v[24:25], v[16:17]
	v_fmac_f64_e32 v[4:5], v[12:13], v[2:3]
	v_add_f64 v[2:3], v[18:19], -v[28:29]
	v_fma_f64 v[10:11], v[22:23], v[14:15], -v[10:11]
	v_mul_f64 v[12:13], v[22:23], v[16:17]
	v_add_f64 v[4:5], v[20:21], -v[4:5]
	v_fmac_f64_e32 v[12:13], v[24:25], v[14:15]
	v_add_f64 v[10:11], v[2:3], -v[10:11]
	v_xor_b32_e32 v2, 0x80000000, v7
	v_add_f64 v[12:13], v[4:5], -v[12:13]
	v_cndmask_b32_e32 v3, v7, v2, vcc
	v_xor_b32_e32 v4, 0x80000000, v9
	v_cmp_gt_f64_e32 vcc, 0, v[8:9]
	v_mov_b32_e32 v2, v6
	v_cndmask_b32_e32 v5, v9, v4, vcc
	v_mov_b32_e32 v4, v8
	v_cmp_ngt_f64_e32 vcc, v[2:3], v[4:5]
	s_cbranch_vccz .LBB223_38
; %bb.37:                               ;   in Loop: Header=BB223_21 Depth=1
	v_div_scale_f64 v[2:3], s[10:11], v[8:9], v[8:9], v[6:7]
	v_rcp_f64_e32 v[4:5], v[2:3]
	v_div_scale_f64 v[14:15], vcc, v[6:7], v[8:9], v[6:7]
	v_fma_f64 v[16:17], -v[2:3], v[4:5], 1.0
	v_fmac_f64_e32 v[4:5], v[4:5], v[16:17]
	v_fma_f64 v[16:17], -v[2:3], v[4:5], 1.0
	v_fmac_f64_e32 v[4:5], v[4:5], v[16:17]
	v_mul_f64 v[16:17], v[14:15], v[4:5]
	v_fma_f64 v[2:3], -v[2:3], v[16:17], v[14:15]
	v_div_fmas_f64 v[2:3], v[2:3], v[4:5], v[16:17]
	v_div_fixup_f64 v[4:5], v[2:3], v[8:9], v[6:7]
	v_fma_f64 v[2:3], v[6:7], v[4:5], v[8:9]
	v_div_scale_f64 v[14:15], s[10:11], v[2:3], v[2:3], 1.0
	v_rcp_f64_e32 v[16:17], v[14:15]
	v_fma_f64 v[18:19], -v[14:15], v[16:17], 1.0
	v_fmac_f64_e32 v[16:17], v[16:17], v[18:19]
	v_fma_f64 v[18:19], -v[14:15], v[16:17], 1.0
	v_fmac_f64_e32 v[16:17], v[16:17], v[18:19]
	v_div_scale_f64 v[18:19], vcc, 1.0, v[2:3], 1.0
	v_mul_f64 v[20:21], v[18:19], v[16:17]
	v_fma_f64 v[14:15], -v[14:15], v[20:21], v[18:19]
	s_nop 1
	v_div_fmas_f64 v[14:15], v[14:15], v[16:17], v[20:21]
	v_div_fixup_f64 v[14:15], v[14:15], v[2:3], 1.0
	v_fma_f64 v[2:3], v[4:5], v[10:11], v[12:13]
	v_fma_f64 v[4:5], v[4:5], v[12:13], -v[10:11]
	v_mul_f64 v[2:3], v[2:3], v[14:15]
	v_mul_f64 v[4:5], v[4:5], v[14:15]
	s_cbranch_execz .LBB223_39
	s_branch .LBB223_40
.LBB223_38:                             ;   in Loop: Header=BB223_21 Depth=1
                                        ; implicit-def: $vgpr4_vgpr5
.LBB223_39:                             ;   in Loop: Header=BB223_21 Depth=1
	v_div_scale_f64 v[2:3], s[10:11], v[6:7], v[6:7], v[8:9]
	v_rcp_f64_e32 v[4:5], v[2:3]
	v_div_scale_f64 v[14:15], vcc, v[8:9], v[6:7], v[8:9]
	v_fma_f64 v[16:17], -v[2:3], v[4:5], 1.0
	v_fmac_f64_e32 v[4:5], v[4:5], v[16:17]
	v_fma_f64 v[16:17], -v[2:3], v[4:5], 1.0
	v_fmac_f64_e32 v[4:5], v[4:5], v[16:17]
	v_mul_f64 v[16:17], v[14:15], v[4:5]
	v_fma_f64 v[2:3], -v[2:3], v[16:17], v[14:15]
	v_div_fmas_f64 v[2:3], v[2:3], v[4:5], v[16:17]
	v_div_fixup_f64 v[4:5], v[2:3], v[6:7], v[8:9]
	v_fmac_f64_e32 v[6:7], v[8:9], v[4:5]
	v_div_scale_f64 v[2:3], s[10:11], v[6:7], v[6:7], 1.0
	v_rcp_f64_e32 v[8:9], v[2:3]
	v_fma_f64 v[14:15], -v[2:3], v[8:9], 1.0
	v_fmac_f64_e32 v[8:9], v[8:9], v[14:15]
	v_fma_f64 v[14:15], -v[2:3], v[8:9], 1.0
	v_fmac_f64_e32 v[8:9], v[8:9], v[14:15]
	v_div_scale_f64 v[14:15], vcc, 1.0, v[6:7], 1.0
	v_mul_f64 v[16:17], v[14:15], v[8:9]
	v_fma_f64 v[2:3], -v[2:3], v[16:17], v[14:15]
	s_nop 1
	v_div_fmas_f64 v[2:3], v[2:3], v[8:9], v[16:17]
	v_div_fixup_f64 v[6:7], v[2:3], v[6:7], 1.0
	v_fma_f64 v[2:3], v[4:5], v[12:13], v[10:11]
	v_fma_f64 v[4:5], -v[4:5], v[10:11], v[12:13]
	v_mul_f64 v[2:3], v[2:3], v[6:7]
	v_mul_f64 v[4:5], v[4:5], v[6:7]
.LBB223_40:                             ;   in Loop: Header=BB223_21 Depth=1
	s_add_i32 s15, s14, 4
	s_add_i32 s10, s14, 7
	;; [unrolled: 1-line block ×3, first 2 shown]
	s_cmp_ge_i32 s10, s34
	ds_write_b128 v26, v[2:5] offset:320
	s_cbranch_scc1 .LBB223_42
; %bb.41:                               ;   in Loop: Header=BB223_21 Depth=1
	s_mov_b32 s14, s15
	s_branch .LBB223_21
.LBB223_42:
	s_cmp_ge_i32 s15, s34
	s_cbranch_scc1 .LBB223_57
; %bb.43:
	v_mov_b32_e32 v1, 0x1900
	s_add_i32 s1, s15, -1
	s_lshl_b32 s14, s15, 4
	v_lshl_add_u32 v1, v0, 4, v1
	s_mov_b32 s16, 0
	s_mov_b32 s17, s15
	s_branch .LBB223_45
.LBB223_44:                             ;   in Loop: Header=BB223_45 Depth=1
	s_add_i32 s15, s15, 1
	s_add_i32 s16, s16, 1
	;; [unrolled: 1-line block ×3, first 2 shown]
	v_add_u16_e64 v2, s17, 1
	s_cmp_ge_i32 s15, s34
	v_readfirstlane_b32 s17, v2
	ds_write_b128 v14, v[10:13]
	s_cbranch_scc1 .LBB223_57
.LBB223_45:                             ; =>This Loop Header: Depth=1
                                        ;     Child Loop BB223_48 Depth 2
                                        ;     Child Loop BB223_52 Depth 2
	s_mul_i32 s10, s15, 20
	v_add_lshl_u32 v6, s10, v0, 4
	ds_read_b128 v[2:5], v6 offset:6400
	s_cmp_eq_u32 s15, 0
	s_cbranch_scc1 .LBB223_53
; %bb.46:                               ;   in Loop: Header=BB223_45 Depth=1
	s_add_i32 s10, s1, s16
	s_cmp_lt_u32 s10, 7
	s_cbranch_scc1 .LBB223_50
; %bb.47:                               ;   in Loop: Header=BB223_45 Depth=1
	s_and_b32 s10, s15, -8
	s_mov_b32 s11, 0
	v_mov_b32_e32 v7, v1
	s_mov_b32 s18, s14
.LBB223_48:                             ;   Parent Loop BB223_45 Depth=1
                                        ; =>  This Inner Loop Header: Depth=2
	v_mov_b32_e32 v68, s18
	ds_read_b128 v[8:11], v7
	ds_read_b128 v[12:15], v7 offset:320
	ds_read_b128 v[16:19], v7 offset:640
	;; [unrolled: 1-line block ×7, first 2 shown]
	ds_read_b128 v[40:43], v68
	ds_read_b128 v[44:47], v68 offset:320
	ds_read_b128 v[48:51], v68 offset:640
	;; [unrolled: 1-line block ×7, first 2 shown]
	s_waitcnt lgkmcnt(7)
	v_mul_f64 v[72:73], v[42:43], v[10:11]
	v_mul_f64 v[10:11], v[40:41], v[10:11]
	s_waitcnt lgkmcnt(6)
	v_mul_f64 v[74:75], v[46:47], v[14:15]
	v_mul_f64 v[14:15], v[44:45], v[14:15]
	v_fma_f64 v[40:41], v[40:41], v[8:9], -v[72:73]
	v_fmac_f64_e32 v[10:11], v[42:43], v[8:9]
	s_waitcnt lgkmcnt(5)
	v_mul_f64 v[76:77], v[50:51], v[18:19]
	v_mul_f64 v[18:19], v[48:49], v[18:19]
	v_fma_f64 v[8:9], v[44:45], v[12:13], -v[74:75]
	v_fmac_f64_e32 v[14:15], v[46:47], v[12:13]
	v_add_f64 v[2:3], v[2:3], -v[40:41]
	v_add_f64 v[4:5], v[4:5], -v[10:11]
	s_waitcnt lgkmcnt(4)
	v_mul_f64 v[78:79], v[54:55], v[22:23]
	v_mul_f64 v[22:23], v[52:53], v[22:23]
	v_fma_f64 v[12:13], v[48:49], v[16:17], -v[76:77]
	v_fmac_f64_e32 v[18:19], v[50:51], v[16:17]
	v_add_f64 v[2:3], v[2:3], -v[8:9]
	v_add_f64 v[4:5], v[4:5], -v[14:15]
	;; [unrolled: 7-line block ×6, first 2 shown]
	s_add_i32 s11, s11, 8
	s_addk_i32 s18, 0xa00
	v_fma_f64 v[32:33], v[68:69], v[36:37], -v[86:87]
	v_fmac_f64_e32 v[38:39], v[70:71], v[36:37]
	v_add_f64 v[2:3], v[2:3], -v[28:29]
	v_add_f64 v[4:5], v[4:5], -v[34:35]
	v_add_u32_e32 v7, 0xa00, v7
	s_cmp_eq_u32 s10, s11
	v_add_f64 v[2:3], v[2:3], -v[32:33]
	v_add_f64 v[4:5], v[4:5], -v[38:39]
	s_cbranch_scc0 .LBB223_48
; %bb.49:                               ;   in Loop: Header=BB223_45 Depth=1
	s_and_b32 s11, s15, 7
	s_cmp_eq_u32 s11, 0
	s_cbranch_scc0 .LBB223_51
	s_branch .LBB223_53
.LBB223_50:                             ;   in Loop: Header=BB223_45 Depth=1
	s_mov_b32 s10, 0
	s_and_b32 s11, s15, 7
	s_cmp_eq_u32 s11, 0
	s_cbranch_scc1 .LBB223_53
.LBB223_51:                             ;   in Loop: Header=BB223_45 Depth=1
	s_and_b32 s11, s17, 7
	s_mulk_i32 s10, 0x140
.LBB223_52:                             ;   Parent Loop BB223_45 Depth=1
                                        ; =>  This Inner Loop Header: Depth=2
	s_add_i32 s18, s14, s10
	v_add_u32_e32 v7, s10, v1
	v_mov_b32_e32 v12, s18
	ds_read_b128 v[8:11], v7
	ds_read_b128 v[12:15], v12
	s_add_i32 s11, s11, -1
	s_addk_i32 s10, 0x140
	s_cmp_lg_u32 s11, 0
	s_waitcnt lgkmcnt(0)
	v_mul_f64 v[16:17], v[14:15], v[10:11]
	v_mul_f64 v[10:11], v[12:13], v[10:11]
	v_fma_f64 v[12:13], v[12:13], v[8:9], -v[16:17]
	v_fmac_f64_e32 v[10:11], v[14:15], v[8:9]
	v_add_f64 v[2:3], v[2:3], -v[12:13]
	v_add_f64 v[4:5], v[4:5], -v[10:11]
	s_cbranch_scc1 .LBB223_52
.LBB223_53:                             ;   in Loop: Header=BB223_45 Depth=1
	s_mul_i32 s10, s15, 0x150
	v_add_u32_e32 v14, 0x1900, v6
	v_mov_b32_e32 v6, s10
	ds_read_b128 v[6:9], v6
	s_waitcnt lgkmcnt(0)
	v_xor_b32_e32 v11, 0x80000000, v7
	v_cmp_gt_f64_e32 vcc, 0, v[6:7]
	v_xor_b32_e32 v12, 0x80000000, v9
	v_cndmask_b32_e32 v11, v7, v11, vcc
	v_cmp_gt_f64_e32 vcc, 0, v[8:9]
	v_mov_b32_e32 v10, v6
	v_cndmask_b32_e32 v13, v9, v12, vcc
	v_mov_b32_e32 v12, v8
	v_cmp_ngt_f64_e32 vcc, v[10:11], v[12:13]
	s_cbranch_vccz .LBB223_55
; %bb.54:                               ;   in Loop: Header=BB223_45 Depth=1
	v_div_scale_f64 v[10:11], s[10:11], v[8:9], v[8:9], v[6:7]
	v_rcp_f64_e32 v[12:13], v[10:11]
	v_div_scale_f64 v[16:17], vcc, v[6:7], v[8:9], v[6:7]
	v_fma_f64 v[18:19], -v[10:11], v[12:13], 1.0
	v_fmac_f64_e32 v[12:13], v[12:13], v[18:19]
	v_fma_f64 v[18:19], -v[10:11], v[12:13], 1.0
	v_fmac_f64_e32 v[12:13], v[12:13], v[18:19]
	v_mul_f64 v[18:19], v[16:17], v[12:13]
	v_fma_f64 v[10:11], -v[10:11], v[18:19], v[16:17]
	v_div_fmas_f64 v[10:11], v[10:11], v[12:13], v[18:19]
	v_div_fixup_f64 v[12:13], v[10:11], v[8:9], v[6:7]
	v_fma_f64 v[10:11], v[6:7], v[12:13], v[8:9]
	v_div_scale_f64 v[16:17], s[10:11], v[10:11], v[10:11], 1.0
	v_rcp_f64_e32 v[18:19], v[16:17]
	v_fma_f64 v[20:21], -v[16:17], v[18:19], 1.0
	v_fmac_f64_e32 v[18:19], v[18:19], v[20:21]
	v_fma_f64 v[20:21], -v[16:17], v[18:19], 1.0
	v_fmac_f64_e32 v[18:19], v[18:19], v[20:21]
	v_div_scale_f64 v[20:21], vcc, 1.0, v[10:11], 1.0
	v_mul_f64 v[22:23], v[20:21], v[18:19]
	v_fma_f64 v[16:17], -v[16:17], v[22:23], v[20:21]
	s_nop 1
	v_div_fmas_f64 v[16:17], v[16:17], v[18:19], v[22:23]
	v_div_fixup_f64 v[16:17], v[16:17], v[10:11], 1.0
	v_fma_f64 v[10:11], v[2:3], v[12:13], v[4:5]
	v_fma_f64 v[12:13], v[4:5], v[12:13], -v[2:3]
	v_mul_f64 v[10:11], v[10:11], v[16:17]
	v_mul_f64 v[12:13], v[12:13], v[16:17]
	s_cbranch_execnz .LBB223_44
	s_branch .LBB223_56
.LBB223_55:                             ;   in Loop: Header=BB223_45 Depth=1
                                        ; implicit-def: $vgpr10_vgpr11
.LBB223_56:                             ;   in Loop: Header=BB223_45 Depth=1
	v_div_scale_f64 v[10:11], s[10:11], v[6:7], v[6:7], v[8:9]
	v_rcp_f64_e32 v[12:13], v[10:11]
	v_div_scale_f64 v[16:17], vcc, v[8:9], v[6:7], v[8:9]
	v_fma_f64 v[18:19], -v[10:11], v[12:13], 1.0
	v_fmac_f64_e32 v[12:13], v[12:13], v[18:19]
	v_fma_f64 v[18:19], -v[10:11], v[12:13], 1.0
	v_fmac_f64_e32 v[12:13], v[12:13], v[18:19]
	v_mul_f64 v[18:19], v[16:17], v[12:13]
	v_fma_f64 v[10:11], -v[10:11], v[18:19], v[16:17]
	v_div_fmas_f64 v[10:11], v[10:11], v[12:13], v[18:19]
	v_div_fixup_f64 v[12:13], v[10:11], v[6:7], v[8:9]
	v_fmac_f64_e32 v[6:7], v[8:9], v[12:13]
	v_div_scale_f64 v[8:9], s[10:11], v[6:7], v[6:7], 1.0
	v_rcp_f64_e32 v[10:11], v[8:9]
	v_fma_f64 v[16:17], -v[8:9], v[10:11], 1.0
	v_fmac_f64_e32 v[10:11], v[10:11], v[16:17]
	v_fma_f64 v[16:17], -v[8:9], v[10:11], 1.0
	v_fmac_f64_e32 v[10:11], v[10:11], v[16:17]
	v_div_scale_f64 v[16:17], vcc, 1.0, v[6:7], 1.0
	v_mul_f64 v[18:19], v[16:17], v[10:11]
	v_fma_f64 v[8:9], -v[8:9], v[18:19], v[16:17]
	s_nop 1
	v_div_fmas_f64 v[8:9], v[8:9], v[10:11], v[18:19]
	v_div_fixup_f64 v[6:7], v[8:9], v[6:7], 1.0
	v_fma_f64 v[8:9], v[4:5], v[12:13], v[2:3]
	v_fma_f64 v[2:3], -v[2:3], v[12:13], v[4:5]
	v_mul_f64 v[10:11], v[8:9], v[6:7]
	v_mul_f64 v[12:13], v[2:3], v[6:7]
	s_branch .LBB223_44
.LBB223_57:
	s_mov_b64 s[10:11], 0
.LBB223_58:
	s_and_b64 vcc, exec, s[10:11]
	s_cbranch_vccz .LBB223_90
; %bb.59:
	s_andn2_b64 vcc, exec, s[8:9]
	s_mov_b32 s15, s35
	s_cbranch_vccnz .LBB223_81
; %bb.60:
	s_mul_i32 s1, s34, 0x140
	v_lshl_add_u32 v1, v0, 4, s1
	s_mul_i32 s1, s34, 0x150
	v_add_u32_e32 v1, 0x1680, v1
	s_addk_i32 s1, 0xfd40
	s_mov_b32 s14, s35
.LBB223_61:                             ; =>This Loop Header: Depth=1
                                        ;     Child Loop BB223_62 Depth 2
	s_mul_i32 s17, s14, 20
	s_sub_i32 s15, s17, 40
	v_add_lshl_u32 v18, s17, v0, 4
	s_sub_i32 s16, s17, 20
	v_add_lshl_u32 v20, s15, v0, 4
	v_add_lshl_u32 v19, s16, v0, 4
	ds_read_b128 v[14:17], v18 offset:6400
	ds_read_b128 v[10:13], v19 offset:6400
	;; [unrolled: 1-line block ×4, first 2 shown]
	s_cmp_le_i32 s35, s14
	s_mov_b32 s10, s1
	v_mov_b32_e32 v21, v1
	s_mov_b32 s11, s35
	s_cbranch_scc1 .LBB223_63
.LBB223_62:                             ;   Parent Loop BB223_61 Depth=1
                                        ; =>  This Inner Loop Header: Depth=2
	v_mov_b32_e32 v58, s10
	ds_read_b128 v[22:25], v21 offset:320
	ds_read_b128 v[26:29], v21
	ds_read_b128 v[30:33], v58 offset:368
	ds_read_b128 v[34:37], v58 offset:352
	;; [unrolled: 1-line block ×4, first 2 shown]
	ds_read_b128 v[46:49], v58
	ds_read_b128 v[50:53], v58 offset:16
	ds_read_b128 v[54:57], v58 offset:32
	;; [unrolled: 1-line block ×3, first 2 shown]
	s_add_i32 s11, s11, -2
	s_addk_i32 s10, 0xfd80
	s_waitcnt lgkmcnt(7)
	v_mul_f64 v[62:63], v[24:25], v[32:33]
	v_mul_f64 v[32:33], v[22:23], v[32:33]
	s_waitcnt lgkmcnt(6)
	v_mul_f64 v[64:65], v[24:25], v[36:37]
	v_mul_f64 v[36:37], v[22:23], v[36:37]
	;; [unrolled: 3-line block ×5, first 2 shown]
	v_mul_f64 v[72:73], v[28:29], v[56:57]
	v_mul_f64 v[56:57], v[26:27], v[56:57]
	;; [unrolled: 1-line block ×6, first 2 shown]
	v_fma_f64 v[62:63], v[22:23], v[30:31], -v[62:63]
	v_fmac_f64_e32 v[32:33], v[24:25], v[30:31]
	v_fma_f64 v[30:31], v[22:23], v[34:35], -v[64:65]
	v_fmac_f64_e32 v[36:37], v[24:25], v[34:35]
	;; [unrolled: 2-line block ×8, first 2 shown]
	v_add_f64 v[14:15], v[14:15], -v[62:63]
	v_add_f64 v[16:17], v[16:17], -v[32:33]
	;; [unrolled: 1-line block ×8, first 2 shown]
	v_add_u32_e32 v21, 0xfffffd80, v21
	s_cmp_le_i32 s11, s14
	v_add_f64 v[14:15], v[14:15], -v[24:25]
	v_add_f64 v[16:17], v[16:17], -v[60:61]
	;; [unrolled: 1-line block ×8, first 2 shown]
	s_cbranch_scc0 .LBB223_62
.LBB223_63:                             ;   in Loop: Header=BB223_61 Depth=1
	s_mul_i32 s18, s14, 0x150
	v_add_u32_e32 v29, 0x1900, v18
	v_mov_b32_e32 v18, s18
	ds_read_b128 v[22:25], v18
	v_add_u32_e32 v28, 0x1900, v19
	v_add_u32_e32 v27, 0x1900, v20
	;; [unrolled: 1-line block ×3, first 2 shown]
	s_waitcnt lgkmcnt(0)
	v_xor_b32_e32 v19, 0x80000000, v23
	v_cmp_gt_f64_e32 vcc, 0, v[22:23]
	v_xor_b32_e32 v20, 0x80000000, v25
	v_cndmask_b32_e32 v19, v23, v19, vcc
	v_cmp_gt_f64_e32 vcc, 0, v[24:25]
	v_mov_b32_e32 v18, v22
	v_cndmask_b32_e32 v21, v25, v20, vcc
	v_mov_b32_e32 v20, v24
	v_cmp_ngt_f64_e32 vcc, v[18:19], v[20:21]
	s_cbranch_vccz .LBB223_65
; %bb.64:                               ;   in Loop: Header=BB223_61 Depth=1
	v_div_scale_f64 v[18:19], s[10:11], v[24:25], v[24:25], v[22:23]
	v_rcp_f64_e32 v[20:21], v[18:19]
	v_div_scale_f64 v[30:31], vcc, v[22:23], v[24:25], v[22:23]
	v_fma_f64 v[32:33], -v[18:19], v[20:21], 1.0
	v_fmac_f64_e32 v[20:21], v[20:21], v[32:33]
	v_fma_f64 v[32:33], -v[18:19], v[20:21], 1.0
	v_fmac_f64_e32 v[20:21], v[20:21], v[32:33]
	v_mul_f64 v[32:33], v[30:31], v[20:21]
	v_fma_f64 v[18:19], -v[18:19], v[32:33], v[30:31]
	v_div_fmas_f64 v[18:19], v[18:19], v[20:21], v[32:33]
	v_div_fixup_f64 v[20:21], v[18:19], v[24:25], v[22:23]
	v_fma_f64 v[18:19], v[22:23], v[20:21], v[24:25]
	v_div_scale_f64 v[30:31], s[10:11], v[18:19], v[18:19], 1.0
	v_rcp_f64_e32 v[32:33], v[30:31]
	v_fma_f64 v[34:35], -v[30:31], v[32:33], 1.0
	v_fmac_f64_e32 v[32:33], v[32:33], v[34:35]
	v_fma_f64 v[34:35], -v[30:31], v[32:33], 1.0
	v_fmac_f64_e32 v[32:33], v[32:33], v[34:35]
	v_div_scale_f64 v[34:35], vcc, 1.0, v[18:19], 1.0
	v_mul_f64 v[36:37], v[34:35], v[32:33]
	v_fma_f64 v[30:31], -v[30:31], v[36:37], v[34:35]
	s_nop 1
	v_div_fmas_f64 v[30:31], v[30:31], v[32:33], v[36:37]
	v_div_fixup_f64 v[30:31], v[30:31], v[18:19], 1.0
	v_fma_f64 v[18:19], v[14:15], v[20:21], v[16:17]
	v_fma_f64 v[20:21], v[16:17], v[20:21], -v[14:15]
	v_mul_f64 v[18:19], v[18:19], v[30:31]
	v_mul_f64 v[20:21], v[20:21], v[30:31]
	s_cbranch_execz .LBB223_66
	s_branch .LBB223_67
.LBB223_65:                             ;   in Loop: Header=BB223_61 Depth=1
                                        ; implicit-def: $vgpr20_vgpr21
.LBB223_66:                             ;   in Loop: Header=BB223_61 Depth=1
	v_div_scale_f64 v[18:19], s[10:11], v[22:23], v[22:23], v[24:25]
	v_rcp_f64_e32 v[20:21], v[18:19]
	v_div_scale_f64 v[30:31], vcc, v[24:25], v[22:23], v[24:25]
	v_fma_f64 v[32:33], -v[18:19], v[20:21], 1.0
	v_fmac_f64_e32 v[20:21], v[20:21], v[32:33]
	v_fma_f64 v[32:33], -v[18:19], v[20:21], 1.0
	v_fmac_f64_e32 v[20:21], v[20:21], v[32:33]
	v_mul_f64 v[32:33], v[30:31], v[20:21]
	v_fma_f64 v[18:19], -v[18:19], v[32:33], v[30:31]
	v_div_fmas_f64 v[18:19], v[18:19], v[20:21], v[32:33]
	v_div_fixup_f64 v[20:21], v[18:19], v[22:23], v[24:25]
	v_fmac_f64_e32 v[22:23], v[24:25], v[20:21]
	v_div_scale_f64 v[18:19], s[10:11], v[22:23], v[22:23], 1.0
	v_rcp_f64_e32 v[24:25], v[18:19]
	v_fma_f64 v[30:31], -v[18:19], v[24:25], 1.0
	v_fmac_f64_e32 v[24:25], v[24:25], v[30:31]
	v_fma_f64 v[30:31], -v[18:19], v[24:25], 1.0
	v_fmac_f64_e32 v[24:25], v[24:25], v[30:31]
	v_div_scale_f64 v[30:31], vcc, 1.0, v[22:23], 1.0
	v_mul_f64 v[32:33], v[30:31], v[24:25]
	v_fma_f64 v[18:19], -v[18:19], v[32:33], v[30:31]
	s_nop 1
	v_div_fmas_f64 v[18:19], v[18:19], v[24:25], v[32:33]
	v_div_fixup_f64 v[22:23], v[18:19], v[22:23], 1.0
	v_fma_f64 v[18:19], v[16:17], v[20:21], v[14:15]
	v_fma_f64 v[14:15], -v[14:15], v[20:21], v[16:17]
	v_mul_f64 v[18:19], v[18:19], v[22:23]
	v_mul_f64 v[20:21], v[14:15], v[22:23]
.LBB223_67:                             ;   in Loop: Header=BB223_61 Depth=1
	s_add_i32 s10, s14, s17
	s_lshl_b32 s10, s10, 4
	s_add_i32 s10, s10, -16
	v_mov_b32_e32 v14, s10
	ds_read_b128 v[22:25], v14
	s_addk_i32 s18, 0xfeb0
	v_mov_b32_e32 v14, s18
	ds_read_b128 v[14:17], v14
	ds_write_b128 v29, v[18:21]
	s_waitcnt lgkmcnt(2)
	v_mul_f64 v[30:31], v[20:21], v[24:25]
	v_fma_f64 v[30:31], v[18:19], v[22:23], -v[30:31]
	v_mul_f64 v[24:25], v[18:19], v[24:25]
	v_fmac_f64_e32 v[24:25], v[20:21], v[22:23]
	v_add_f64 v[22:23], v[10:11], -v[30:31]
	s_waitcnt lgkmcnt(1)
	v_xor_b32_e32 v10, 0x80000000, v15
	v_cmp_gt_f64_e32 vcc, 0, v[14:15]
	v_add_f64 v[24:25], v[12:13], -v[24:25]
	v_cndmask_b32_e32 v11, v15, v10, vcc
	v_xor_b32_e32 v12, 0x80000000, v17
	v_cmp_gt_f64_e32 vcc, 0, v[16:17]
	v_mov_b32_e32 v10, v14
	v_cndmask_b32_e32 v13, v17, v12, vcc
	v_mov_b32_e32 v12, v16
	v_cmp_ngt_f64_e32 vcc, v[10:11], v[12:13]
	s_cbranch_vccz .LBB223_69
; %bb.68:                               ;   in Loop: Header=BB223_61 Depth=1
	v_div_scale_f64 v[10:11], s[10:11], v[16:17], v[16:17], v[14:15]
	v_rcp_f64_e32 v[12:13], v[10:11]
	v_div_scale_f64 v[30:31], vcc, v[14:15], v[16:17], v[14:15]
	v_fma_f64 v[32:33], -v[10:11], v[12:13], 1.0
	v_fmac_f64_e32 v[12:13], v[12:13], v[32:33]
	v_fma_f64 v[32:33], -v[10:11], v[12:13], 1.0
	v_fmac_f64_e32 v[12:13], v[12:13], v[32:33]
	v_mul_f64 v[32:33], v[30:31], v[12:13]
	v_fma_f64 v[10:11], -v[10:11], v[32:33], v[30:31]
	v_div_fmas_f64 v[10:11], v[10:11], v[12:13], v[32:33]
	v_div_fixup_f64 v[12:13], v[10:11], v[16:17], v[14:15]
	v_fma_f64 v[10:11], v[14:15], v[12:13], v[16:17]
	v_div_scale_f64 v[30:31], s[10:11], v[10:11], v[10:11], 1.0
	v_rcp_f64_e32 v[32:33], v[30:31]
	v_fma_f64 v[34:35], -v[30:31], v[32:33], 1.0
	v_fmac_f64_e32 v[32:33], v[32:33], v[34:35]
	v_fma_f64 v[34:35], -v[30:31], v[32:33], 1.0
	v_fmac_f64_e32 v[32:33], v[32:33], v[34:35]
	v_div_scale_f64 v[34:35], vcc, 1.0, v[10:11], 1.0
	v_mul_f64 v[36:37], v[34:35], v[32:33]
	v_fma_f64 v[30:31], -v[30:31], v[36:37], v[34:35]
	s_nop 1
	v_div_fmas_f64 v[30:31], v[30:31], v[32:33], v[36:37]
	v_div_fixup_f64 v[30:31], v[30:31], v[10:11], 1.0
	v_fma_f64 v[10:11], v[12:13], v[22:23], v[24:25]
	v_fma_f64 v[12:13], v[12:13], v[24:25], -v[22:23]
	v_mul_f64 v[10:11], v[10:11], v[30:31]
	v_mul_f64 v[12:13], v[12:13], v[30:31]
	s_cbranch_execz .LBB223_70
	s_branch .LBB223_71
.LBB223_69:                             ;   in Loop: Header=BB223_61 Depth=1
                                        ; implicit-def: $vgpr12_vgpr13
.LBB223_70:                             ;   in Loop: Header=BB223_61 Depth=1
	v_div_scale_f64 v[10:11], s[10:11], v[14:15], v[14:15], v[16:17]
	v_rcp_f64_e32 v[12:13], v[10:11]
	v_div_scale_f64 v[30:31], vcc, v[16:17], v[14:15], v[16:17]
	v_fma_f64 v[32:33], -v[10:11], v[12:13], 1.0
	v_fmac_f64_e32 v[12:13], v[12:13], v[32:33]
	v_fma_f64 v[32:33], -v[10:11], v[12:13], 1.0
	v_fmac_f64_e32 v[12:13], v[12:13], v[32:33]
	v_mul_f64 v[32:33], v[30:31], v[12:13]
	v_fma_f64 v[10:11], -v[10:11], v[32:33], v[30:31]
	v_div_fmas_f64 v[10:11], v[10:11], v[12:13], v[32:33]
	v_div_fixup_f64 v[12:13], v[10:11], v[14:15], v[16:17]
	v_fmac_f64_e32 v[14:15], v[16:17], v[12:13]
	v_div_scale_f64 v[10:11], s[10:11], v[14:15], v[14:15], 1.0
	v_rcp_f64_e32 v[16:17], v[10:11]
	v_fma_f64 v[30:31], -v[10:11], v[16:17], 1.0
	v_fmac_f64_e32 v[16:17], v[16:17], v[30:31]
	v_fma_f64 v[30:31], -v[10:11], v[16:17], 1.0
	v_fmac_f64_e32 v[16:17], v[16:17], v[30:31]
	v_div_scale_f64 v[30:31], vcc, 1.0, v[14:15], 1.0
	v_mul_f64 v[32:33], v[30:31], v[16:17]
	v_fma_f64 v[10:11], -v[10:11], v[32:33], v[30:31]
	s_nop 1
	v_div_fmas_f64 v[10:11], v[10:11], v[16:17], v[32:33]
	v_div_fixup_f64 v[14:15], v[10:11], v[14:15], 1.0
	v_fma_f64 v[10:11], v[12:13], v[24:25], v[22:23]
	v_fma_f64 v[12:13], -v[12:13], v[22:23], v[24:25]
	v_mul_f64 v[10:11], v[10:11], v[14:15]
	v_mul_f64 v[12:13], v[12:13], v[14:15]
.LBB223_71:                             ;   in Loop: Header=BB223_61 Depth=1
	s_add_i32 s10, s14, -2
	s_add_i32 s11, s17, s10
	s_lshl_b32 s11, s11, 4
	v_mov_b32_e32 v14, s11
	s_add_i32 s10, s16, s10
	ds_read_b128 v[14:17], v14
	s_lshl_b32 s10, s10, 4
	v_mov_b32_e32 v22, s10
	ds_read_b128 v[22:25], v22
	ds_write_b128 v28, v[10:13]
	s_waitcnt lgkmcnt(2)
	v_mul_f64 v[28:29], v[20:21], v[16:17]
	v_fma_f64 v[28:29], v[18:19], v[14:15], -v[28:29]
	v_mul_f64 v[16:17], v[18:19], v[16:17]
	v_fmac_f64_e32 v[16:17], v[20:21], v[14:15]
	v_add_f64 v[14:15], v[6:7], -v[28:29]
	s_waitcnt lgkmcnt(1)
	v_mul_f64 v[6:7], v[12:13], v[24:25]
	s_addk_i32 s18, 0xfeb0
	v_fma_f64 v[28:29], v[10:11], v[22:23], -v[6:7]
	v_mov_b32_e32 v6, s18
	v_add_f64 v[16:17], v[8:9], -v[16:17]
	ds_read_b128 v[6:9], v6
	v_mul_f64 v[24:25], v[10:11], v[24:25]
	v_fmac_f64_e32 v[24:25], v[12:13], v[22:23]
	v_add_f64 v[22:23], v[14:15], -v[28:29]
	v_add_f64 v[24:25], v[16:17], -v[24:25]
	s_waitcnt lgkmcnt(0)
	v_xor_b32_e32 v14, 0x80000000, v7
	v_cmp_gt_f64_e32 vcc, 0, v[6:7]
	v_cndmask_b32_e32 v15, v7, v14, vcc
	v_xor_b32_e32 v16, 0x80000000, v9
	v_cmp_gt_f64_e32 vcc, 0, v[8:9]
	v_mov_b32_e32 v14, v6
	v_cndmask_b32_e32 v17, v9, v16, vcc
	v_mov_b32_e32 v16, v8
	v_cmp_ngt_f64_e32 vcc, v[14:15], v[16:17]
	s_cbranch_vccz .LBB223_73
; %bb.72:                               ;   in Loop: Header=BB223_61 Depth=1
	v_div_scale_f64 v[14:15], s[10:11], v[8:9], v[8:9], v[6:7]
	v_rcp_f64_e32 v[16:17], v[14:15]
	v_div_scale_f64 v[28:29], vcc, v[6:7], v[8:9], v[6:7]
	v_fma_f64 v[30:31], -v[14:15], v[16:17], 1.0
	v_fmac_f64_e32 v[16:17], v[16:17], v[30:31]
	v_fma_f64 v[30:31], -v[14:15], v[16:17], 1.0
	v_fmac_f64_e32 v[16:17], v[16:17], v[30:31]
	v_mul_f64 v[30:31], v[28:29], v[16:17]
	v_fma_f64 v[14:15], -v[14:15], v[30:31], v[28:29]
	v_div_fmas_f64 v[14:15], v[14:15], v[16:17], v[30:31]
	v_div_fixup_f64 v[16:17], v[14:15], v[8:9], v[6:7]
	v_fma_f64 v[14:15], v[6:7], v[16:17], v[8:9]
	v_div_scale_f64 v[28:29], s[10:11], v[14:15], v[14:15], 1.0
	v_rcp_f64_e32 v[30:31], v[28:29]
	v_fma_f64 v[32:33], -v[28:29], v[30:31], 1.0
	v_fmac_f64_e32 v[30:31], v[30:31], v[32:33]
	v_fma_f64 v[32:33], -v[28:29], v[30:31], 1.0
	v_fmac_f64_e32 v[30:31], v[30:31], v[32:33]
	v_div_scale_f64 v[32:33], vcc, 1.0, v[14:15], 1.0
	v_mul_f64 v[34:35], v[32:33], v[30:31]
	v_fma_f64 v[28:29], -v[28:29], v[34:35], v[32:33]
	s_nop 1
	v_div_fmas_f64 v[28:29], v[28:29], v[30:31], v[34:35]
	v_div_fixup_f64 v[28:29], v[28:29], v[14:15], 1.0
	v_fma_f64 v[14:15], v[16:17], v[22:23], v[24:25]
	v_fma_f64 v[16:17], v[16:17], v[24:25], -v[22:23]
	v_mul_f64 v[14:15], v[14:15], v[28:29]
	v_mul_f64 v[16:17], v[16:17], v[28:29]
	s_cbranch_execz .LBB223_74
	s_branch .LBB223_75
.LBB223_73:                             ;   in Loop: Header=BB223_61 Depth=1
                                        ; implicit-def: $vgpr16_vgpr17
.LBB223_74:                             ;   in Loop: Header=BB223_61 Depth=1
	v_div_scale_f64 v[14:15], s[10:11], v[6:7], v[6:7], v[8:9]
	v_rcp_f64_e32 v[16:17], v[14:15]
	v_div_scale_f64 v[28:29], vcc, v[8:9], v[6:7], v[8:9]
	v_fma_f64 v[30:31], -v[14:15], v[16:17], 1.0
	v_fmac_f64_e32 v[16:17], v[16:17], v[30:31]
	v_fma_f64 v[30:31], -v[14:15], v[16:17], 1.0
	v_fmac_f64_e32 v[16:17], v[16:17], v[30:31]
	v_mul_f64 v[30:31], v[28:29], v[16:17]
	v_fma_f64 v[14:15], -v[14:15], v[30:31], v[28:29]
	v_div_fmas_f64 v[14:15], v[14:15], v[16:17], v[30:31]
	v_div_fixup_f64 v[16:17], v[14:15], v[6:7], v[8:9]
	v_fmac_f64_e32 v[6:7], v[8:9], v[16:17]
	v_div_scale_f64 v[8:9], s[10:11], v[6:7], v[6:7], 1.0
	v_rcp_f64_e32 v[14:15], v[8:9]
	v_fma_f64 v[28:29], -v[8:9], v[14:15], 1.0
	v_fmac_f64_e32 v[14:15], v[14:15], v[28:29]
	v_fma_f64 v[28:29], -v[8:9], v[14:15], 1.0
	v_fmac_f64_e32 v[14:15], v[14:15], v[28:29]
	v_div_scale_f64 v[28:29], vcc, 1.0, v[6:7], 1.0
	v_mul_f64 v[30:31], v[28:29], v[14:15]
	v_fma_f64 v[8:9], -v[8:9], v[30:31], v[28:29]
	s_nop 1
	v_div_fmas_f64 v[8:9], v[8:9], v[14:15], v[30:31]
	v_div_fixup_f64 v[6:7], v[8:9], v[6:7], 1.0
	v_fma_f64 v[8:9], v[16:17], v[24:25], v[22:23]
	v_mul_f64 v[14:15], v[8:9], v[6:7]
	v_fma_f64 v[8:9], -v[16:17], v[22:23], v[24:25]
	v_mul_f64 v[16:17], v[8:9], v[6:7]
.LBB223_75:                             ;   in Loop: Header=BB223_61 Depth=1
	s_add_i32 s10, s14, -3
	s_add_i32 s17, s17, s10
	s_lshl_b32 s11, s17, 4
	s_add_i32 s16, s16, s10
	v_mov_b32_e32 v6, s11
	s_lshl_b32 s11, s16, 4
	ds_read_b128 v[6:9], v6
	v_mov_b32_e32 v22, s11
	ds_read_b128 v[22:25], v22
	s_add_i32 s15, s15, s10
	s_lshl_b32 s10, s15, 4
	s_waitcnt lgkmcnt(1)
	v_mul_f64 v[28:29], v[20:21], v[8:9]
	v_mul_f64 v[8:9], v[18:19], v[8:9]
	v_fma_f64 v[28:29], v[18:19], v[6:7], -v[28:29]
	v_fmac_f64_e32 v[8:9], v[20:21], v[6:7]
	s_waitcnt lgkmcnt(0)
	v_mul_f64 v[6:7], v[12:13], v[24:25]
	v_add_f64 v[2:3], v[2:3], -v[28:29]
	v_fma_f64 v[6:7], v[10:11], v[22:23], -v[6:7]
	v_mul_f64 v[10:11], v[10:11], v[24:25]
	v_fmac_f64_e32 v[10:11], v[12:13], v[22:23]
	v_add_f64 v[12:13], v[2:3], -v[6:7]
	v_mov_b32_e32 v2, s10
	s_add_i32 s10, s18, 0xfffffeb0
	v_add_f64 v[4:5], v[4:5], -v[8:9]
	ds_read_b128 v[6:9], v2
	v_mov_b32_e32 v2, s10
	v_add_f64 v[18:19], v[4:5], -v[10:11]
	ds_read_b128 v[2:5], v2
	ds_write_b128 v27, v[14:17]
	s_waitcnt lgkmcnt(2)
	v_mul_f64 v[10:11], v[16:17], v[8:9]
	v_mul_f64 v[8:9], v[14:15], v[8:9]
	v_fma_f64 v[10:11], v[14:15], v[6:7], -v[10:11]
	v_fmac_f64_e32 v[8:9], v[16:17], v[6:7]
	s_waitcnt lgkmcnt(1)
	v_xor_b32_e32 v6, 0x80000000, v3
	v_cmp_gt_f64_e32 vcc, 0, v[2:3]
	v_add_f64 v[10:11], v[12:13], -v[10:11]
	v_add_f64 v[12:13], v[18:19], -v[8:9]
	v_cndmask_b32_e32 v7, v3, v6, vcc
	v_xor_b32_e32 v8, 0x80000000, v5
	v_cmp_gt_f64_e32 vcc, 0, v[4:5]
	v_mov_b32_e32 v6, v2
	v_cndmask_b32_e32 v9, v5, v8, vcc
	v_mov_b32_e32 v8, v4
	v_cmp_ngt_f64_e32 vcc, v[6:7], v[8:9]
	s_cbranch_vccz .LBB223_77
; %bb.76:                               ;   in Loop: Header=BB223_61 Depth=1
	v_div_scale_f64 v[6:7], s[10:11], v[4:5], v[4:5], v[2:3]
	v_rcp_f64_e32 v[8:9], v[6:7]
	v_div_scale_f64 v[14:15], vcc, v[2:3], v[4:5], v[2:3]
	v_fma_f64 v[16:17], -v[6:7], v[8:9], 1.0
	v_fmac_f64_e32 v[8:9], v[8:9], v[16:17]
	v_fma_f64 v[16:17], -v[6:7], v[8:9], 1.0
	v_fmac_f64_e32 v[8:9], v[8:9], v[16:17]
	v_mul_f64 v[16:17], v[14:15], v[8:9]
	v_fma_f64 v[6:7], -v[6:7], v[16:17], v[14:15]
	v_div_fmas_f64 v[6:7], v[6:7], v[8:9], v[16:17]
	v_div_fixup_f64 v[8:9], v[6:7], v[4:5], v[2:3]
	v_fma_f64 v[6:7], v[2:3], v[8:9], v[4:5]
	v_div_scale_f64 v[14:15], s[10:11], v[6:7], v[6:7], 1.0
	v_rcp_f64_e32 v[16:17], v[14:15]
	v_fma_f64 v[18:19], -v[14:15], v[16:17], 1.0
	v_fmac_f64_e32 v[16:17], v[16:17], v[18:19]
	v_fma_f64 v[18:19], -v[14:15], v[16:17], 1.0
	v_fmac_f64_e32 v[16:17], v[16:17], v[18:19]
	v_div_scale_f64 v[18:19], vcc, 1.0, v[6:7], 1.0
	v_mul_f64 v[20:21], v[18:19], v[16:17]
	v_fma_f64 v[14:15], -v[14:15], v[20:21], v[18:19]
	s_nop 1
	v_div_fmas_f64 v[14:15], v[14:15], v[16:17], v[20:21]
	v_div_fixup_f64 v[14:15], v[14:15], v[6:7], 1.0
	v_fma_f64 v[6:7], v[8:9], v[10:11], v[12:13]
	v_fma_f64 v[8:9], v[8:9], v[12:13], -v[10:11]
	v_mul_f64 v[6:7], v[6:7], v[14:15]
	v_mul_f64 v[8:9], v[8:9], v[14:15]
	s_cbranch_execz .LBB223_78
	s_branch .LBB223_79
.LBB223_77:                             ;   in Loop: Header=BB223_61 Depth=1
                                        ; implicit-def: $vgpr8_vgpr9
.LBB223_78:                             ;   in Loop: Header=BB223_61 Depth=1
	v_div_scale_f64 v[6:7], s[10:11], v[2:3], v[2:3], v[4:5]
	v_rcp_f64_e32 v[8:9], v[6:7]
	v_div_scale_f64 v[14:15], vcc, v[4:5], v[2:3], v[4:5]
	v_fma_f64 v[16:17], -v[6:7], v[8:9], 1.0
	v_fmac_f64_e32 v[8:9], v[8:9], v[16:17]
	v_fma_f64 v[16:17], -v[6:7], v[8:9], 1.0
	v_fmac_f64_e32 v[8:9], v[8:9], v[16:17]
	v_mul_f64 v[16:17], v[14:15], v[8:9]
	v_fma_f64 v[6:7], -v[6:7], v[16:17], v[14:15]
	v_div_fmas_f64 v[6:7], v[6:7], v[8:9], v[16:17]
	v_div_fixup_f64 v[8:9], v[6:7], v[2:3], v[4:5]
	v_fmac_f64_e32 v[2:3], v[4:5], v[8:9]
	v_div_scale_f64 v[4:5], s[10:11], v[2:3], v[2:3], 1.0
	v_rcp_f64_e32 v[6:7], v[4:5]
	v_fma_f64 v[14:15], -v[4:5], v[6:7], 1.0
	v_fmac_f64_e32 v[6:7], v[6:7], v[14:15]
	v_fma_f64 v[14:15], -v[4:5], v[6:7], 1.0
	v_fmac_f64_e32 v[6:7], v[6:7], v[14:15]
	v_div_scale_f64 v[14:15], vcc, 1.0, v[2:3], 1.0
	v_mul_f64 v[16:17], v[14:15], v[6:7]
	v_fma_f64 v[4:5], -v[4:5], v[16:17], v[14:15]
	s_nop 1
	v_div_fmas_f64 v[4:5], v[4:5], v[6:7], v[16:17]
	v_div_fixup_f64 v[2:3], v[4:5], v[2:3], 1.0
	v_fma_f64 v[4:5], v[8:9], v[12:13], v[10:11]
	v_mul_f64 v[6:7], v[4:5], v[2:3]
	v_fma_f64 v[4:5], -v[8:9], v[10:11], v[12:13]
	v_mul_f64 v[8:9], v[4:5], v[2:3]
.LBB223_79:                             ;   in Loop: Header=BB223_61 Depth=1
	s_add_i32 s15, s14, -4
	s_sub_i32 s1, s1, 64
	s_cmp_lt_i32 s14, 7
	ds_write_b128 v26, v[6:9]
	s_cbranch_scc1 .LBB223_81
; %bb.80:                               ;   in Loop: Header=BB223_61 Depth=1
	s_mov_b32 s14, s15
	s_branch .LBB223_61
.LBB223_81:
	s_cmp_lt_i32 s15, 0
	s_cbranch_scc1 .LBB223_90
; %bb.82:
	s_mul_i32 s10, s34, 0x140
	s_lshl_b32 s1, s15, 4
	s_add_i32 s1, s10, s1
	v_lshl_add_u32 v1, v0, 4, s10
	s_addk_i32 s1, 0xfec0
	v_add_u32_e32 v1, 0x17c0, v1
	s_branch .LBB223_84
.LBB223_83:                             ;   in Loop: Header=BB223_84 Depth=1
	s_add_i32 s10, s15, -1
	s_add_i32 s1, s1, -16
	s_cmp_lt_i32 s15, 1
	s_mov_b32 s15, s10
	ds_write_b128 v14, v[10:13]
	s_cbranch_scc1 .LBB223_90
.LBB223_84:                             ; =>This Loop Header: Depth=1
                                        ;     Child Loop BB223_85 Depth 2
	s_mul_i32 s10, s15, 20
	v_add_lshl_u32 v6, s10, v0, 4
	ds_read_b128 v[2:5], v6 offset:6400
	s_cmp_le_i32 s35, s15
	v_mov_b32_e32 v7, v1
	s_mov_b32 s10, s1
	s_mov_b32 s11, s35
	s_cbranch_scc1 .LBB223_86
.LBB223_85:                             ;   Parent Loop BB223_84 Depth=1
                                        ; =>  This Inner Loop Header: Depth=2
	v_mov_b32_e32 v12, s10
	ds_read_b128 v[8:11], v7
	ds_read_b128 v[12:15], v12
	s_add_i32 s11, s11, -1
	s_addk_i32 s10, 0xfec0
	v_add_u32_e32 v7, 0xfffffec0, v7
	s_cmp_le_i32 s11, s15
	s_waitcnt lgkmcnt(0)
	v_mul_f64 v[16:17], v[14:15], v[10:11]
	v_mul_f64 v[10:11], v[12:13], v[10:11]
	v_fma_f64 v[12:13], v[12:13], v[8:9], -v[16:17]
	v_fmac_f64_e32 v[10:11], v[14:15], v[8:9]
	v_add_f64 v[2:3], v[2:3], -v[12:13]
	v_add_f64 v[4:5], v[4:5], -v[10:11]
	s_cbranch_scc0 .LBB223_85
.LBB223_86:                             ;   in Loop: Header=BB223_84 Depth=1
	s_mul_i32 s10, s15, 0x150
	v_add_u32_e32 v14, 0x1900, v6
	v_mov_b32_e32 v6, s10
	ds_read_b128 v[6:9], v6
	s_waitcnt lgkmcnt(0)
	v_xor_b32_e32 v11, 0x80000000, v7
	v_cmp_gt_f64_e32 vcc, 0, v[6:7]
	v_xor_b32_e32 v12, 0x80000000, v9
	v_cndmask_b32_e32 v11, v7, v11, vcc
	v_cmp_gt_f64_e32 vcc, 0, v[8:9]
	v_mov_b32_e32 v10, v6
	v_cndmask_b32_e32 v13, v9, v12, vcc
	v_mov_b32_e32 v12, v8
	v_cmp_ngt_f64_e32 vcc, v[10:11], v[12:13]
	s_cbranch_vccz .LBB223_88
; %bb.87:                               ;   in Loop: Header=BB223_84 Depth=1
	v_div_scale_f64 v[10:11], s[10:11], v[8:9], v[8:9], v[6:7]
	v_rcp_f64_e32 v[12:13], v[10:11]
	v_div_scale_f64 v[16:17], vcc, v[6:7], v[8:9], v[6:7]
	v_fma_f64 v[18:19], -v[10:11], v[12:13], 1.0
	v_fmac_f64_e32 v[12:13], v[12:13], v[18:19]
	v_fma_f64 v[18:19], -v[10:11], v[12:13], 1.0
	v_fmac_f64_e32 v[12:13], v[12:13], v[18:19]
	v_mul_f64 v[18:19], v[16:17], v[12:13]
	v_fma_f64 v[10:11], -v[10:11], v[18:19], v[16:17]
	v_div_fmas_f64 v[10:11], v[10:11], v[12:13], v[18:19]
	v_div_fixup_f64 v[12:13], v[10:11], v[8:9], v[6:7]
	v_fma_f64 v[10:11], v[6:7], v[12:13], v[8:9]
	v_div_scale_f64 v[16:17], s[10:11], v[10:11], v[10:11], 1.0
	v_rcp_f64_e32 v[18:19], v[16:17]
	v_fma_f64 v[20:21], -v[16:17], v[18:19], 1.0
	v_fmac_f64_e32 v[18:19], v[18:19], v[20:21]
	v_fma_f64 v[20:21], -v[16:17], v[18:19], 1.0
	v_fmac_f64_e32 v[18:19], v[18:19], v[20:21]
	v_div_scale_f64 v[20:21], vcc, 1.0, v[10:11], 1.0
	v_mul_f64 v[22:23], v[20:21], v[18:19]
	v_fma_f64 v[16:17], -v[16:17], v[22:23], v[20:21]
	s_nop 1
	v_div_fmas_f64 v[16:17], v[16:17], v[18:19], v[22:23]
	v_div_fixup_f64 v[16:17], v[16:17], v[10:11], 1.0
	v_fma_f64 v[10:11], v[2:3], v[12:13], v[4:5]
	v_fma_f64 v[12:13], v[4:5], v[12:13], -v[2:3]
	v_mul_f64 v[10:11], v[10:11], v[16:17]
	v_mul_f64 v[12:13], v[12:13], v[16:17]
	s_cbranch_execnz .LBB223_83
	s_branch .LBB223_89
.LBB223_88:                             ;   in Loop: Header=BB223_84 Depth=1
                                        ; implicit-def: $vgpr10_vgpr11
.LBB223_89:                             ;   in Loop: Header=BB223_84 Depth=1
	v_div_scale_f64 v[10:11], s[10:11], v[6:7], v[6:7], v[8:9]
	v_rcp_f64_e32 v[12:13], v[10:11]
	v_div_scale_f64 v[16:17], vcc, v[8:9], v[6:7], v[8:9]
	v_fma_f64 v[18:19], -v[10:11], v[12:13], 1.0
	v_fmac_f64_e32 v[12:13], v[12:13], v[18:19]
	v_fma_f64 v[18:19], -v[10:11], v[12:13], 1.0
	v_fmac_f64_e32 v[12:13], v[12:13], v[18:19]
	v_mul_f64 v[18:19], v[16:17], v[12:13]
	v_fma_f64 v[10:11], -v[10:11], v[18:19], v[16:17]
	v_div_fmas_f64 v[10:11], v[10:11], v[12:13], v[18:19]
	v_div_fixup_f64 v[12:13], v[10:11], v[6:7], v[8:9]
	v_fmac_f64_e32 v[6:7], v[8:9], v[12:13]
	v_div_scale_f64 v[8:9], s[10:11], v[6:7], v[6:7], 1.0
	v_rcp_f64_e32 v[10:11], v[8:9]
	v_fma_f64 v[16:17], -v[8:9], v[10:11], 1.0
	v_fmac_f64_e32 v[10:11], v[10:11], v[16:17]
	v_fma_f64 v[16:17], -v[8:9], v[10:11], 1.0
	v_fmac_f64_e32 v[10:11], v[10:11], v[16:17]
	v_div_scale_f64 v[16:17], vcc, 1.0, v[6:7], 1.0
	v_mul_f64 v[18:19], v[16:17], v[10:11]
	v_fma_f64 v[8:9], -v[8:9], v[18:19], v[16:17]
	s_nop 1
	v_div_fmas_f64 v[8:9], v[8:9], v[10:11], v[18:19]
	v_div_fixup_f64 v[6:7], v[8:9], v[6:7], 1.0
	v_fma_f64 v[8:9], v[4:5], v[12:13], v[2:3]
	v_fma_f64 v[2:3], -v[2:3], v[12:13], v[4:5]
	v_mul_f64 v[10:11], v[8:9], v[6:7]
	v_mul_f64 v[12:13], v[2:3], v[6:7]
	s_branch .LBB223_83
.LBB223_90:
	s_mov_b64 s[14:15], 0
.LBB223_91:
	s_andn2_b64 vcc, exec, s[14:15]
	s_cbranch_vccnz .LBB223_123
; %bb.92:
	s_andn2_b64 vcc, exec, s[8:9]
	s_mul_i32 s1, s34, 0x140
	s_mov_b32 s14, s35
	s_cbranch_vccnz .LBB223_114
; %bb.93:
	v_lshl_add_u32 v1, v0, 4, s1
	s_mul_i32 s8, s34, 0x150
	v_add_u32_e32 v1, 0x1680, v1
	s_add_i32 s10, s8, 0xfffffae0
	s_mov_b32 s11, s35
.LBB223_94:                             ; =>This Loop Header: Depth=1
                                        ;     Child Loop BB223_95 Depth 2
	s_mul_i32 s8, s11, 20
	s_sub_i32 s15, s8, 40
	v_add_lshl_u32 v18, s8, v0, 4
	s_sub_i32 s16, s8, 20
	v_add_lshl_u32 v20, s15, v0, 4
	;; [unrolled: 2-line block ×3, first 2 shown]
	ds_read_b128 v[14:17], v18 offset:6400
	ds_read_b128 v[10:13], v19 offset:6400
	v_add_lshl_u32 v21, s14, v0, 4
	ds_read_b128 v[6:9], v20 offset:6400
	ds_read_b128 v[2:5], v21 offset:6400
	s_cmp_le_i32 s35, s11
	s_mov_b32 s8, s10
	v_mov_b32_e32 v22, v1
	s_mov_b32 s9, s35
	s_cbranch_scc1 .LBB223_96
.LBB223_95:                             ;   Parent Loop BB223_94 Depth=1
                                        ; =>  This Inner Loop Header: Depth=2
	v_mov_b32_e32 v23, s8
	ds_read_b128 v[24:27], v22 offset:320
	ds_read_b128 v[28:31], v22
	ds_read_b128 v[32:35], v23
	ds_read_b128 v[36:39], v23 offset:16
	ds_read_b128 v[40:43], v23 offset:976
	;; [unrolled: 1-line block ×7, first 2 shown]
	s_add_i32 s9, s9, -2
	s_sub_i32 s8, s8, 32
	s_waitcnt lgkmcnt(5)
	v_mul_f64 v[64:65], v[26:27], v[42:43]
	v_mul_f64 v[42:43], v[24:25], v[42:43]
	s_waitcnt lgkmcnt(3)
	v_mul_f64 v[66:67], v[26:27], v[50:51]
	v_mul_f64 v[50:51], v[24:25], v[50:51]
	;; [unrolled: 3-line block ×3, first 2 shown]
	v_mul_f64 v[70:71], v[26:27], v[38:39]
	v_mul_f64 v[38:39], v[24:25], v[38:39]
	;; [unrolled: 1-line block ×6, first 2 shown]
	s_waitcnt lgkmcnt(0)
	v_mul_f64 v[76:77], v[30:31], v[62:63]
	v_mul_f64 v[62:63], v[28:29], v[62:63]
	;; [unrolled: 1-line block ×4, first 2 shown]
	v_fma_f64 v[64:65], v[24:25], v[40:41], -v[64:65]
	v_fmac_f64_e32 v[42:43], v[26:27], v[40:41]
	v_fma_f64 v[40:41], v[24:25], v[48:49], -v[66:67]
	v_fmac_f64_e32 v[50:51], v[26:27], v[48:49]
	;; [unrolled: 2-line block ×8, first 2 shown]
	v_add_f64 v[14:15], v[14:15], -v[64:65]
	v_add_f64 v[16:17], v[16:17], -v[42:43]
	v_add_f64 v[10:11], v[10:11], -v[40:41]
	v_add_f64 v[12:13], v[12:13], -v[50:51]
	v_add_f64 v[6:7], v[6:7], -v[48:49]
	v_add_f64 v[8:9], v[8:9], -v[58:59]
	v_add_f64 v[2:3], v[2:3], -v[24:25]
	v_add_f64 v[4:5], v[4:5], -v[38:39]
	v_add_u32_e32 v22, 0xfffffd80, v22
	s_cmp_le_i32 s9, s11
	v_add_f64 v[14:15], v[14:15], -v[26:27]
	v_add_f64 v[16:17], v[16:17], -v[46:47]
	;; [unrolled: 1-line block ×8, first 2 shown]
	s_cbranch_scc0 .LBB223_95
.LBB223_96:                             ;   in Loop: Header=BB223_94 Depth=1
	s_mul_i32 s17, s11, 0x150
	v_add_u32_e32 v29, 0x1900, v18
	v_mov_b32_e32 v18, s17
	ds_read_b128 v[22:25], v18
	v_add_u32_e32 v28, 0x1900, v19
	v_add_u32_e32 v27, 0x1900, v20
	;; [unrolled: 1-line block ×3, first 2 shown]
	s_waitcnt lgkmcnt(0)
	v_xor_b32_e32 v19, 0x80000000, v23
	v_cmp_gt_f64_e32 vcc, 0, v[22:23]
	v_xor_b32_e32 v20, 0x80000000, v25
	v_cndmask_b32_e32 v19, v23, v19, vcc
	v_cmp_gt_f64_e32 vcc, 0, v[24:25]
	v_mov_b32_e32 v18, v22
	v_cndmask_b32_e32 v21, v25, v20, vcc
	v_mov_b32_e32 v20, v24
	v_cmp_ngt_f64_e32 vcc, v[18:19], v[20:21]
	s_cbranch_vccz .LBB223_98
; %bb.97:                               ;   in Loop: Header=BB223_94 Depth=1
	v_div_scale_f64 v[18:19], s[8:9], v[24:25], v[24:25], v[22:23]
	v_rcp_f64_e32 v[20:21], v[18:19]
	v_div_scale_f64 v[30:31], vcc, v[22:23], v[24:25], v[22:23]
	v_fma_f64 v[32:33], -v[18:19], v[20:21], 1.0
	v_fmac_f64_e32 v[20:21], v[20:21], v[32:33]
	v_fma_f64 v[32:33], -v[18:19], v[20:21], 1.0
	v_fmac_f64_e32 v[20:21], v[20:21], v[32:33]
	v_mul_f64 v[32:33], v[30:31], v[20:21]
	v_fma_f64 v[18:19], -v[18:19], v[32:33], v[30:31]
	v_div_fmas_f64 v[18:19], v[18:19], v[20:21], v[32:33]
	v_div_fixup_f64 v[20:21], v[18:19], v[24:25], v[22:23]
	v_fma_f64 v[18:19], v[22:23], v[20:21], v[24:25]
	v_div_scale_f64 v[30:31], s[8:9], v[18:19], v[18:19], 1.0
	v_rcp_f64_e32 v[32:33], v[30:31]
	v_fma_f64 v[34:35], -v[30:31], v[32:33], 1.0
	v_fmac_f64_e32 v[32:33], v[32:33], v[34:35]
	v_fma_f64 v[34:35], -v[30:31], v[32:33], 1.0
	v_fmac_f64_e32 v[32:33], v[32:33], v[34:35]
	v_div_scale_f64 v[34:35], vcc, 1.0, v[18:19], 1.0
	v_mul_f64 v[36:37], v[34:35], v[32:33]
	v_fma_f64 v[30:31], -v[30:31], v[36:37], v[34:35]
	s_nop 1
	v_div_fmas_f64 v[30:31], v[30:31], v[32:33], v[36:37]
	v_div_fixup_f64 v[30:31], v[30:31], v[18:19], 1.0
	v_fma_f64 v[18:19], v[14:15], v[20:21], v[16:17]
	v_fma_f64 v[20:21], v[16:17], v[20:21], -v[14:15]
	v_mul_f64 v[18:19], v[18:19], v[30:31]
	v_mul_f64 v[20:21], v[20:21], v[30:31]
	s_cbranch_execz .LBB223_99
	s_branch .LBB223_100
.LBB223_98:                             ;   in Loop: Header=BB223_94 Depth=1
                                        ; implicit-def: $vgpr20_vgpr21
.LBB223_99:                             ;   in Loop: Header=BB223_94 Depth=1
	v_div_scale_f64 v[18:19], s[8:9], v[22:23], v[22:23], v[24:25]
	v_rcp_f64_e32 v[20:21], v[18:19]
	v_div_scale_f64 v[30:31], vcc, v[24:25], v[22:23], v[24:25]
	v_fma_f64 v[32:33], -v[18:19], v[20:21], 1.0
	v_fmac_f64_e32 v[20:21], v[20:21], v[32:33]
	v_fma_f64 v[32:33], -v[18:19], v[20:21], 1.0
	v_fmac_f64_e32 v[20:21], v[20:21], v[32:33]
	v_mul_f64 v[32:33], v[30:31], v[20:21]
	v_fma_f64 v[18:19], -v[18:19], v[32:33], v[30:31]
	v_div_fmas_f64 v[18:19], v[18:19], v[20:21], v[32:33]
	v_div_fixup_f64 v[20:21], v[18:19], v[22:23], v[24:25]
	v_fmac_f64_e32 v[22:23], v[24:25], v[20:21]
	v_div_scale_f64 v[18:19], s[8:9], v[22:23], v[22:23], 1.0
	v_rcp_f64_e32 v[24:25], v[18:19]
	v_fma_f64 v[30:31], -v[18:19], v[24:25], 1.0
	v_fmac_f64_e32 v[24:25], v[24:25], v[30:31]
	v_fma_f64 v[30:31], -v[18:19], v[24:25], 1.0
	v_fmac_f64_e32 v[24:25], v[24:25], v[30:31]
	v_div_scale_f64 v[30:31], vcc, 1.0, v[22:23], 1.0
	v_mul_f64 v[32:33], v[30:31], v[24:25]
	v_fma_f64 v[18:19], -v[18:19], v[32:33], v[30:31]
	s_nop 1
	v_div_fmas_f64 v[18:19], v[18:19], v[24:25], v[32:33]
	v_div_fixup_f64 v[22:23], v[18:19], v[22:23], 1.0
	v_fma_f64 v[18:19], v[16:17], v[20:21], v[14:15]
	v_fma_f64 v[14:15], -v[14:15], v[20:21], v[16:17]
	v_mul_f64 v[18:19], v[18:19], v[22:23]
	v_mul_f64 v[20:21], v[14:15], v[22:23]
.LBB223_100:                            ;   in Loop: Header=BB223_94 Depth=1
	s_add_i32 s16, s16, s11
	s_lshl_b32 s8, s16, 4
	v_mov_b32_e32 v14, s8
	ds_read_b128 v[22:25], v14
	s_addk_i32 s17, 0xfeb0
	v_mov_b32_e32 v14, s17
	ds_read_b128 v[14:17], v14
	ds_write_b128 v29, v[18:21]
	s_waitcnt lgkmcnt(2)
	v_mul_f64 v[30:31], v[20:21], v[24:25]
	v_fma_f64 v[30:31], v[18:19], v[22:23], -v[30:31]
	v_mul_f64 v[24:25], v[18:19], v[24:25]
	v_fmac_f64_e32 v[24:25], v[20:21], v[22:23]
	v_add_f64 v[22:23], v[10:11], -v[30:31]
	s_waitcnt lgkmcnt(1)
	v_xor_b32_e32 v10, 0x80000000, v15
	v_cmp_gt_f64_e32 vcc, 0, v[14:15]
	v_add_f64 v[24:25], v[12:13], -v[24:25]
	v_cndmask_b32_e32 v11, v15, v10, vcc
	v_xor_b32_e32 v12, 0x80000000, v17
	v_cmp_gt_f64_e32 vcc, 0, v[16:17]
	v_mov_b32_e32 v10, v14
	v_cndmask_b32_e32 v13, v17, v12, vcc
	v_mov_b32_e32 v12, v16
	v_cmp_ngt_f64_e32 vcc, v[10:11], v[12:13]
	s_cbranch_vccz .LBB223_102
; %bb.101:                              ;   in Loop: Header=BB223_94 Depth=1
	v_div_scale_f64 v[10:11], s[8:9], v[16:17], v[16:17], v[14:15]
	v_rcp_f64_e32 v[12:13], v[10:11]
	v_div_scale_f64 v[30:31], vcc, v[14:15], v[16:17], v[14:15]
	v_fma_f64 v[32:33], -v[10:11], v[12:13], 1.0
	v_fmac_f64_e32 v[12:13], v[12:13], v[32:33]
	v_fma_f64 v[32:33], -v[10:11], v[12:13], 1.0
	v_fmac_f64_e32 v[12:13], v[12:13], v[32:33]
	v_mul_f64 v[32:33], v[30:31], v[12:13]
	v_fma_f64 v[10:11], -v[10:11], v[32:33], v[30:31]
	v_div_fmas_f64 v[10:11], v[10:11], v[12:13], v[32:33]
	v_div_fixup_f64 v[12:13], v[10:11], v[16:17], v[14:15]
	v_fma_f64 v[10:11], v[14:15], v[12:13], v[16:17]
	v_div_scale_f64 v[30:31], s[8:9], v[10:11], v[10:11], 1.0
	v_rcp_f64_e32 v[32:33], v[30:31]
	v_fma_f64 v[34:35], -v[30:31], v[32:33], 1.0
	v_fmac_f64_e32 v[32:33], v[32:33], v[34:35]
	v_fma_f64 v[34:35], -v[30:31], v[32:33], 1.0
	v_fmac_f64_e32 v[32:33], v[32:33], v[34:35]
	v_div_scale_f64 v[34:35], vcc, 1.0, v[10:11], 1.0
	v_mul_f64 v[36:37], v[34:35], v[32:33]
	v_fma_f64 v[30:31], -v[30:31], v[36:37], v[34:35]
	s_nop 1
	v_div_fmas_f64 v[30:31], v[30:31], v[32:33], v[36:37]
	v_div_fixup_f64 v[30:31], v[30:31], v[10:11], 1.0
	v_fma_f64 v[10:11], v[12:13], v[22:23], v[24:25]
	v_fma_f64 v[12:13], v[12:13], v[24:25], -v[22:23]
	v_mul_f64 v[10:11], v[10:11], v[30:31]
	v_mul_f64 v[12:13], v[12:13], v[30:31]
	s_cbranch_execz .LBB223_103
	s_branch .LBB223_104
.LBB223_102:                            ;   in Loop: Header=BB223_94 Depth=1
                                        ; implicit-def: $vgpr12_vgpr13
.LBB223_103:                            ;   in Loop: Header=BB223_94 Depth=1
	v_div_scale_f64 v[10:11], s[8:9], v[14:15], v[14:15], v[16:17]
	v_rcp_f64_e32 v[12:13], v[10:11]
	v_div_scale_f64 v[30:31], vcc, v[16:17], v[14:15], v[16:17]
	v_fma_f64 v[32:33], -v[10:11], v[12:13], 1.0
	v_fmac_f64_e32 v[12:13], v[12:13], v[32:33]
	v_fma_f64 v[32:33], -v[10:11], v[12:13], 1.0
	v_fmac_f64_e32 v[12:13], v[12:13], v[32:33]
	v_mul_f64 v[32:33], v[30:31], v[12:13]
	v_fma_f64 v[10:11], -v[10:11], v[32:33], v[30:31]
	v_div_fmas_f64 v[10:11], v[10:11], v[12:13], v[32:33]
	v_div_fixup_f64 v[12:13], v[10:11], v[14:15], v[16:17]
	v_fmac_f64_e32 v[14:15], v[16:17], v[12:13]
	v_div_scale_f64 v[10:11], s[8:9], v[14:15], v[14:15], 1.0
	v_rcp_f64_e32 v[16:17], v[10:11]
	v_fma_f64 v[30:31], -v[10:11], v[16:17], 1.0
	v_fmac_f64_e32 v[16:17], v[16:17], v[30:31]
	v_fma_f64 v[30:31], -v[10:11], v[16:17], 1.0
	v_fmac_f64_e32 v[16:17], v[16:17], v[30:31]
	v_div_scale_f64 v[30:31], vcc, 1.0, v[14:15], 1.0
	v_mul_f64 v[32:33], v[30:31], v[16:17]
	v_fma_f64 v[10:11], -v[10:11], v[32:33], v[30:31]
	s_nop 1
	v_div_fmas_f64 v[10:11], v[10:11], v[16:17], v[32:33]
	v_div_fixup_f64 v[14:15], v[10:11], v[14:15], 1.0
	v_fma_f64 v[10:11], v[12:13], v[24:25], v[22:23]
	v_fma_f64 v[12:13], -v[12:13], v[22:23], v[24:25]
	v_mul_f64 v[10:11], v[10:11], v[14:15]
	v_mul_f64 v[12:13], v[12:13], v[14:15]
.LBB223_104:                            ;   in Loop: Header=BB223_94 Depth=1
	s_add_i32 s8, s15, s11
	s_add_i32 s16, s11, -1
	s_lshl_b32 s8, s8, 4
	v_mov_b32_e32 v14, s8
	s_add_i32 s15, s15, s16
	ds_read_b128 v[14:17], v14
	s_lshl_b32 s8, s15, 4
	v_mov_b32_e32 v22, s8
	ds_read_b128 v[22:25], v22
	ds_write_b128 v28, v[10:13]
	s_waitcnt lgkmcnt(2)
	v_mul_f64 v[28:29], v[20:21], v[16:17]
	v_fma_f64 v[28:29], v[18:19], v[14:15], -v[28:29]
	v_mul_f64 v[16:17], v[18:19], v[16:17]
	v_fmac_f64_e32 v[16:17], v[20:21], v[14:15]
	v_add_f64 v[14:15], v[6:7], -v[28:29]
	s_waitcnt lgkmcnt(1)
	v_mul_f64 v[6:7], v[12:13], v[24:25]
	s_add_i32 s15, s17, 0xfffffeb0
	v_fma_f64 v[28:29], v[10:11], v[22:23], -v[6:7]
	v_mov_b32_e32 v6, s15
	v_add_f64 v[16:17], v[8:9], -v[16:17]
	ds_read_b128 v[6:9], v6
	v_mul_f64 v[24:25], v[10:11], v[24:25]
	v_fmac_f64_e32 v[24:25], v[12:13], v[22:23]
	v_add_f64 v[22:23], v[14:15], -v[28:29]
	v_add_f64 v[24:25], v[16:17], -v[24:25]
	s_waitcnt lgkmcnt(0)
	v_xor_b32_e32 v14, 0x80000000, v7
	v_cmp_gt_f64_e32 vcc, 0, v[6:7]
	v_cndmask_b32_e32 v15, v7, v14, vcc
	v_xor_b32_e32 v16, 0x80000000, v9
	v_cmp_gt_f64_e32 vcc, 0, v[8:9]
	v_mov_b32_e32 v14, v6
	v_cndmask_b32_e32 v17, v9, v16, vcc
	v_mov_b32_e32 v16, v8
	v_cmp_ngt_f64_e32 vcc, v[14:15], v[16:17]
	s_cbranch_vccz .LBB223_106
; %bb.105:                              ;   in Loop: Header=BB223_94 Depth=1
	v_div_scale_f64 v[14:15], s[8:9], v[8:9], v[8:9], v[6:7]
	v_rcp_f64_e32 v[16:17], v[14:15]
	v_div_scale_f64 v[28:29], vcc, v[6:7], v[8:9], v[6:7]
	v_fma_f64 v[30:31], -v[14:15], v[16:17], 1.0
	v_fmac_f64_e32 v[16:17], v[16:17], v[30:31]
	v_fma_f64 v[30:31], -v[14:15], v[16:17], 1.0
	v_fmac_f64_e32 v[16:17], v[16:17], v[30:31]
	v_mul_f64 v[30:31], v[28:29], v[16:17]
	v_fma_f64 v[14:15], -v[14:15], v[30:31], v[28:29]
	v_div_fmas_f64 v[14:15], v[14:15], v[16:17], v[30:31]
	v_div_fixup_f64 v[16:17], v[14:15], v[8:9], v[6:7]
	v_fma_f64 v[14:15], v[6:7], v[16:17], v[8:9]
	v_div_scale_f64 v[28:29], s[8:9], v[14:15], v[14:15], 1.0
	v_rcp_f64_e32 v[30:31], v[28:29]
	v_fma_f64 v[32:33], -v[28:29], v[30:31], 1.0
	v_fmac_f64_e32 v[30:31], v[30:31], v[32:33]
	v_fma_f64 v[32:33], -v[28:29], v[30:31], 1.0
	v_fmac_f64_e32 v[30:31], v[30:31], v[32:33]
	v_div_scale_f64 v[32:33], vcc, 1.0, v[14:15], 1.0
	v_mul_f64 v[34:35], v[32:33], v[30:31]
	v_fma_f64 v[28:29], -v[28:29], v[34:35], v[32:33]
	s_nop 1
	v_div_fmas_f64 v[28:29], v[28:29], v[30:31], v[34:35]
	v_div_fixup_f64 v[28:29], v[28:29], v[14:15], 1.0
	v_fma_f64 v[14:15], v[16:17], v[22:23], v[24:25]
	v_fma_f64 v[16:17], v[16:17], v[24:25], -v[22:23]
	v_mul_f64 v[14:15], v[14:15], v[28:29]
	v_mul_f64 v[16:17], v[16:17], v[28:29]
	s_cbranch_execz .LBB223_107
	s_branch .LBB223_108
.LBB223_106:                            ;   in Loop: Header=BB223_94 Depth=1
                                        ; implicit-def: $vgpr16_vgpr17
.LBB223_107:                            ;   in Loop: Header=BB223_94 Depth=1
	v_div_scale_f64 v[14:15], s[8:9], v[6:7], v[6:7], v[8:9]
	v_rcp_f64_e32 v[16:17], v[14:15]
	v_div_scale_f64 v[28:29], vcc, v[8:9], v[6:7], v[8:9]
	v_fma_f64 v[30:31], -v[14:15], v[16:17], 1.0
	v_fmac_f64_e32 v[16:17], v[16:17], v[30:31]
	v_fma_f64 v[30:31], -v[14:15], v[16:17], 1.0
	v_fmac_f64_e32 v[16:17], v[16:17], v[30:31]
	v_mul_f64 v[30:31], v[28:29], v[16:17]
	v_fma_f64 v[14:15], -v[14:15], v[30:31], v[28:29]
	v_div_fmas_f64 v[14:15], v[14:15], v[16:17], v[30:31]
	v_div_fixup_f64 v[16:17], v[14:15], v[6:7], v[8:9]
	v_fmac_f64_e32 v[6:7], v[8:9], v[16:17]
	v_div_scale_f64 v[8:9], s[8:9], v[6:7], v[6:7], 1.0
	v_rcp_f64_e32 v[14:15], v[8:9]
	v_fma_f64 v[28:29], -v[8:9], v[14:15], 1.0
	v_fmac_f64_e32 v[14:15], v[14:15], v[28:29]
	v_fma_f64 v[28:29], -v[8:9], v[14:15], 1.0
	v_fmac_f64_e32 v[14:15], v[14:15], v[28:29]
	v_div_scale_f64 v[28:29], vcc, 1.0, v[6:7], 1.0
	v_mul_f64 v[30:31], v[28:29], v[14:15]
	v_fma_f64 v[8:9], -v[8:9], v[30:31], v[28:29]
	s_nop 1
	v_div_fmas_f64 v[8:9], v[8:9], v[14:15], v[30:31]
	v_div_fixup_f64 v[6:7], v[8:9], v[6:7], 1.0
	v_fma_f64 v[8:9], v[16:17], v[24:25], v[22:23]
	v_mul_f64 v[14:15], v[8:9], v[6:7]
	v_fma_f64 v[8:9], -v[16:17], v[22:23], v[24:25]
	v_mul_f64 v[16:17], v[8:9], v[6:7]
.LBB223_108:                            ;   in Loop: Header=BB223_94 Depth=1
	s_add_i32 s8, s14, s11
	s_lshl_b32 s8, s8, 4
	s_add_i32 s14, s14, s16
	v_mov_b32_e32 v6, s8
	s_lshl_b32 s9, s14, 4
	ds_read_b128 v[6:9], v6
	v_mov_b32_e32 v22, s9
	ds_read_b128 v[22:25], v22
	s_sub_i32 s8, s8, 32
	ds_write_b128 v27, v[14:17]
	s_waitcnt lgkmcnt(2)
	v_mul_f64 v[28:29], v[20:21], v[8:9]
	v_mul_f64 v[8:9], v[18:19], v[8:9]
	v_fma_f64 v[28:29], v[18:19], v[6:7], -v[28:29]
	v_fmac_f64_e32 v[8:9], v[20:21], v[6:7]
	s_waitcnt lgkmcnt(1)
	v_mul_f64 v[6:7], v[12:13], v[24:25]
	v_add_f64 v[2:3], v[2:3], -v[28:29]
	v_fma_f64 v[6:7], v[10:11], v[22:23], -v[6:7]
	v_mul_f64 v[10:11], v[10:11], v[24:25]
	v_fmac_f64_e32 v[10:11], v[12:13], v[22:23]
	v_add_f64 v[12:13], v[2:3], -v[6:7]
	v_mov_b32_e32 v2, s8
	s_add_i32 s8, s15, 0xfffffeb0
	v_add_f64 v[4:5], v[4:5], -v[8:9]
	ds_read_b128 v[6:9], v2
	v_mov_b32_e32 v2, s8
	v_add_f64 v[18:19], v[4:5], -v[10:11]
	ds_read_b128 v[2:5], v2
	s_waitcnt lgkmcnt(1)
	v_mul_f64 v[10:11], v[16:17], v[8:9]
	v_mul_f64 v[8:9], v[14:15], v[8:9]
	v_fma_f64 v[10:11], v[14:15], v[6:7], -v[10:11]
	v_fmac_f64_e32 v[8:9], v[16:17], v[6:7]
	s_waitcnt lgkmcnt(0)
	v_xor_b32_e32 v6, 0x80000000, v3
	v_cmp_gt_f64_e32 vcc, 0, v[2:3]
	v_add_f64 v[10:11], v[12:13], -v[10:11]
	v_add_f64 v[12:13], v[18:19], -v[8:9]
	v_cndmask_b32_e32 v7, v3, v6, vcc
	v_xor_b32_e32 v8, 0x80000000, v5
	v_cmp_gt_f64_e32 vcc, 0, v[4:5]
	v_mov_b32_e32 v6, v2
	v_cndmask_b32_e32 v9, v5, v8, vcc
	v_mov_b32_e32 v8, v4
	v_cmp_ngt_f64_e32 vcc, v[6:7], v[8:9]
	s_cbranch_vccz .LBB223_110
; %bb.109:                              ;   in Loop: Header=BB223_94 Depth=1
	v_div_scale_f64 v[6:7], s[8:9], v[4:5], v[4:5], v[2:3]
	v_rcp_f64_e32 v[8:9], v[6:7]
	v_div_scale_f64 v[14:15], vcc, v[2:3], v[4:5], v[2:3]
	v_fma_f64 v[16:17], -v[6:7], v[8:9], 1.0
	v_fmac_f64_e32 v[8:9], v[8:9], v[16:17]
	v_fma_f64 v[16:17], -v[6:7], v[8:9], 1.0
	v_fmac_f64_e32 v[8:9], v[8:9], v[16:17]
	v_mul_f64 v[16:17], v[14:15], v[8:9]
	v_fma_f64 v[6:7], -v[6:7], v[16:17], v[14:15]
	v_div_fmas_f64 v[6:7], v[6:7], v[8:9], v[16:17]
	v_div_fixup_f64 v[8:9], v[6:7], v[4:5], v[2:3]
	v_fma_f64 v[6:7], v[2:3], v[8:9], v[4:5]
	v_div_scale_f64 v[14:15], s[8:9], v[6:7], v[6:7], 1.0
	v_rcp_f64_e32 v[16:17], v[14:15]
	v_fma_f64 v[18:19], -v[14:15], v[16:17], 1.0
	v_fmac_f64_e32 v[16:17], v[16:17], v[18:19]
	v_fma_f64 v[18:19], -v[14:15], v[16:17], 1.0
	v_fmac_f64_e32 v[16:17], v[16:17], v[18:19]
	v_div_scale_f64 v[18:19], vcc, 1.0, v[6:7], 1.0
	v_mul_f64 v[20:21], v[18:19], v[16:17]
	v_fma_f64 v[14:15], -v[14:15], v[20:21], v[18:19]
	s_nop 1
	v_div_fmas_f64 v[14:15], v[14:15], v[16:17], v[20:21]
	v_div_fixup_f64 v[14:15], v[14:15], v[6:7], 1.0
	v_fma_f64 v[6:7], v[8:9], v[10:11], v[12:13]
	v_fma_f64 v[8:9], v[8:9], v[12:13], -v[10:11]
	v_mul_f64 v[6:7], v[6:7], v[14:15]
	v_mul_f64 v[8:9], v[8:9], v[14:15]
	s_cbranch_execz .LBB223_111
	s_branch .LBB223_112
.LBB223_110:                            ;   in Loop: Header=BB223_94 Depth=1
                                        ; implicit-def: $vgpr8_vgpr9
.LBB223_111:                            ;   in Loop: Header=BB223_94 Depth=1
	v_div_scale_f64 v[6:7], s[8:9], v[2:3], v[2:3], v[4:5]
	v_rcp_f64_e32 v[8:9], v[6:7]
	v_div_scale_f64 v[14:15], vcc, v[4:5], v[2:3], v[4:5]
	v_fma_f64 v[16:17], -v[6:7], v[8:9], 1.0
	v_fmac_f64_e32 v[8:9], v[8:9], v[16:17]
	v_fma_f64 v[16:17], -v[6:7], v[8:9], 1.0
	v_fmac_f64_e32 v[8:9], v[8:9], v[16:17]
	v_mul_f64 v[16:17], v[14:15], v[8:9]
	v_fma_f64 v[6:7], -v[6:7], v[16:17], v[14:15]
	v_div_fmas_f64 v[6:7], v[6:7], v[8:9], v[16:17]
	v_div_fixup_f64 v[8:9], v[6:7], v[2:3], v[4:5]
	v_fmac_f64_e32 v[2:3], v[4:5], v[8:9]
	v_div_scale_f64 v[4:5], s[8:9], v[2:3], v[2:3], 1.0
	v_rcp_f64_e32 v[6:7], v[4:5]
	v_fma_f64 v[14:15], -v[4:5], v[6:7], 1.0
	v_fmac_f64_e32 v[6:7], v[6:7], v[14:15]
	v_fma_f64 v[14:15], -v[4:5], v[6:7], 1.0
	v_fmac_f64_e32 v[6:7], v[6:7], v[14:15]
	v_div_scale_f64 v[14:15], vcc, 1.0, v[2:3], 1.0
	v_mul_f64 v[16:17], v[14:15], v[6:7]
	v_fma_f64 v[4:5], -v[4:5], v[16:17], v[14:15]
	s_nop 1
	v_div_fmas_f64 v[4:5], v[4:5], v[6:7], v[16:17]
	v_div_fixup_f64 v[2:3], v[4:5], v[2:3], 1.0
	v_fma_f64 v[4:5], v[8:9], v[12:13], v[10:11]
	v_mul_f64 v[6:7], v[4:5], v[2:3]
	v_fma_f64 v[4:5], -v[8:9], v[10:11], v[12:13]
	v_mul_f64 v[8:9], v[4:5], v[2:3]
.LBB223_112:                            ;   in Loop: Header=BB223_94 Depth=1
	s_add_i32 s14, s11, -4
	s_addk_i32 s10, 0xfb00
	s_cmp_lt_i32 s11, 7
	ds_write_b128 v26, v[6:9]
	s_cbranch_scc1 .LBB223_114
; %bb.113:                              ;   in Loop: Header=BB223_94 Depth=1
	s_mov_b32 s11, s14
	s_branch .LBB223_94
.LBB223_114:
	s_cmp_lt_i32 s14, 0
	s_cbranch_scc1 .LBB223_123
; %bb.115:
	s_mul_i32 s8, s14, 0x140
	s_lshl_b32 s9, s34, 4
	s_add_i32 s8, s8, s9
	v_lshl_add_u32 v1, v0, 4, s1
	s_add_i32 s10, s8, -16
	v_add_u32_e32 v1, 0x17c0, v1
	s_branch .LBB223_117
.LBB223_116:                            ;   in Loop: Header=BB223_117 Depth=1
	s_add_i32 s1, s14, -1
	s_addk_i32 s10, 0xfec0
	s_cmp_lt_i32 s14, 1
	s_mov_b32 s14, s1
	ds_write_b128 v14, v[10:13]
	s_cbranch_scc1 .LBB223_123
.LBB223_117:                            ; =>This Loop Header: Depth=1
                                        ;     Child Loop BB223_118 Depth 2
	s_mul_i32 s1, s14, 20
	v_add_lshl_u32 v6, s1, v0, 4
	ds_read_b128 v[2:5], v6 offset:6400
	s_cmp_le_i32 s35, s14
	v_mov_b32_e32 v7, v1
	s_mov_b32 s1, s10
	s_mov_b32 s8, s35
	s_cbranch_scc1 .LBB223_119
.LBB223_118:                            ;   Parent Loop BB223_117 Depth=1
                                        ; =>  This Inner Loop Header: Depth=2
	v_mov_b32_e32 v12, s1
	ds_read_b128 v[8:11], v7
	ds_read_b128 v[12:15], v12
	s_add_i32 s8, s8, -1
	s_add_i32 s1, s1, -16
	v_add_u32_e32 v7, 0xfffffec0, v7
	s_cmp_le_i32 s8, s14
	s_waitcnt lgkmcnt(0)
	v_mul_f64 v[16:17], v[14:15], v[10:11]
	v_mul_f64 v[10:11], v[12:13], v[10:11]
	v_fma_f64 v[12:13], v[12:13], v[8:9], -v[16:17]
	v_fmac_f64_e32 v[10:11], v[14:15], v[8:9]
	v_add_f64 v[2:3], v[2:3], -v[12:13]
	v_add_f64 v[4:5], v[4:5], -v[10:11]
	s_cbranch_scc0 .LBB223_118
.LBB223_119:                            ;   in Loop: Header=BB223_117 Depth=1
	s_mul_i32 s1, s14, 0x150
	v_add_u32_e32 v14, 0x1900, v6
	v_mov_b32_e32 v6, s1
	ds_read_b128 v[6:9], v6
	s_waitcnt lgkmcnt(0)
	v_xor_b32_e32 v11, 0x80000000, v7
	v_cmp_gt_f64_e32 vcc, 0, v[6:7]
	v_xor_b32_e32 v12, 0x80000000, v9
	v_cndmask_b32_e32 v11, v7, v11, vcc
	v_cmp_gt_f64_e32 vcc, 0, v[8:9]
	v_mov_b32_e32 v10, v6
	v_cndmask_b32_e32 v13, v9, v12, vcc
	v_mov_b32_e32 v12, v8
	v_cmp_ngt_f64_e32 vcc, v[10:11], v[12:13]
	s_cbranch_vccz .LBB223_121
; %bb.120:                              ;   in Loop: Header=BB223_117 Depth=1
	v_div_scale_f64 v[10:11], s[8:9], v[8:9], v[8:9], v[6:7]
	v_rcp_f64_e32 v[12:13], v[10:11]
	v_div_scale_f64 v[16:17], vcc, v[6:7], v[8:9], v[6:7]
	v_fma_f64 v[18:19], -v[10:11], v[12:13], 1.0
	v_fmac_f64_e32 v[12:13], v[12:13], v[18:19]
	v_fma_f64 v[18:19], -v[10:11], v[12:13], 1.0
	v_fmac_f64_e32 v[12:13], v[12:13], v[18:19]
	v_mul_f64 v[18:19], v[16:17], v[12:13]
	v_fma_f64 v[10:11], -v[10:11], v[18:19], v[16:17]
	v_div_fmas_f64 v[10:11], v[10:11], v[12:13], v[18:19]
	v_div_fixup_f64 v[12:13], v[10:11], v[8:9], v[6:7]
	v_fma_f64 v[10:11], v[6:7], v[12:13], v[8:9]
	v_div_scale_f64 v[16:17], s[8:9], v[10:11], v[10:11], 1.0
	v_rcp_f64_e32 v[18:19], v[16:17]
	v_fma_f64 v[20:21], -v[16:17], v[18:19], 1.0
	v_fmac_f64_e32 v[18:19], v[18:19], v[20:21]
	v_fma_f64 v[20:21], -v[16:17], v[18:19], 1.0
	v_fmac_f64_e32 v[18:19], v[18:19], v[20:21]
	v_div_scale_f64 v[20:21], vcc, 1.0, v[10:11], 1.0
	v_mul_f64 v[22:23], v[20:21], v[18:19]
	v_fma_f64 v[16:17], -v[16:17], v[22:23], v[20:21]
	s_nop 1
	v_div_fmas_f64 v[16:17], v[16:17], v[18:19], v[22:23]
	v_div_fixup_f64 v[16:17], v[16:17], v[10:11], 1.0
	v_fma_f64 v[10:11], v[2:3], v[12:13], v[4:5]
	v_fma_f64 v[12:13], v[4:5], v[12:13], -v[2:3]
	v_mul_f64 v[10:11], v[10:11], v[16:17]
	v_mul_f64 v[12:13], v[12:13], v[16:17]
	s_cbranch_execnz .LBB223_116
	s_branch .LBB223_122
.LBB223_121:                            ;   in Loop: Header=BB223_117 Depth=1
                                        ; implicit-def: $vgpr10_vgpr11
.LBB223_122:                            ;   in Loop: Header=BB223_117 Depth=1
	v_div_scale_f64 v[10:11], s[8:9], v[6:7], v[6:7], v[8:9]
	v_rcp_f64_e32 v[12:13], v[10:11]
	v_div_scale_f64 v[16:17], vcc, v[8:9], v[6:7], v[8:9]
	v_fma_f64 v[18:19], -v[10:11], v[12:13], 1.0
	v_fmac_f64_e32 v[12:13], v[12:13], v[18:19]
	v_fma_f64 v[18:19], -v[10:11], v[12:13], 1.0
	v_fmac_f64_e32 v[12:13], v[12:13], v[18:19]
	v_mul_f64 v[18:19], v[16:17], v[12:13]
	v_fma_f64 v[10:11], -v[10:11], v[18:19], v[16:17]
	v_div_fmas_f64 v[10:11], v[10:11], v[12:13], v[18:19]
	v_div_fixup_f64 v[12:13], v[10:11], v[6:7], v[8:9]
	v_fmac_f64_e32 v[6:7], v[8:9], v[12:13]
	v_div_scale_f64 v[8:9], s[8:9], v[6:7], v[6:7], 1.0
	v_rcp_f64_e32 v[10:11], v[8:9]
	v_fma_f64 v[16:17], -v[8:9], v[10:11], 1.0
	v_fmac_f64_e32 v[10:11], v[10:11], v[16:17]
	v_fma_f64 v[16:17], -v[8:9], v[10:11], 1.0
	v_fmac_f64_e32 v[10:11], v[10:11], v[16:17]
	v_div_scale_f64 v[16:17], vcc, 1.0, v[6:7], 1.0
	v_mul_f64 v[18:19], v[16:17], v[10:11]
	v_fma_f64 v[8:9], -v[8:9], v[18:19], v[16:17]
	s_nop 1
	v_div_fmas_f64 v[8:9], v[8:9], v[10:11], v[18:19]
	v_div_fixup_f64 v[6:7], v[8:9], v[6:7], 1.0
	v_fma_f64 v[8:9], v[4:5], v[12:13], v[2:3]
	v_fma_f64 v[2:3], -v[2:3], v[12:13], v[4:5]
	v_mul_f64 v[10:11], v[8:9], v[6:7]
	v_mul_f64 v[12:13], v[2:3], v[6:7]
	s_branch .LBB223_116
.LBB223_123:
	s_mov_b64 s[14:15], 0
.LBB223_124:
	s_andn2_b64 vcc, exec, s[14:15]
	s_cbranch_vccnz .LBB223_163
; %bb.125:
	s_cmp_lt_i32 s33, 4
	s_mov_b32 s11, 0
	s_cbranch_scc1 .LBB223_148
; %bb.126:
	v_mov_b32_e32 v1, 0x1900
	v_lshl_add_u32 v1, v0, 4, v1
	s_mov_b32 s1, 0
	s_mov_b32 s10, 0
.LBB223_127:                            ; =>This Loop Header: Depth=1
                                        ;     Child Loop BB223_129 Depth 2
	s_mul_i32 s11, s10, 20
	s_add_i32 s14, s11, 40
	v_add_lshl_u32 v18, s11, v0, 4
	s_add_i32 s16, s11, 20
	v_add_lshl_u32 v20, s14, v0, 4
	;; [unrolled: 2-line block ×3, first 2 shown]
	ds_read_b128 v[14:17], v18 offset:6400
	ds_read_b128 v[10:13], v19 offset:6400
	v_add_lshl_u32 v21, s11, v0, 4
	ds_read_b128 v[6:9], v20 offset:6400
	ds_read_b128 v[2:5], v21 offset:6400
	s_cmp_eq_u32 s10, 0
	s_cbranch_scc1 .LBB223_130
; %bb.128:                              ;   in Loop: Header=BB223_127 Depth=1
	s_mov_b32 s8, 0
	v_mov_b32_e32 v22, v1
	s_mov_b32 s9, s1
.LBB223_129:                            ;   Parent Loop BB223_127 Depth=1
                                        ; =>  This Inner Loop Header: Depth=2
	v_mov_b32_e32 v23, s9
	ds_read_b128 v[24:27], v22
	ds_read_b128 v[28:31], v22 offset:320
	ds_read_b128 v[32:35], v23
	ds_read_b128 v[36:39], v23 offset:16
	ds_read_b128 v[40:43], v23 offset:320
	ds_read_b128 v[44:47], v23 offset:336
	ds_read_b128 v[48:51], v23 offset:640
	ds_read_b128 v[52:55], v23 offset:656
	ds_read_b128 v[56:59], v23 offset:960
	ds_read_b128 v[60:63], v23 offset:976
	s_add_i32 s8, s8, 2
	s_add_i32 s9, s9, 32
	s_waitcnt lgkmcnt(7)
	v_mul_f64 v[64:65], v[26:27], v[34:35]
	v_mul_f64 v[34:35], v[24:25], v[34:35]
	s_waitcnt lgkmcnt(5)
	v_mul_f64 v[66:67], v[26:27], v[42:43]
	v_mul_f64 v[42:43], v[24:25], v[42:43]
	;; [unrolled: 3-line block ×4, first 2 shown]
	v_mul_f64 v[72:73], v[30:31], v[38:39]
	v_mul_f64 v[38:39], v[28:29], v[38:39]
	;; [unrolled: 1-line block ×6, first 2 shown]
	s_waitcnt lgkmcnt(0)
	v_mul_f64 v[78:79], v[30:31], v[62:63]
	v_mul_f64 v[62:63], v[28:29], v[62:63]
	v_fma_f64 v[64:65], v[24:25], v[32:33], -v[64:65]
	v_fmac_f64_e32 v[34:35], v[26:27], v[32:33]
	v_fma_f64 v[32:33], v[24:25], v[40:41], -v[66:67]
	v_fmac_f64_e32 v[42:43], v[26:27], v[40:41]
	;; [unrolled: 2-line block ×8, first 2 shown]
	v_add_f64 v[14:15], v[14:15], -v[64:65]
	v_add_f64 v[16:17], v[16:17], -v[34:35]
	;; [unrolled: 1-line block ×8, first 2 shown]
	v_add_u32_e32 v22, 0x280, v22
	s_cmp_ge_u32 s8, s10
	v_add_f64 v[14:15], v[14:15], -v[26:27]
	v_add_f64 v[16:17], v[16:17], -v[38:39]
	;; [unrolled: 1-line block ×8, first 2 shown]
	s_cbranch_scc0 .LBB223_129
.LBB223_130:                            ;   in Loop: Header=BB223_127 Depth=1
	s_mul_i32 s15, s10, 0x150
	v_add_u32_e32 v29, 0x1900, v18
	v_mov_b32_e32 v18, s15
	ds_read_b128 v[22:25], v18
	v_add_u32_e32 v28, 0x1900, v19
	v_add_u32_e32 v27, 0x1900, v20
	;; [unrolled: 1-line block ×3, first 2 shown]
	s_waitcnt lgkmcnt(0)
	v_xor_b32_e32 v19, 0x80000000, v23
	v_cmp_gt_f64_e32 vcc, 0, v[22:23]
	v_xor_b32_e32 v20, 0x80000000, v25
	v_cndmask_b32_e32 v19, v23, v19, vcc
	v_cmp_gt_f64_e32 vcc, 0, v[24:25]
	v_mov_b32_e32 v18, v22
	v_cndmask_b32_e32 v21, v25, v20, vcc
	v_mov_b32_e32 v20, v24
	v_cmp_ngt_f64_e32 vcc, v[18:19], v[20:21]
	s_cbranch_vccz .LBB223_132
; %bb.131:                              ;   in Loop: Header=BB223_127 Depth=1
	v_div_scale_f64 v[18:19], s[8:9], v[24:25], v[24:25], v[22:23]
	v_rcp_f64_e32 v[20:21], v[18:19]
	v_div_scale_f64 v[30:31], vcc, v[22:23], v[24:25], v[22:23]
	v_fma_f64 v[32:33], -v[18:19], v[20:21], 1.0
	v_fmac_f64_e32 v[20:21], v[20:21], v[32:33]
	v_fma_f64 v[32:33], -v[18:19], v[20:21], 1.0
	v_fmac_f64_e32 v[20:21], v[20:21], v[32:33]
	v_mul_f64 v[32:33], v[30:31], v[20:21]
	v_fma_f64 v[18:19], -v[18:19], v[32:33], v[30:31]
	v_div_fmas_f64 v[18:19], v[18:19], v[20:21], v[32:33]
	v_div_fixup_f64 v[20:21], v[18:19], v[24:25], v[22:23]
	v_fma_f64 v[18:19], v[22:23], v[20:21], v[24:25]
	v_div_scale_f64 v[30:31], s[8:9], v[18:19], v[18:19], 1.0
	v_rcp_f64_e32 v[32:33], v[30:31]
	v_fma_f64 v[34:35], -v[30:31], v[32:33], 1.0
	v_fmac_f64_e32 v[32:33], v[32:33], v[34:35]
	v_fma_f64 v[34:35], -v[30:31], v[32:33], 1.0
	v_fmac_f64_e32 v[32:33], v[32:33], v[34:35]
	v_div_scale_f64 v[34:35], vcc, 1.0, v[18:19], 1.0
	v_mul_f64 v[36:37], v[34:35], v[32:33]
	v_fma_f64 v[30:31], -v[30:31], v[36:37], v[34:35]
	s_nop 1
	v_div_fmas_f64 v[30:31], v[30:31], v[32:33], v[36:37]
	v_div_fixup_f64 v[30:31], v[30:31], v[18:19], 1.0
	v_fma_f64 v[18:19], v[14:15], v[20:21], v[16:17]
	v_fma_f64 v[20:21], v[16:17], v[20:21], -v[14:15]
	v_mul_f64 v[18:19], v[18:19], v[30:31]
	v_mul_f64 v[20:21], v[20:21], v[30:31]
	s_cbranch_execz .LBB223_133
	s_branch .LBB223_134
.LBB223_132:                            ;   in Loop: Header=BB223_127 Depth=1
                                        ; implicit-def: $vgpr20_vgpr21
.LBB223_133:                            ;   in Loop: Header=BB223_127 Depth=1
	v_div_scale_f64 v[18:19], s[8:9], v[22:23], v[22:23], v[24:25]
	v_rcp_f64_e32 v[20:21], v[18:19]
	v_div_scale_f64 v[30:31], vcc, v[24:25], v[22:23], v[24:25]
	v_fma_f64 v[32:33], -v[18:19], v[20:21], 1.0
	v_fmac_f64_e32 v[20:21], v[20:21], v[32:33]
	v_fma_f64 v[32:33], -v[18:19], v[20:21], 1.0
	v_fmac_f64_e32 v[20:21], v[20:21], v[32:33]
	v_mul_f64 v[32:33], v[30:31], v[20:21]
	v_fma_f64 v[18:19], -v[18:19], v[32:33], v[30:31]
	v_div_fmas_f64 v[18:19], v[18:19], v[20:21], v[32:33]
	v_div_fixup_f64 v[20:21], v[18:19], v[22:23], v[24:25]
	v_fmac_f64_e32 v[22:23], v[24:25], v[20:21]
	v_div_scale_f64 v[18:19], s[8:9], v[22:23], v[22:23], 1.0
	v_rcp_f64_e32 v[24:25], v[18:19]
	v_fma_f64 v[30:31], -v[18:19], v[24:25], 1.0
	v_fmac_f64_e32 v[24:25], v[24:25], v[30:31]
	v_fma_f64 v[30:31], -v[18:19], v[24:25], 1.0
	v_fmac_f64_e32 v[24:25], v[24:25], v[30:31]
	v_div_scale_f64 v[30:31], vcc, 1.0, v[22:23], 1.0
	v_mul_f64 v[32:33], v[30:31], v[24:25]
	v_fma_f64 v[18:19], -v[18:19], v[32:33], v[30:31]
	s_nop 1
	v_div_fmas_f64 v[18:19], v[18:19], v[24:25], v[32:33]
	v_div_fixup_f64 v[22:23], v[18:19], v[22:23], 1.0
	v_fma_f64 v[18:19], v[16:17], v[20:21], v[14:15]
	v_fma_f64 v[14:15], -v[14:15], v[20:21], v[16:17]
	v_mul_f64 v[18:19], v[18:19], v[22:23]
	v_mul_f64 v[20:21], v[14:15], v[22:23]
.LBB223_134:                            ;   in Loop: Header=BB223_127 Depth=1
	s_add_i32 s16, s16, s10
	s_lshl_b32 s8, s16, 4
	v_mov_b32_e32 v14, s8
	ds_read_b128 v[22:25], v14
	v_mov_b32_e32 v14, s15
	ds_read_b128 v[14:17], v14 offset:336
	ds_write_b128 v29, v[18:21]
	s_waitcnt lgkmcnt(2)
	v_mul_f64 v[30:31], v[20:21], v[24:25]
	v_mul_f64 v[24:25], v[18:19], v[24:25]
	v_fma_f64 v[30:31], v[18:19], v[22:23], -v[30:31]
	v_fmac_f64_e32 v[24:25], v[20:21], v[22:23]
	v_add_f64 v[22:23], v[10:11], -v[30:31]
	s_waitcnt lgkmcnt(1)
	v_xor_b32_e32 v10, 0x80000000, v15
	v_cmp_gt_f64_e32 vcc, 0, v[14:15]
	v_add_f64 v[24:25], v[12:13], -v[24:25]
	v_cndmask_b32_e32 v11, v15, v10, vcc
	v_xor_b32_e32 v12, 0x80000000, v17
	v_cmp_gt_f64_e32 vcc, 0, v[16:17]
	v_mov_b32_e32 v10, v14
	v_cndmask_b32_e32 v13, v17, v12, vcc
	v_mov_b32_e32 v12, v16
	v_cmp_ngt_f64_e32 vcc, v[10:11], v[12:13]
	s_cbranch_vccz .LBB223_136
; %bb.135:                              ;   in Loop: Header=BB223_127 Depth=1
	v_div_scale_f64 v[10:11], s[8:9], v[16:17], v[16:17], v[14:15]
	v_rcp_f64_e32 v[12:13], v[10:11]
	v_div_scale_f64 v[30:31], vcc, v[14:15], v[16:17], v[14:15]
	v_fma_f64 v[32:33], -v[10:11], v[12:13], 1.0
	v_fmac_f64_e32 v[12:13], v[12:13], v[32:33]
	v_fma_f64 v[32:33], -v[10:11], v[12:13], 1.0
	v_fmac_f64_e32 v[12:13], v[12:13], v[32:33]
	v_mul_f64 v[32:33], v[30:31], v[12:13]
	v_fma_f64 v[10:11], -v[10:11], v[32:33], v[30:31]
	v_div_fmas_f64 v[10:11], v[10:11], v[12:13], v[32:33]
	v_div_fixup_f64 v[12:13], v[10:11], v[16:17], v[14:15]
	v_fma_f64 v[10:11], v[14:15], v[12:13], v[16:17]
	v_div_scale_f64 v[30:31], s[8:9], v[10:11], v[10:11], 1.0
	v_rcp_f64_e32 v[32:33], v[30:31]
	v_fma_f64 v[34:35], -v[30:31], v[32:33], 1.0
	v_fmac_f64_e32 v[32:33], v[32:33], v[34:35]
	v_fma_f64 v[34:35], -v[30:31], v[32:33], 1.0
	v_fmac_f64_e32 v[32:33], v[32:33], v[34:35]
	v_div_scale_f64 v[34:35], vcc, 1.0, v[10:11], 1.0
	v_mul_f64 v[36:37], v[34:35], v[32:33]
	v_fma_f64 v[30:31], -v[30:31], v[36:37], v[34:35]
	s_nop 1
	v_div_fmas_f64 v[30:31], v[30:31], v[32:33], v[36:37]
	v_div_fixup_f64 v[30:31], v[30:31], v[10:11], 1.0
	v_fma_f64 v[10:11], v[12:13], v[22:23], v[24:25]
	v_fma_f64 v[12:13], v[12:13], v[24:25], -v[22:23]
	v_mul_f64 v[10:11], v[10:11], v[30:31]
	v_mul_f64 v[12:13], v[12:13], v[30:31]
	s_cbranch_execz .LBB223_137
	s_branch .LBB223_138
.LBB223_136:                            ;   in Loop: Header=BB223_127 Depth=1
                                        ; implicit-def: $vgpr12_vgpr13
.LBB223_137:                            ;   in Loop: Header=BB223_127 Depth=1
	v_div_scale_f64 v[10:11], s[8:9], v[14:15], v[14:15], v[16:17]
	v_rcp_f64_e32 v[12:13], v[10:11]
	v_div_scale_f64 v[30:31], vcc, v[16:17], v[14:15], v[16:17]
	v_fma_f64 v[32:33], -v[10:11], v[12:13], 1.0
	v_fmac_f64_e32 v[12:13], v[12:13], v[32:33]
	v_fma_f64 v[32:33], -v[10:11], v[12:13], 1.0
	v_fmac_f64_e32 v[12:13], v[12:13], v[32:33]
	v_mul_f64 v[32:33], v[30:31], v[12:13]
	v_fma_f64 v[10:11], -v[10:11], v[32:33], v[30:31]
	v_div_fmas_f64 v[10:11], v[10:11], v[12:13], v[32:33]
	v_div_fixup_f64 v[12:13], v[10:11], v[14:15], v[16:17]
	v_fmac_f64_e32 v[14:15], v[16:17], v[12:13]
	v_div_scale_f64 v[10:11], s[8:9], v[14:15], v[14:15], 1.0
	v_rcp_f64_e32 v[16:17], v[10:11]
	v_fma_f64 v[30:31], -v[10:11], v[16:17], 1.0
	v_fmac_f64_e32 v[16:17], v[16:17], v[30:31]
	v_fma_f64 v[30:31], -v[10:11], v[16:17], 1.0
	v_fmac_f64_e32 v[16:17], v[16:17], v[30:31]
	v_div_scale_f64 v[30:31], vcc, 1.0, v[14:15], 1.0
	v_mul_f64 v[32:33], v[30:31], v[16:17]
	v_fma_f64 v[10:11], -v[10:11], v[32:33], v[30:31]
	s_nop 1
	v_div_fmas_f64 v[10:11], v[10:11], v[16:17], v[32:33]
	v_div_fixup_f64 v[14:15], v[10:11], v[14:15], 1.0
	v_fma_f64 v[10:11], v[12:13], v[24:25], v[22:23]
	v_fma_f64 v[12:13], -v[12:13], v[22:23], v[24:25]
	v_mul_f64 v[10:11], v[10:11], v[14:15]
	v_mul_f64 v[12:13], v[12:13], v[14:15]
.LBB223_138:                            ;   in Loop: Header=BB223_127 Depth=1
	s_add_i32 s14, s14, s10
	s_lshl_b32 s8, s14, 4
	v_mov_b32_e32 v22, s8
	ds_read_b128 v[14:17], v22
	ds_read_b128 v[22:25], v22 offset:16
	ds_write_b128 v28, v[10:13]
	s_waitcnt lgkmcnt(2)
	v_mul_f64 v[28:29], v[20:21], v[16:17]
	v_mul_f64 v[16:17], v[18:19], v[16:17]
	v_fma_f64 v[28:29], v[18:19], v[14:15], -v[28:29]
	v_fmac_f64_e32 v[16:17], v[20:21], v[14:15]
	v_add_f64 v[14:15], v[6:7], -v[28:29]
	s_waitcnt lgkmcnt(1)
	v_mul_f64 v[6:7], v[12:13], v[24:25]
	v_fma_f64 v[28:29], v[10:11], v[22:23], -v[6:7]
	v_mov_b32_e32 v6, s15
	v_add_f64 v[16:17], v[8:9], -v[16:17]
	ds_read_b128 v[6:9], v6 offset:672
	v_mul_f64 v[24:25], v[10:11], v[24:25]
	v_fmac_f64_e32 v[24:25], v[12:13], v[22:23]
	v_add_f64 v[22:23], v[14:15], -v[28:29]
	v_add_f64 v[24:25], v[16:17], -v[24:25]
	s_waitcnt lgkmcnt(0)
	v_xor_b32_e32 v14, 0x80000000, v7
	v_cmp_gt_f64_e32 vcc, 0, v[6:7]
	v_cndmask_b32_e32 v15, v7, v14, vcc
	v_xor_b32_e32 v16, 0x80000000, v9
	v_cmp_gt_f64_e32 vcc, 0, v[8:9]
	v_mov_b32_e32 v14, v6
	v_cndmask_b32_e32 v17, v9, v16, vcc
	v_mov_b32_e32 v16, v8
	v_cmp_ngt_f64_e32 vcc, v[14:15], v[16:17]
	s_cbranch_vccz .LBB223_140
; %bb.139:                              ;   in Loop: Header=BB223_127 Depth=1
	v_div_scale_f64 v[14:15], s[8:9], v[8:9], v[8:9], v[6:7]
	v_rcp_f64_e32 v[16:17], v[14:15]
	v_div_scale_f64 v[28:29], vcc, v[6:7], v[8:9], v[6:7]
	v_fma_f64 v[30:31], -v[14:15], v[16:17], 1.0
	v_fmac_f64_e32 v[16:17], v[16:17], v[30:31]
	v_fma_f64 v[30:31], -v[14:15], v[16:17], 1.0
	v_fmac_f64_e32 v[16:17], v[16:17], v[30:31]
	v_mul_f64 v[30:31], v[28:29], v[16:17]
	v_fma_f64 v[14:15], -v[14:15], v[30:31], v[28:29]
	v_div_fmas_f64 v[14:15], v[14:15], v[16:17], v[30:31]
	v_div_fixup_f64 v[16:17], v[14:15], v[8:9], v[6:7]
	v_fma_f64 v[14:15], v[6:7], v[16:17], v[8:9]
	v_div_scale_f64 v[28:29], s[8:9], v[14:15], v[14:15], 1.0
	v_rcp_f64_e32 v[30:31], v[28:29]
	v_fma_f64 v[32:33], -v[28:29], v[30:31], 1.0
	v_fmac_f64_e32 v[30:31], v[30:31], v[32:33]
	v_fma_f64 v[32:33], -v[28:29], v[30:31], 1.0
	v_fmac_f64_e32 v[30:31], v[30:31], v[32:33]
	v_div_scale_f64 v[32:33], vcc, 1.0, v[14:15], 1.0
	v_mul_f64 v[34:35], v[32:33], v[30:31]
	v_fma_f64 v[28:29], -v[28:29], v[34:35], v[32:33]
	s_nop 1
	v_div_fmas_f64 v[28:29], v[28:29], v[30:31], v[34:35]
	v_div_fixup_f64 v[28:29], v[28:29], v[14:15], 1.0
	v_fma_f64 v[14:15], v[16:17], v[22:23], v[24:25]
	v_fma_f64 v[16:17], v[16:17], v[24:25], -v[22:23]
	v_mul_f64 v[14:15], v[14:15], v[28:29]
	v_mul_f64 v[16:17], v[16:17], v[28:29]
	s_cbranch_execz .LBB223_141
	s_branch .LBB223_142
.LBB223_140:                            ;   in Loop: Header=BB223_127 Depth=1
                                        ; implicit-def: $vgpr16_vgpr17
.LBB223_141:                            ;   in Loop: Header=BB223_127 Depth=1
	v_div_scale_f64 v[14:15], s[8:9], v[6:7], v[6:7], v[8:9]
	v_rcp_f64_e32 v[16:17], v[14:15]
	v_div_scale_f64 v[28:29], vcc, v[8:9], v[6:7], v[8:9]
	v_fma_f64 v[30:31], -v[14:15], v[16:17], 1.0
	v_fmac_f64_e32 v[16:17], v[16:17], v[30:31]
	v_fma_f64 v[30:31], -v[14:15], v[16:17], 1.0
	v_fmac_f64_e32 v[16:17], v[16:17], v[30:31]
	v_mul_f64 v[30:31], v[28:29], v[16:17]
	v_fma_f64 v[14:15], -v[14:15], v[30:31], v[28:29]
	v_div_fmas_f64 v[14:15], v[14:15], v[16:17], v[30:31]
	v_div_fixup_f64 v[16:17], v[14:15], v[6:7], v[8:9]
	v_fmac_f64_e32 v[6:7], v[8:9], v[16:17]
	v_div_scale_f64 v[8:9], s[8:9], v[6:7], v[6:7], 1.0
	v_rcp_f64_e32 v[14:15], v[8:9]
	v_fma_f64 v[28:29], -v[8:9], v[14:15], 1.0
	v_fmac_f64_e32 v[14:15], v[14:15], v[28:29]
	v_fma_f64 v[28:29], -v[8:9], v[14:15], 1.0
	v_fmac_f64_e32 v[14:15], v[14:15], v[28:29]
	v_div_scale_f64 v[28:29], vcc, 1.0, v[6:7], 1.0
	v_mul_f64 v[30:31], v[28:29], v[14:15]
	v_fma_f64 v[8:9], -v[8:9], v[30:31], v[28:29]
	s_nop 1
	v_div_fmas_f64 v[8:9], v[8:9], v[14:15], v[30:31]
	v_div_fixup_f64 v[6:7], v[8:9], v[6:7], 1.0
	v_fma_f64 v[8:9], v[16:17], v[24:25], v[22:23]
	v_mul_f64 v[14:15], v[8:9], v[6:7]
	v_fma_f64 v[8:9], -v[16:17], v[22:23], v[24:25]
	v_mul_f64 v[16:17], v[8:9], v[6:7]
.LBB223_142:                            ;   in Loop: Header=BB223_127 Depth=1
	s_add_i32 s11, s11, s10
	s_lshl_b32 s8, s11, 4
	v_mov_b32_e32 v30, s8
	ds_read_b128 v[6:9], v30
	ds_read_b128 v[22:25], v30 offset:16
	ds_write_b128 v27, v[14:17]
	s_waitcnt lgkmcnt(2)
	v_mul_f64 v[28:29], v[20:21], v[8:9]
	v_mul_f64 v[8:9], v[18:19], v[8:9]
	v_fma_f64 v[18:19], v[18:19], v[6:7], -v[28:29]
	v_fmac_f64_e32 v[8:9], v[20:21], v[6:7]
	s_waitcnt lgkmcnt(1)
	v_mul_f64 v[6:7], v[12:13], v[24:25]
	v_add_f64 v[2:3], v[2:3], -v[18:19]
	v_fma_f64 v[18:19], v[10:11], v[22:23], -v[6:7]
	v_mul_f64 v[10:11], v[10:11], v[24:25]
	v_add_f64 v[4:5], v[4:5], -v[8:9]
	v_fmac_f64_e32 v[10:11], v[12:13], v[22:23]
	ds_read_b128 v[6:9], v30 offset:32
	v_add_f64 v[12:13], v[2:3], -v[18:19]
	v_mov_b32_e32 v2, s15
	v_add_f64 v[18:19], v[4:5], -v[10:11]
	ds_read_b128 v[2:5], v2 offset:1008
	s_waitcnt lgkmcnt(1)
	v_mul_f64 v[10:11], v[16:17], v[8:9]
	v_mul_f64 v[8:9], v[14:15], v[8:9]
	v_fma_f64 v[10:11], v[14:15], v[6:7], -v[10:11]
	v_fmac_f64_e32 v[8:9], v[16:17], v[6:7]
	s_waitcnt lgkmcnt(0)
	v_xor_b32_e32 v6, 0x80000000, v3
	v_cmp_gt_f64_e32 vcc, 0, v[2:3]
	v_add_f64 v[10:11], v[12:13], -v[10:11]
	v_add_f64 v[12:13], v[18:19], -v[8:9]
	v_cndmask_b32_e32 v7, v3, v6, vcc
	v_xor_b32_e32 v8, 0x80000000, v5
	v_cmp_gt_f64_e32 vcc, 0, v[4:5]
	v_mov_b32_e32 v6, v2
	v_cndmask_b32_e32 v9, v5, v8, vcc
	v_mov_b32_e32 v8, v4
	v_cmp_ngt_f64_e32 vcc, v[6:7], v[8:9]
	s_cbranch_vccz .LBB223_144
; %bb.143:                              ;   in Loop: Header=BB223_127 Depth=1
	v_div_scale_f64 v[6:7], s[8:9], v[4:5], v[4:5], v[2:3]
	v_rcp_f64_e32 v[8:9], v[6:7]
	v_div_scale_f64 v[14:15], vcc, v[2:3], v[4:5], v[2:3]
	v_fma_f64 v[16:17], -v[6:7], v[8:9], 1.0
	v_fmac_f64_e32 v[8:9], v[8:9], v[16:17]
	v_fma_f64 v[16:17], -v[6:7], v[8:9], 1.0
	v_fmac_f64_e32 v[8:9], v[8:9], v[16:17]
	v_mul_f64 v[16:17], v[14:15], v[8:9]
	v_fma_f64 v[6:7], -v[6:7], v[16:17], v[14:15]
	v_div_fmas_f64 v[6:7], v[6:7], v[8:9], v[16:17]
	v_div_fixup_f64 v[8:9], v[6:7], v[4:5], v[2:3]
	v_fma_f64 v[6:7], v[2:3], v[8:9], v[4:5]
	v_div_scale_f64 v[14:15], s[8:9], v[6:7], v[6:7], 1.0
	v_rcp_f64_e32 v[16:17], v[14:15]
	v_fma_f64 v[18:19], -v[14:15], v[16:17], 1.0
	v_fmac_f64_e32 v[16:17], v[16:17], v[18:19]
	v_fma_f64 v[18:19], -v[14:15], v[16:17], 1.0
	v_fmac_f64_e32 v[16:17], v[16:17], v[18:19]
	v_div_scale_f64 v[18:19], vcc, 1.0, v[6:7], 1.0
	v_mul_f64 v[20:21], v[18:19], v[16:17]
	v_fma_f64 v[14:15], -v[14:15], v[20:21], v[18:19]
	s_nop 1
	v_div_fmas_f64 v[14:15], v[14:15], v[16:17], v[20:21]
	v_div_fixup_f64 v[14:15], v[14:15], v[6:7], 1.0
	v_fma_f64 v[6:7], v[8:9], v[10:11], v[12:13]
	v_fma_f64 v[8:9], v[8:9], v[12:13], -v[10:11]
	v_mul_f64 v[6:7], v[6:7], v[14:15]
	v_mul_f64 v[8:9], v[8:9], v[14:15]
	s_cbranch_execz .LBB223_145
	s_branch .LBB223_146
.LBB223_144:                            ;   in Loop: Header=BB223_127 Depth=1
                                        ; implicit-def: $vgpr8_vgpr9
.LBB223_145:                            ;   in Loop: Header=BB223_127 Depth=1
	v_div_scale_f64 v[6:7], s[8:9], v[2:3], v[2:3], v[4:5]
	v_rcp_f64_e32 v[8:9], v[6:7]
	v_div_scale_f64 v[14:15], vcc, v[4:5], v[2:3], v[4:5]
	v_fma_f64 v[16:17], -v[6:7], v[8:9], 1.0
	v_fmac_f64_e32 v[8:9], v[8:9], v[16:17]
	v_fma_f64 v[16:17], -v[6:7], v[8:9], 1.0
	v_fmac_f64_e32 v[8:9], v[8:9], v[16:17]
	v_mul_f64 v[16:17], v[14:15], v[8:9]
	v_fma_f64 v[6:7], -v[6:7], v[16:17], v[14:15]
	v_div_fmas_f64 v[6:7], v[6:7], v[8:9], v[16:17]
	v_div_fixup_f64 v[8:9], v[6:7], v[2:3], v[4:5]
	v_fmac_f64_e32 v[2:3], v[4:5], v[8:9]
	v_div_scale_f64 v[4:5], s[8:9], v[2:3], v[2:3], 1.0
	v_rcp_f64_e32 v[6:7], v[4:5]
	v_fma_f64 v[14:15], -v[4:5], v[6:7], 1.0
	v_fmac_f64_e32 v[6:7], v[6:7], v[14:15]
	v_fma_f64 v[14:15], -v[4:5], v[6:7], 1.0
	v_fmac_f64_e32 v[6:7], v[6:7], v[14:15]
	v_div_scale_f64 v[14:15], vcc, 1.0, v[2:3], 1.0
	v_mul_f64 v[16:17], v[14:15], v[6:7]
	v_fma_f64 v[4:5], -v[4:5], v[16:17], v[14:15]
	s_nop 1
	v_div_fmas_f64 v[4:5], v[4:5], v[6:7], v[16:17]
	v_div_fixup_f64 v[2:3], v[4:5], v[2:3], 1.0
	v_fma_f64 v[4:5], v[8:9], v[12:13], v[10:11]
	v_mul_f64 v[6:7], v[4:5], v[2:3]
	v_fma_f64 v[4:5], -v[8:9], v[10:11], v[12:13]
	v_mul_f64 v[8:9], v[4:5], v[2:3]
.LBB223_146:                            ;   in Loop: Header=BB223_127 Depth=1
	s_add_i32 s11, s10, 4
	s_add_i32 s8, s10, 7
	s_addk_i32 s1, 0x500
	s_cmp_ge_i32 s8, s34
	ds_write_b128 v26, v[6:9]
	s_cbranch_scc1 .LBB223_148
; %bb.147:                              ;   in Loop: Header=BB223_127 Depth=1
	s_mov_b32 s10, s11
	s_branch .LBB223_127
.LBB223_148:
	s_cmp_ge_i32 s11, s34
	s_cbranch_scc1 .LBB223_163
; %bb.149:
	v_mov_b32_e32 v1, 0x1900
	s_add_i32 s1, s11, -1
	s_mul_i32 s10, s11, 0x140
	v_lshl_add_u32 v1, v0, 4, v1
	s_mov_b32 s14, 0
	s_mov_b32 s15, s11
	s_branch .LBB223_151
.LBB223_150:                            ;   in Loop: Header=BB223_151 Depth=1
	s_add_i32 s11, s11, 1
	s_add_i32 s14, s14, 1
	s_addk_i32 s10, 0x140
	v_add_u16_e64 v2, s15, 1
	s_cmp_ge_i32 s11, s34
	v_readfirstlane_b32 s15, v2
	ds_write_b128 v14, v[10:13]
	s_cbranch_scc1 .LBB223_163
.LBB223_151:                            ; =>This Loop Header: Depth=1
                                        ;     Child Loop BB223_154 Depth 2
                                        ;     Child Loop BB223_158 Depth 2
	s_mul_i32 s8, s11, 20
	v_add_lshl_u32 v6, s8, v0, 4
	ds_read_b128 v[2:5], v6 offset:6400
	s_cmp_eq_u32 s11, 0
	s_cbranch_scc1 .LBB223_159
; %bb.152:                              ;   in Loop: Header=BB223_151 Depth=1
	s_add_i32 s8, s1, s14
	s_cmp_lt_u32 s8, 7
	s_cbranch_scc1 .LBB223_156
; %bb.153:                              ;   in Loop: Header=BB223_151 Depth=1
	s_and_b32 s8, s11, -8
	s_mov_b32 s9, 0
	v_mov_b32_e32 v7, v1
	s_mov_b32 s16, s10
.LBB223_154:                            ;   Parent Loop BB223_151 Depth=1
                                        ; =>  This Inner Loop Header: Depth=2
	v_mov_b32_e32 v68, s16
	ds_read_b128 v[8:11], v7
	ds_read_b128 v[12:15], v7 offset:320
	ds_read_b128 v[16:19], v7 offset:640
	;; [unrolled: 1-line block ×7, first 2 shown]
	ds_read_b128 v[40:43], v68
	ds_read_b128 v[44:47], v68 offset:16
	ds_read_b128 v[48:51], v68 offset:32
	;; [unrolled: 1-line block ×7, first 2 shown]
	s_waitcnt lgkmcnt(7)
	v_mul_f64 v[72:73], v[42:43], v[10:11]
	v_mul_f64 v[10:11], v[40:41], v[10:11]
	s_waitcnt lgkmcnt(6)
	v_mul_f64 v[74:75], v[46:47], v[14:15]
	v_mul_f64 v[14:15], v[44:45], v[14:15]
	v_fma_f64 v[40:41], v[40:41], v[8:9], -v[72:73]
	v_fmac_f64_e32 v[10:11], v[42:43], v[8:9]
	s_waitcnt lgkmcnt(5)
	v_mul_f64 v[76:77], v[50:51], v[18:19]
	v_mul_f64 v[18:19], v[48:49], v[18:19]
	v_fma_f64 v[8:9], v[44:45], v[12:13], -v[74:75]
	v_fmac_f64_e32 v[14:15], v[46:47], v[12:13]
	v_add_f64 v[2:3], v[2:3], -v[40:41]
	v_add_f64 v[4:5], v[4:5], -v[10:11]
	s_waitcnt lgkmcnt(4)
	v_mul_f64 v[78:79], v[54:55], v[22:23]
	v_mul_f64 v[22:23], v[52:53], v[22:23]
	v_fma_f64 v[12:13], v[48:49], v[16:17], -v[76:77]
	v_fmac_f64_e32 v[18:19], v[50:51], v[16:17]
	v_add_f64 v[2:3], v[2:3], -v[8:9]
	v_add_f64 v[4:5], v[4:5], -v[14:15]
	;; [unrolled: 7-line block ×6, first 2 shown]
	s_add_i32 s9, s9, 8
	s_addk_i32 s16, 0x80
	v_fma_f64 v[32:33], v[68:69], v[36:37], -v[86:87]
	v_fmac_f64_e32 v[38:39], v[70:71], v[36:37]
	v_add_f64 v[2:3], v[2:3], -v[28:29]
	v_add_f64 v[4:5], v[4:5], -v[34:35]
	v_add_u32_e32 v7, 0xa00, v7
	s_cmp_eq_u32 s8, s9
	v_add_f64 v[2:3], v[2:3], -v[32:33]
	v_add_f64 v[4:5], v[4:5], -v[38:39]
	s_cbranch_scc0 .LBB223_154
; %bb.155:                              ;   in Loop: Header=BB223_151 Depth=1
	s_and_b32 s9, s11, 7
	s_cmp_eq_u32 s9, 0
	s_cbranch_scc0 .LBB223_157
	s_branch .LBB223_159
.LBB223_156:                            ;   in Loop: Header=BB223_151 Depth=1
	s_mov_b32 s8, 0
	s_and_b32 s9, s11, 7
	s_cmp_eq_u32 s9, 0
	s_cbranch_scc1 .LBB223_159
.LBB223_157:                            ;   in Loop: Header=BB223_151 Depth=1
	s_lshl_b32 s16, s8, 4
	s_mulk_i32 s8, 0x140
	s_and_b32 s9, s15, 7
	v_add_u32_e32 v7, s8, v1
.LBB223_158:                            ;   Parent Loop BB223_151 Depth=1
                                        ; =>  This Inner Loop Header: Depth=2
	s_add_i32 s8, s10, s16
	v_mov_b32_e32 v12, s8
	ds_read_b128 v[8:11], v7
	ds_read_b128 v[12:15], v12
	s_add_i32 s16, s16, 16
	s_add_i32 s9, s9, -1
	v_add_u32_e32 v7, 0x140, v7
	s_cmp_lg_u32 s9, 0
	s_waitcnt lgkmcnt(0)
	v_mul_f64 v[16:17], v[14:15], v[10:11]
	v_mul_f64 v[10:11], v[12:13], v[10:11]
	v_fma_f64 v[12:13], v[12:13], v[8:9], -v[16:17]
	v_fmac_f64_e32 v[10:11], v[14:15], v[8:9]
	v_add_f64 v[2:3], v[2:3], -v[12:13]
	v_add_f64 v[4:5], v[4:5], -v[10:11]
	s_cbranch_scc1 .LBB223_158
.LBB223_159:                            ;   in Loop: Header=BB223_151 Depth=1
	s_mul_i32 s8, s11, 0x150
	v_add_u32_e32 v14, 0x1900, v6
	v_mov_b32_e32 v6, s8
	ds_read_b128 v[6:9], v6
	s_waitcnt lgkmcnt(0)
	v_xor_b32_e32 v11, 0x80000000, v7
	v_cmp_gt_f64_e32 vcc, 0, v[6:7]
	v_xor_b32_e32 v12, 0x80000000, v9
	v_cndmask_b32_e32 v11, v7, v11, vcc
	v_cmp_gt_f64_e32 vcc, 0, v[8:9]
	v_mov_b32_e32 v10, v6
	v_cndmask_b32_e32 v13, v9, v12, vcc
	v_mov_b32_e32 v12, v8
	v_cmp_ngt_f64_e32 vcc, v[10:11], v[12:13]
	s_cbranch_vccz .LBB223_161
; %bb.160:                              ;   in Loop: Header=BB223_151 Depth=1
	v_div_scale_f64 v[10:11], s[8:9], v[8:9], v[8:9], v[6:7]
	v_rcp_f64_e32 v[12:13], v[10:11]
	v_div_scale_f64 v[16:17], vcc, v[6:7], v[8:9], v[6:7]
	v_fma_f64 v[18:19], -v[10:11], v[12:13], 1.0
	v_fmac_f64_e32 v[12:13], v[12:13], v[18:19]
	v_fma_f64 v[18:19], -v[10:11], v[12:13], 1.0
	v_fmac_f64_e32 v[12:13], v[12:13], v[18:19]
	v_mul_f64 v[18:19], v[16:17], v[12:13]
	v_fma_f64 v[10:11], -v[10:11], v[18:19], v[16:17]
	v_div_fmas_f64 v[10:11], v[10:11], v[12:13], v[18:19]
	v_div_fixup_f64 v[12:13], v[10:11], v[8:9], v[6:7]
	v_fma_f64 v[10:11], v[6:7], v[12:13], v[8:9]
	v_div_scale_f64 v[16:17], s[8:9], v[10:11], v[10:11], 1.0
	v_rcp_f64_e32 v[18:19], v[16:17]
	v_fma_f64 v[20:21], -v[16:17], v[18:19], 1.0
	v_fmac_f64_e32 v[18:19], v[18:19], v[20:21]
	v_fma_f64 v[20:21], -v[16:17], v[18:19], 1.0
	v_fmac_f64_e32 v[18:19], v[18:19], v[20:21]
	v_div_scale_f64 v[20:21], vcc, 1.0, v[10:11], 1.0
	v_mul_f64 v[22:23], v[20:21], v[18:19]
	v_fma_f64 v[16:17], -v[16:17], v[22:23], v[20:21]
	s_nop 1
	v_div_fmas_f64 v[16:17], v[16:17], v[18:19], v[22:23]
	v_div_fixup_f64 v[16:17], v[16:17], v[10:11], 1.0
	v_fma_f64 v[10:11], v[2:3], v[12:13], v[4:5]
	v_fma_f64 v[12:13], v[4:5], v[12:13], -v[2:3]
	v_mul_f64 v[10:11], v[10:11], v[16:17]
	v_mul_f64 v[12:13], v[12:13], v[16:17]
	s_cbranch_execnz .LBB223_150
	s_branch .LBB223_162
.LBB223_161:                            ;   in Loop: Header=BB223_151 Depth=1
                                        ; implicit-def: $vgpr10_vgpr11
.LBB223_162:                            ;   in Loop: Header=BB223_151 Depth=1
	v_div_scale_f64 v[10:11], s[8:9], v[6:7], v[6:7], v[8:9]
	v_rcp_f64_e32 v[12:13], v[10:11]
	v_div_scale_f64 v[16:17], vcc, v[8:9], v[6:7], v[8:9]
	v_fma_f64 v[18:19], -v[10:11], v[12:13], 1.0
	v_fmac_f64_e32 v[12:13], v[12:13], v[18:19]
	v_fma_f64 v[18:19], -v[10:11], v[12:13], 1.0
	v_fmac_f64_e32 v[12:13], v[12:13], v[18:19]
	v_mul_f64 v[18:19], v[16:17], v[12:13]
	v_fma_f64 v[10:11], -v[10:11], v[18:19], v[16:17]
	v_div_fmas_f64 v[10:11], v[10:11], v[12:13], v[18:19]
	v_div_fixup_f64 v[12:13], v[10:11], v[6:7], v[8:9]
	v_fmac_f64_e32 v[6:7], v[8:9], v[12:13]
	v_div_scale_f64 v[8:9], s[8:9], v[6:7], v[6:7], 1.0
	v_rcp_f64_e32 v[10:11], v[8:9]
	v_fma_f64 v[16:17], -v[8:9], v[10:11], 1.0
	v_fmac_f64_e32 v[10:11], v[10:11], v[16:17]
	v_fma_f64 v[16:17], -v[8:9], v[10:11], 1.0
	v_fmac_f64_e32 v[10:11], v[10:11], v[16:17]
	v_div_scale_f64 v[16:17], vcc, 1.0, v[6:7], 1.0
	v_mul_f64 v[18:19], v[16:17], v[10:11]
	v_fma_f64 v[8:9], -v[8:9], v[18:19], v[16:17]
	s_nop 1
	v_div_fmas_f64 v[8:9], v[8:9], v[10:11], v[18:19]
	v_div_fixup_f64 v[6:7], v[8:9], v[6:7], 1.0
	v_fma_f64 v[8:9], v[4:5], v[12:13], v[2:3]
	v_fma_f64 v[2:3], -v[2:3], v[12:13], v[4:5]
	v_mul_f64 v[10:11], v[8:9], v[6:7]
	v_mul_f64 v[12:13], v[2:3], v[6:7]
	s_branch .LBB223_150
.LBB223_163:
	s_and_saveexec_b64 s[8:9], s[6:7]
	s_cbranch_execz .LBB223_170
; %bb.164:
	s_ashr_i32 s1, s0, 31
	s_mov_b32 s14, 0
	s_cmp_lt_u32 s33, 4
	v_lshlrev_b32_e32 v1, 4, v0
	s_cbranch_scc1 .LBB223_167
; %bb.165:
	v_mov_b32_e32 v3, s25
	v_add_co_u32_e32 v2, vcc, s24, v1
	s_mul_hi_i32 s17, s0, 48
	s_lshl_b64 s[6:7], s[0:1], 6
	s_lshl_b64 s[8:9], s[0:1], 5
	;; [unrolled: 1-line block ×3, first 2 shown]
	v_mov_b32_e32 v4, 0x1900
	v_addc_co_u32_e32 v3, vcc, 0, v3, vcc
	s_and_b32 s14, s33, 0x7ffffffc
	s_mul_i32 s15, s0, 48
	v_lshl_add_u32 v4, v0, 4, v4
	s_mov_b32 s16, 0
	v_mov_b32_e32 v5, s11
	v_mov_b32_e32 v6, s9
	;; [unrolled: 1-line block ×4, first 2 shown]
.LBB223_166:                            ; =>This Inner Loop Header: Depth=1
	v_add_co_u32_e32 v26, vcc, s10, v2
	v_addc_co_u32_e32 v27, vcc, v3, v5, vcc
	ds_read2_b64 v[10:13], v4 offset1:1
	ds_read2_b64 v[14:17], v4 offset0:40 offset1:41
	ds_read2_b64 v[18:21], v4 offset0:80 offset1:81
	;; [unrolled: 1-line block ×3, first 2 shown]
	v_add_co_u32_e32 v28, vcc, s8, v2
	v_addc_co_u32_e32 v29, vcc, v3, v6, vcc
	v_add_co_u32_e32 v30, vcc, s15, v2
	v_addc_co_u32_e32 v31, vcc, v3, v7, vcc
	s_add_i32 s16, s16, 4
	s_waitcnt lgkmcnt(3)
	global_store_dwordx4 v[2:3], v[10:13], off
	s_waitcnt lgkmcnt(2)
	global_store_dwordx4 v[26:27], v[14:17], off
	;; [unrolled: 2-line block ×4, first 2 shown]
	v_add_co_u32_e32 v2, vcc, s6, v2
	v_add_u32_e32 v4, 0x500, v4
	s_cmp_lg_u32 s14, s16
	v_addc_co_u32_e32 v3, vcc, v3, v8, vcc
	s_cbranch_scc1 .LBB223_166
.LBB223_167:
	s_and_b32 s6, s33, 3
	s_cmp_eq_u32 s6, 0
	s_cbranch_scc1 .LBB223_170
; %bb.168:
	s_mul_hi_i32 s9, s0, s14
	s_mul_i32 s8, s0, s14
	s_lshl_b64 s[8:9], s[8:9], 4
	s_add_u32 s7, s12, s8
	s_addc_u32 s8, s13, s9
	s_add_u32 s7, s7, s23
	s_addc_u32 s8, s8, s22
	;; [unrolled: 2-line block ×4, first 2 shown]
	v_add_co_u32_e32 v2, vcc, s2, v1
	s_mul_i32 s2, s14, 0x140
	v_mov_b32_e32 v3, s3
	s_lshl_b64 s[0:1], s[0:1], 4
	v_lshl_add_u32 v0, v0, 4, s2
	v_addc_co_u32_e32 v3, vcc, 0, v3, vcc
	v_add_u32_e32 v0, 0x1900, v0
	v_mov_b32_e32 v1, s1
.LBB223_169:                            ; =>This Inner Loop Header: Depth=1
	ds_read2_b64 v[4:7], v0 offset1:1
	s_add_i32 s6, s6, -1
	v_add_u32_e32 v0, 0x140, v0
	s_cmp_lg_u32 s6, 0
	s_waitcnt lgkmcnt(0)
	global_store_dwordx4 v[2:3], v[4:7], off
	v_add_co_u32_e32 v2, vcc, s0, v2
	v_addc_co_u32_e32 v3, vcc, v3, v1, vcc
	s_cbranch_scc1 .LBB223_169
.LBB223_170:
	s_endpgm
	.section	.rodata,"a",@progbits
	.p2align	6, 0x0
	.amdhsa_kernel _ZL31rocblas_trsm_small_right_deviceI19rocblas_complex_numIdES1_PKS1_PS1_Li20EEv13rocblas_fill_18rocblas_operation_17rocblas_diagonal_iiT0_T1_lilT2_lili
		.amdhsa_group_segment_fixed_size 12800
		.amdhsa_private_segment_fixed_size 0
		.amdhsa_kernarg_size 368
		.amdhsa_user_sgpr_count 6
		.amdhsa_user_sgpr_private_segment_buffer 1
		.amdhsa_user_sgpr_dispatch_ptr 0
		.amdhsa_user_sgpr_queue_ptr 0
		.amdhsa_user_sgpr_kernarg_segment_ptr 1
		.amdhsa_user_sgpr_dispatch_id 0
		.amdhsa_user_sgpr_flat_scratch_init 0
		.amdhsa_user_sgpr_kernarg_preload_length 0
		.amdhsa_user_sgpr_kernarg_preload_offset 0
		.amdhsa_user_sgpr_private_segment_size 0
		.amdhsa_uses_dynamic_stack 0
		.amdhsa_system_sgpr_private_segment_wavefront_offset 0
		.amdhsa_system_sgpr_workgroup_id_x 1
		.amdhsa_system_sgpr_workgroup_id_y 0
		.amdhsa_system_sgpr_workgroup_id_z 1
		.amdhsa_system_sgpr_workgroup_info 0
		.amdhsa_system_vgpr_workitem_id 0
		.amdhsa_next_free_vgpr 88
		.amdhsa_next_free_sgpr 39
		.amdhsa_accum_offset 88
		.amdhsa_reserve_vcc 1
		.amdhsa_reserve_flat_scratch 0
		.amdhsa_float_round_mode_32 0
		.amdhsa_float_round_mode_16_64 0
		.amdhsa_float_denorm_mode_32 3
		.amdhsa_float_denorm_mode_16_64 3
		.amdhsa_dx10_clamp 1
		.amdhsa_ieee_mode 1
		.amdhsa_fp16_overflow 0
		.amdhsa_tg_split 0
		.amdhsa_exception_fp_ieee_invalid_op 0
		.amdhsa_exception_fp_denorm_src 0
		.amdhsa_exception_fp_ieee_div_zero 0
		.amdhsa_exception_fp_ieee_overflow 0
		.amdhsa_exception_fp_ieee_underflow 0
		.amdhsa_exception_fp_ieee_inexact 0
		.amdhsa_exception_int_div_zero 0
	.end_amdhsa_kernel
	.section	.text._ZL31rocblas_trsm_small_right_deviceI19rocblas_complex_numIdES1_PKS1_PS1_Li20EEv13rocblas_fill_18rocblas_operation_17rocblas_diagonal_iiT0_T1_lilT2_lili,"axG",@progbits,_ZL31rocblas_trsm_small_right_deviceI19rocblas_complex_numIdES1_PKS1_PS1_Li20EEv13rocblas_fill_18rocblas_operation_17rocblas_diagonal_iiT0_T1_lilT2_lili,comdat
.Lfunc_end223:
	.size	_ZL31rocblas_trsm_small_right_deviceI19rocblas_complex_numIdES1_PKS1_PS1_Li20EEv13rocblas_fill_18rocblas_operation_17rocblas_diagonal_iiT0_T1_lilT2_lili, .Lfunc_end223-_ZL31rocblas_trsm_small_right_deviceI19rocblas_complex_numIdES1_PKS1_PS1_Li20EEv13rocblas_fill_18rocblas_operation_17rocblas_diagonal_iiT0_T1_lilT2_lili
                                        ; -- End function
	.section	.AMDGPU.csdata,"",@progbits
; Kernel info:
; codeLenInByte = 17632
; NumSgprs: 43
; NumVgprs: 88
; NumAgprs: 0
; TotalNumVgprs: 88
; ScratchSize: 0
; MemoryBound: 0
; FloatMode: 240
; IeeeMode: 1
; LDSByteSize: 12800 bytes/workgroup (compile time only)
; SGPRBlocks: 5
; VGPRBlocks: 10
; NumSGPRsForWavesPerEU: 43
; NumVGPRsForWavesPerEU: 88
; AccumOffset: 88
; Occupancy: 2
; WaveLimiterHint : 0
; COMPUTE_PGM_RSRC2:SCRATCH_EN: 0
; COMPUTE_PGM_RSRC2:USER_SGPR: 6
; COMPUTE_PGM_RSRC2:TRAP_HANDLER: 0
; COMPUTE_PGM_RSRC2:TGID_X_EN: 1
; COMPUTE_PGM_RSRC2:TGID_Y_EN: 0
; COMPUTE_PGM_RSRC2:TGID_Z_EN: 1
; COMPUTE_PGM_RSRC2:TIDIG_COMP_CNT: 0
; COMPUTE_PGM_RSRC3_GFX90A:ACCUM_OFFSET: 21
; COMPUTE_PGM_RSRC3_GFX90A:TG_SPLIT: 0
	.section	.text._ZL38rocblas_trsm_small_left_device_sharedBILi24ELi24ELb0E19rocblas_complex_numIdES1_PKS1_PS1_Ev13rocblas_fill_18rocblas_operation_17rocblas_diagonal_iiT3_T4_lilT5_lili,"axG",@progbits,_ZL38rocblas_trsm_small_left_device_sharedBILi24ELi24ELb0E19rocblas_complex_numIdES1_PKS1_PS1_Ev13rocblas_fill_18rocblas_operation_17rocblas_diagonal_iiT3_T4_lilT5_lili,comdat
	.globl	_ZL38rocblas_trsm_small_left_device_sharedBILi24ELi24ELb0E19rocblas_complex_numIdES1_PKS1_PS1_Ev13rocblas_fill_18rocblas_operation_17rocblas_diagonal_iiT3_T4_lilT5_lili ; -- Begin function _ZL38rocblas_trsm_small_left_device_sharedBILi24ELi24ELb0E19rocblas_complex_numIdES1_PKS1_PS1_Ev13rocblas_fill_18rocblas_operation_17rocblas_diagonal_iiT3_T4_lilT5_lili
	.p2align	8
	.type	_ZL38rocblas_trsm_small_left_device_sharedBILi24ELi24ELb0E19rocblas_complex_numIdES1_PKS1_PS1_Ev13rocblas_fill_18rocblas_operation_17rocblas_diagonal_iiT3_T4_lilT5_lili,@function
_ZL38rocblas_trsm_small_left_device_sharedBILi24ELi24ELb0E19rocblas_complex_numIdES1_PKS1_PS1_Ev13rocblas_fill_18rocblas_operation_17rocblas_diagonal_iiT3_T4_lilT5_lili: ; @_ZL38rocblas_trsm_small_left_device_sharedBILi24ELi24ELb0E19rocblas_complex_numIdES1_PKS1_PS1_Ev13rocblas_fill_18rocblas_operation_17rocblas_diagonal_iiT3_T4_lilT5_lili
; %bb.0:
	s_add_u32 s0, s0, s10
	s_load_dwordx4 s[24:27], s[4:5], 0x4
	s_load_dwordx8 s[12:19], s[4:5], 0x18
	s_load_dwordx4 s[20:23], s[4:5], 0x40
	s_load_dwordx2 s[10:11], s[4:5], 0x50
	s_load_dword s39, s[4:5], 0x70
	s_addc_u32 s1, s1, 0
	s_waitcnt lgkmcnt(0)
	s_min_i32 s33, s26, 24
	s_mov_b32 s40, 0
	s_add_i32 s38, s33, -1
	v_cmp_gt_i32_e32 vcc, s33, v0
	s_and_saveexec_b64 s[28:29], vcc
	s_cbranch_execz .LBB224_15
; %bb.1:
	s_load_dword s30, s[4:5], 0x38
	s_mul_i32 s41, s21, s9
	s_mul_hi_u32 s42, s20, s9
	s_mul_i32 s20, s20, s9
	s_waitcnt lgkmcnt(0)
	s_ashr_i32 s31, s30, 31
	s_cmpk_eq_i32 s24, 0x71
	s_cselect_b64 vcc, -1, 0
	s_cmp_lt_u32 s38, 3
	s_cbranch_scc1 .LBB224_4
; %bb.2:
	s_add_i32 s21, s42, s41
	s_and_b32 s40, s33, -4
	s_lshl_b64 s[6:7], s[20:21], 4
	s_lshl_b64 s[34:35], s[18:19], 4
	s_add_u32 s6, s6, s34
	s_addc_u32 s7, s7, s35
	s_add_u32 s6, s16, s6
	v_lshlrev_b32_e32 v2, 4, v0
	s_addc_u32 s7, s17, s7
	v_mov_b32_e32 v3, s7
	v_add_co_u32_e64 v2, s[6:7], s6, v2
	v_addc_co_u32_e64 v3, s[6:7], 0, v3, s[6:7]
	v_add_co_u32_e64 v2, s[6:7], 8, v2
	s_lshl_b64 s[34:35], s[30:31], 6
	s_lshl_b64 s[36:37], s[30:31], 4
	v_lshlrev_b32_e32 v1, 4, v0
	v_addc_co_u32_e64 v3, s[6:7], 0, v3, s[6:7]
	s_mov_b32 s21, 0
	v_mov_b32_e32 v4, s37
	v_mov_b32_e32 v5, s35
.LBB224_3:                              ; =>This Inner Loop Header: Depth=1
	v_add_co_u32_e64 v18, s[6:7], s36, v2
	v_addc_co_u32_e64 v19, s[6:7], v3, v4, s[6:7]
	v_add_co_u32_e64 v20, s[6:7], s36, v18
	global_load_dwordx4 v[6:9], v[2:3], off offset:-8
	v_addc_co_u32_e64 v21, s[6:7], v19, v4, s[6:7]
	global_load_dwordx4 v[10:13], v[18:19], off offset:-8
	global_load_dwordx4 v[14:17], v[20:21], off offset:-8
	v_add_co_u32_e64 v18, s[6:7], s36, v20
	v_addc_co_u32_e64 v19, s[6:7], v21, v4, s[6:7]
	global_load_dwordx4 v[18:21], v[18:19], off offset:-8
	s_add_i32 s21, s21, 4
	v_add_co_u32_e64 v2, s[6:7], s34, v2
	s_cmp_eq_u32 s40, s21
	v_addc_co_u32_e64 v3, s[6:7], v3, v5, s[6:7]
	s_waitcnt vmcnt(3)
	v_xor_b32_e32 v22, 0x80000000, v9
	v_cndmask_b32_e32 v9, v9, v22, vcc
	ds_write_b128 v1, v[6:9]
	s_waitcnt vmcnt(1)
	v_xor_b32_e32 v6, 0x80000000, v17
	v_xor_b32_e32 v22, 0x80000000, v13
	v_cndmask_b32_e32 v17, v17, v6, vcc
	v_cndmask_b32_e32 v13, v13, v22, vcc
	ds_write_b128 v1, v[10:13] offset:384
	s_waitcnt vmcnt(0)
	v_xor_b32_e32 v6, 0x80000000, v21
	v_cndmask_b32_e32 v21, v21, v6, vcc
	ds_write_b128 v1, v[14:17] offset:768
	ds_write_b128 v1, v[18:21] offset:1152
	v_add_u32_e32 v1, 0x600, v1
	s_cbranch_scc0 .LBB224_3
.LBB224_4:
	s_and_b32 s34, s33, 3
	s_cmp_eq_u32 s34, 0
	s_cbranch_scc1 .LBB224_7
; %bb.5:
	s_mul_i32 s6, s40, 0x180
	s_add_i32 s21, s42, s41
	v_lshl_add_u32 v1, v0, 4, s6
	s_lshl_b64 s[6:7], s[20:21], 4
	s_mul_i32 s20, s31, s40
	s_mul_hi_u32 s21, s30, s40
	s_add_i32 s21, s21, s20
	s_mul_i32 s20, s30, s40
	s_lshl_b64 s[20:21], s[20:21], 4
	s_add_u32 s20, s6, s20
	s_addc_u32 s21, s7, s21
	s_lshl_b64 s[6:7], s[18:19], 4
	s_add_u32 s6, s20, s6
	s_addc_u32 s7, s21, s7
	s_add_u32 s6, s16, s6
	v_lshlrev_b32_e32 v2, 4, v0
	s_addc_u32 s7, s17, s7
	v_mov_b32_e32 v3, s7
	v_add_co_u32_e64 v2, s[6:7], s6, v2
	v_addc_co_u32_e64 v3, s[6:7], 0, v3, s[6:7]
	v_add_co_u32_e64 v2, s[6:7], 8, v2
	s_lshl_b64 s[16:17], s[30:31], 4
	v_addc_co_u32_e64 v3, s[6:7], 0, v3, s[6:7]
	v_mov_b32_e32 v4, s17
.LBB224_6:                              ; =>This Inner Loop Header: Depth=1
	global_load_dwordx4 v[6:9], v[2:3], off offset:-8
	v_add_co_u32_e64 v2, s[6:7], s16, v2
	s_add_i32 s34, s34, -1
	v_addc_co_u32_e64 v3, s[6:7], v3, v4, s[6:7]
	s_cmp_lg_u32 s34, 0
	s_waitcnt vmcnt(0)
	v_xor_b32_e32 v5, 0x80000000, v9
	v_cndmask_b32_e32 v9, v9, v5, vcc
	ds_write_b128 v1, v[6:9]
	v_add_u32_e32 v1, 0x180, v1
	s_cbranch_scc1 .LBB224_6
.LBB224_7:
	v_mul_u32_u24_e32 v1, 25, v0
	s_cmpk_lg_i32 s25, 0x84
	v_lshlrev_b32_e32 v1, 4, v1
	s_cbranch_scc0 .LBB224_13
; %bb.8:
	ds_read_b128 v[2:5], v1
	s_waitcnt lgkmcnt(0)
	v_xor_b32_e32 v7, 0x80000000, v3
	v_cmp_gt_f64_e32 vcc, 0, v[2:3]
	v_xor_b32_e32 v8, 0x80000000, v5
	v_cndmask_b32_e32 v7, v3, v7, vcc
	v_cmp_gt_f64_e32 vcc, 0, v[4:5]
	v_mov_b32_e32 v6, v2
	v_cndmask_b32_e32 v9, v5, v8, vcc
	v_mov_b32_e32 v8, v4
	v_cmp_ngt_f64_e32 vcc, v[6:7], v[8:9]
                                        ; implicit-def: $vgpr8_vgpr9
	s_and_saveexec_b64 s[6:7], vcc
	s_xor_b64 s[6:7], exec, s[6:7]
	s_cbranch_execz .LBB224_10
; %bb.9:
	v_div_scale_f64 v[6:7], s[16:17], v[4:5], v[4:5], v[2:3]
	v_rcp_f64_e32 v[8:9], v[6:7]
	v_div_scale_f64 v[10:11], vcc, v[2:3], v[4:5], v[2:3]
	v_fma_f64 v[12:13], -v[6:7], v[8:9], 1.0
	v_fmac_f64_e32 v[8:9], v[8:9], v[12:13]
	v_fma_f64 v[12:13], -v[6:7], v[8:9], 1.0
	v_fmac_f64_e32 v[8:9], v[8:9], v[12:13]
	v_mul_f64 v[12:13], v[10:11], v[8:9]
	v_fma_f64 v[6:7], -v[6:7], v[12:13], v[10:11]
	v_div_fmas_f64 v[6:7], v[6:7], v[8:9], v[12:13]
	v_div_fixup_f64 v[8:9], v[6:7], v[4:5], v[2:3]
	v_fmac_f64_e32 v[4:5], v[2:3], v[8:9]
	v_div_scale_f64 v[2:3], s[16:17], v[4:5], v[4:5], 1.0
	v_rcp_f64_e32 v[6:7], v[2:3]
	v_fma_f64 v[10:11], -v[2:3], v[6:7], 1.0
	v_fmac_f64_e32 v[6:7], v[6:7], v[10:11]
	v_fma_f64 v[10:11], -v[2:3], v[6:7], 1.0
	v_fmac_f64_e32 v[6:7], v[6:7], v[10:11]
	v_div_scale_f64 v[10:11], vcc, 1.0, v[4:5], 1.0
	v_mul_f64 v[12:13], v[10:11], v[6:7]
	v_fma_f64 v[2:3], -v[2:3], v[12:13], v[10:11]
	s_nop 1
	v_div_fmas_f64 v[2:3], v[2:3], v[6:7], v[12:13]
	v_div_fixup_f64 v[2:3], v[2:3], v[4:5], 1.0
	v_add_f64 v[4:5], v[8:9], 0
	v_mul_f64 v[6:7], v[4:5], v[2:3]
	v_fma_f64 v[4:5], v[8:9], 0, -1.0
	v_mul_f64 v[8:9], v[4:5], v[2:3]
                                        ; implicit-def: $vgpr2_vgpr3
.LBB224_10:
	s_andn2_saveexec_b64 s[6:7], s[6:7]
	s_cbranch_execz .LBB224_12
; %bb.11:
	v_div_scale_f64 v[6:7], s[16:17], v[2:3], v[2:3], v[4:5]
	v_rcp_f64_e32 v[8:9], v[6:7]
	v_div_scale_f64 v[10:11], vcc, v[4:5], v[2:3], v[4:5]
	v_fma_f64 v[12:13], -v[6:7], v[8:9], 1.0
	v_fmac_f64_e32 v[8:9], v[8:9], v[12:13]
	v_fma_f64 v[12:13], -v[6:7], v[8:9], 1.0
	v_fmac_f64_e32 v[8:9], v[8:9], v[12:13]
	v_mul_f64 v[12:13], v[10:11], v[8:9]
	v_fma_f64 v[6:7], -v[6:7], v[12:13], v[10:11]
	v_div_fmas_f64 v[6:7], v[6:7], v[8:9], v[12:13]
	v_div_fixup_f64 v[8:9], v[6:7], v[2:3], v[4:5]
	v_fmac_f64_e32 v[2:3], v[4:5], v[8:9]
	v_div_scale_f64 v[4:5], s[16:17], v[2:3], v[2:3], 1.0
	v_rcp_f64_e32 v[6:7], v[4:5]
	v_fma_f64 v[10:11], -v[4:5], v[6:7], 1.0
	v_fmac_f64_e32 v[6:7], v[6:7], v[10:11]
	v_fma_f64 v[10:11], -v[4:5], v[6:7], 1.0
	v_fmac_f64_e32 v[6:7], v[6:7], v[10:11]
	v_div_scale_f64 v[10:11], vcc, 1.0, v[2:3], 1.0
	v_mul_f64 v[12:13], v[10:11], v[6:7]
	v_fma_f64 v[4:5], -v[4:5], v[12:13], v[10:11]
	s_nop 1
	v_div_fmas_f64 v[4:5], v[4:5], v[6:7], v[12:13]
	v_div_fixup_f64 v[2:3], v[4:5], v[2:3], 1.0
	v_fma_f64 v[4:5], v[8:9], 0, 1.0
	v_mul_f64 v[6:7], v[4:5], v[2:3]
	v_add_f64 v[4:5], -v[8:9], 0
	v_mul_f64 v[8:9], v[4:5], v[2:3]
.LBB224_12:
	s_or_b64 exec, exec, s[6:7]
	s_branch .LBB224_14
.LBB224_13:
	v_mov_b32_e32 v6, 0
	v_mov_b32_e32 v7, 0x3ff00000
	v_pk_mov_b32 v[8:9], 0, 0
.LBB224_14:
	ds_write_b128 v1, v[6:9]
.LBB224_15:
	s_or_b64 exec, exec, s[28:29]
	s_load_dword s25, s[4:5], 0x58
	s_load_dwordx2 s[6:7], s[4:5], 0x60
	s_waitcnt lgkmcnt(0)
	s_ashr_i32 s28, s25, 31
	s_mul_i32 s5, s9, s7
	s_mul_hi_u32 s7, s9, s6
	s_mul_i32 s4, s9, s6
	s_add_i32 s5, s7, s5
	s_lshl_b64 s[4:5], s[4:5], 4
	s_add_u32 s9, s22, s4
	s_addc_u32 s16, s23, s5
	s_lshl_b64 s[6:7], s[10:11], 4
	s_add_u32 s17, s9, s6
	s_mul_i32 s9, s8, 0xffffffe8
	s_addc_u32 s16, s16, s7
	s_add_i32 s39, s39, -1
	s_add_i32 s9, s9, s27
	s_cmp_ge_u32 s8, s39
	s_mul_i32 s8, s8, 24
	s_mul_hi_i32 s11, s25, s8
	s_mul_i32 s10, s25, s8
	s_cselect_b32 s18, s9, 24
	s_ashr_i32 s9, s8, 31
	s_lshl_b64 s[10:11], s[10:11], 4
	s_add_u32 s27, s17, s10
	s_addc_u32 s29, s16, s11
	s_cmp_gt_i32 s26, 0
	v_cmp_gt_i32_e32 vcc, s18, v0
	s_cselect_b64 s[10:11], -1, 0
	s_mov_b32 s18, 0
	s_and_b64 s[10:11], vcc, s[10:11]
	s_and_saveexec_b64 s[16:17], s[10:11]
	s_cbranch_execz .LBB224_22
; %bb.16:
	s_cmp_lt_i32 s26, 8
	s_cbranch_scc1 .LBB224_19
; %bb.17:
	v_mad_i64_i32 v[2:3], s[18:19], s25, v0, 0
	v_lshlrev_b64 v[2:3], 4, v[2:3]
	v_mov_b32_e32 v4, s29
	v_add_co_u32_e32 v1, vcc, s27, v2
	v_addc_co_u32_e32 v2, vcc, v4, v3, vcc
	v_mov_b32_e32 v3, 0x2400
	s_lshl_b32 s18, s33, 4
	v_lshl_or_b32 v3, v0, 4, v3
	s_and_b32 s19, s18, 0x180
	s_mov_b32 s18, 0
	s_mov_b64 s[20:21], 0
.LBB224_18:                             ; =>This Inner Loop Header: Depth=1
	v_mov_b32_e32 v4, s21
	v_add_co_u32_e32 v36, vcc, s20, v1
	v_addc_co_u32_e32 v37, vcc, v2, v4, vcc
	global_load_dwordx4 v[4:7], v[36:37], off
	global_load_dwordx4 v[8:11], v[36:37], off offset:16
	global_load_dwordx4 v[12:15], v[36:37], off offset:32
	;; [unrolled: 1-line block ×7, first 2 shown]
	s_add_i32 s18, s18, 8
	s_add_u32 s20, s20, 0x80
	s_addc_u32 s21, s21, 0
	s_cmp_lg_u32 s19, s20
	s_waitcnt vmcnt(7)
	v_mul_f64 v[38:39], s[14:15], v[6:7]
	v_mul_f64 v[36:37], s[12:13], v[6:7]
	s_waitcnt vmcnt(6)
	v_mul_f64 v[40:41], s[14:15], v[10:11]
	v_mul_f64 v[6:7], s[12:13], v[10:11]
	;; [unrolled: 3-line block ×8, first 2 shown]
	v_fma_f64 v[34:35], s[12:13], v[4:5], -v[38:39]
	v_fmac_f64_e32 v[36:37], s[14:15], v[4:5]
	v_fma_f64 v[4:5], s[12:13], v[8:9], -v[40:41]
	v_fmac_f64_e32 v[6:7], s[14:15], v[8:9]
	;; [unrolled: 2-line block ×8, first 2 shown]
	ds_write_b128 v3, v[34:37]
	ds_write_b128 v3, v[4:7] offset:384
	ds_write_b128 v3, v[8:11] offset:768
	;; [unrolled: 1-line block ×7, first 2 shown]
	v_add_u32_e32 v3, 0xc00, v3
	s_cbranch_scc1 .LBB224_18
.LBB224_19:
	s_and_b32 s20, s33, 7
	s_cmp_eq_u32 s20, 0
	s_mov_b32 s19, 0
	s_cbranch_scc1 .LBB224_22
; %bb.20:
	s_mul_i32 s21, s18, 0x180
	s_lshl_b64 s[30:31], s[8:9], 4
	s_lshl_b64 s[18:19], s[18:19], 4
	s_add_u32 s18, s22, s18
	s_addc_u32 s19, s23, s19
	s_add_u32 s18, s18, s6
	s_addc_u32 s19, s19, s7
	v_lshlrev_b32_e32 v2, 4, v0
	s_add_u32 s18, s18, s4
	v_mov_b32_e32 v3, s31
	v_add_co_u32_e32 v4, vcc, s30, v2
	s_addc_u32 s19, s19, s5
	v_addc_co_u32_e32 v5, vcc, 0, v3, vcc
	v_pk_mov_b32 v[2:3], s[18:19], s[18:19] op_sel:[0,1]
	v_mad_u64_u32 v[2:3], s[18:19], v4, s25, v[2:3]
	v_mul_lo_u32 v4, v4, s28
	v_mul_lo_u32 v5, v5, s25
	v_lshl_add_u32 v1, v0, 4, s21
	v_add3_u32 v3, v5, v3, v4
	v_add_co_u32_e32 v2, vcc, 8, v2
	v_add_u32_e32 v1, 0x2400, v1
	v_addc_co_u32_e32 v3, vcc, 0, v3, vcc
.LBB224_21:                             ; =>This Inner Loop Header: Depth=1
	global_load_dwordx4 v[4:7], v[2:3], off offset:-8
	v_add_co_u32_e32 v2, vcc, 16, v2
	s_add_i32 s20, s20, -1
	v_addc_co_u32_e32 v3, vcc, 0, v3, vcc
	s_cmp_lg_u32 s20, 0
	s_waitcnt vmcnt(0)
	v_mul_f64 v[10:11], s[14:15], v[6:7]
	v_mul_f64 v[8:9], s[12:13], v[6:7]
	v_fma_f64 v[6:7], s[12:13], v[4:5], -v[10:11]
	v_fmac_f64_e32 v[8:9], s[14:15], v[4:5]
	ds_write_b128 v1, v[6:9]
	v_add_u32_e32 v1, 0x180, v1
	s_cbranch_scc1 .LBB224_21
.LBB224_22:
	s_or_b64 exec, exec, s[16:17]
	s_cmpk_eq_i32 s24, 0x6f
	s_mov_b64 s[12:13], -1
	s_waitcnt lgkmcnt(0)
	; wave barrier
	s_waitcnt lgkmcnt(0)
	s_cbranch_scc1 .LBB224_44
; %bb.23:
	v_mov_b32_e32 v1, 0x2400
	s_mov_b32 s13, 0
	v_lshl_or_b32 v1, v0, 4, v1
	v_mov_b32_e32 v6, 0
	s_mov_b32 s12, s13
	s_mov_b32 s16, s13
	s_branch .LBB224_25
.LBB224_24:                             ;   in Loop: Header=BB224_25 Depth=1
	s_cmp_ge_i32 s16, s33
	s_cselect_b64 s[14:15], -1, 0
	s_add_i32 s12, s12, 1
	s_cmp_eq_u32 s12, 3
	s_cselect_b64 s[18:19], -1, 0
	s_or_b64 s[14:15], s[14:15], s[18:19]
	s_andn2_b64 vcc, exec, s[14:15]
	s_cbranch_vccz .LBB224_43
.LBB224_25:                             ; =>This Loop Header: Depth=1
                                        ;     Child Loop BB224_28 Depth 2
                                        ;       Child Loop BB224_29 Depth 3
                                        ;       Child Loop BB224_32 Depth 3
                                        ;         Child Loop BB224_33 Depth 4
                                        ;       Child Loop BB224_37 Depth 3
                                        ;         Child Loop BB224_39 Depth 4
	s_lshl_b64 s[14:15], s[12:13], 2
	s_getpc_b64 s[18:19]
	s_add_u32 s18, s18, __const._ZL38rocblas_trsm_small_left_device_sharedBILi24ELi24ELb0E19rocblas_complex_numIdES1_PKS1_PS1_Ev13rocblas_fill_18rocblas_operation_17rocblas_diagonal_iiT3_T4_lilT5_lili.step_sizes@rel32@lo+4
	s_addc_u32 s19, s19, __const._ZL38rocblas_trsm_small_left_device_sharedBILi24ELi24ELb0E19rocblas_complex_numIdES1_PKS1_PS1_Ev13rocblas_fill_18rocblas_operation_17rocblas_diagonal_iiT3_T4_lilT5_lili.step_sizes@rel32@hi+12
	s_add_u32 s14, s14, s18
	s_addc_u32 s15, s15, s19
	s_load_dword s17, s[14:15], 0x0
	s_waitcnt lgkmcnt(0)
	s_add_i32 s18, s17, -1
	s_add_i32 s14, s18, s16
	s_cmp_ge_i32 s14, s33
	s_cbranch_scc1 .LBB224_24
; %bb.26:                               ;   in Loop: Header=BB224_25 Depth=1
	s_mul_i32 s20, s16, 0x180
	s_max_i32 s19, s17, 1
	v_add_u32_e32 v7, s20, v1
	s_mul_i32 s21, s17, 0x180
	s_mul_i32 s24, s16, 0x190
	;; [unrolled: 1-line block ×3, first 2 shown]
	s_branch .LBB224_28
.LBB224_27:                             ;   in Loop: Header=BB224_28 Depth=2
	s_add_i32 s16, s16, s17
	s_add_i32 s14, s18, s16
	;; [unrolled: 1-line block ×4, first 2 shown]
	s_cmp_ge_i32 s14, s33
	v_add_u32_e32 v7, s21, v7
	s_cbranch_scc1 .LBB224_24
.LBB224_28:                             ;   Parent Loop BB224_25 Depth=1
                                        ; =>  This Loop Header: Depth=2
                                        ;       Child Loop BB224_29 Depth 3
                                        ;       Child Loop BB224_32 Depth 3
                                        ;         Child Loop BB224_33 Depth 4
                                        ;       Child Loop BB224_37 Depth 3
                                        ;         Child Loop BB224_39 Depth 4
	v_mov_b32_e32 v2, 0
	v_mov_b32_e32 v3, v7
	s_mov_b32 s14, s19
.LBB224_29:                             ;   Parent Loop BB224_25 Depth=1
                                        ;     Parent Loop BB224_28 Depth=2
                                        ; =>    This Inner Loop Header: Depth=3
	ds_read_b128 v[8:11], v3
	s_add_i32 s14, s14, -1
	v_add_u32_e32 v3, 0x180, v3
	s_cmp_eq_u32 s14, 0
	s_waitcnt lgkmcnt(0)
	buffer_store_dword v11, v2, s[0:3], 0 offen offset:12
	buffer_store_dword v10, v2, s[0:3], 0 offen offset:8
	;; [unrolled: 1-line block ×3, first 2 shown]
	buffer_store_dword v8, v2, s[0:3], 0 offen
	v_add_u32_e32 v2, 16, v2
	s_cbranch_scc0 .LBB224_29
; %bb.30:                               ;   in Loop: Header=BB224_28 Depth=2
	s_cmp_lt_i32 s16, 1
	s_cbranch_scc1 .LBB224_35
; %bb.31:                               ;   in Loop: Header=BB224_28 Depth=2
	s_mov_b32 s14, 0
	s_mov_b32 s15, s20
.LBB224_32:                             ;   Parent Loop BB224_25 Depth=1
                                        ;     Parent Loop BB224_28 Depth=2
                                        ; =>    This Loop Header: Depth=3
                                        ;         Child Loop BB224_33 Depth 4
	s_mul_i32 s31, s14, 24
	v_add_lshl_u32 v2, s31, v0, 4
	ds_read_b128 v[2:5], v2 offset:9216
	v_mov_b32_e32 v8, 0
	s_mov_b32 s31, s15
	s_mov_b32 s34, s19
.LBB224_33:                             ;   Parent Loop BB224_25 Depth=1
                                        ;     Parent Loop BB224_28 Depth=2
                                        ;       Parent Loop BB224_32 Depth=3
                                        ; =>      This Inner Loop Header: Depth=4
	buffer_load_dword v14, v8, s[0:3], 0 offen
	buffer_load_dword v15, v8, s[0:3], 0 offen offset:4
	buffer_load_dword v16, v8, s[0:3], 0 offen offset:8
	;; [unrolled: 1-line block ×3, first 2 shown]
	v_mov_b32_e32 v9, s31
	ds_read_b128 v[10:13], v9
	s_add_i32 s34, s34, -1
	s_addk_i32 s31, 0x180
	s_cmp_eq_u32 s34, 0
	s_waitcnt lgkmcnt(0)
	v_mul_f64 v[18:19], v[4:5], v[12:13]
	v_mul_f64 v[12:13], v[2:3], v[12:13]
	v_fma_f64 v[18:19], v[2:3], v[10:11], -v[18:19]
	v_fmac_f64_e32 v[12:13], v[4:5], v[10:11]
	s_waitcnt vmcnt(2)
	v_add_f64 v[10:11], v[14:15], -v[18:19]
	s_waitcnt vmcnt(0)
	v_add_f64 v[12:13], v[16:17], -v[12:13]
	buffer_store_dword v10, v8, s[0:3], 0 offen
	buffer_store_dword v11, v8, s[0:3], 0 offen offset:4
	buffer_store_dword v12, v8, s[0:3], 0 offen offset:8
	;; [unrolled: 1-line block ×3, first 2 shown]
	v_add_u32_e32 v8, 16, v8
	s_cbranch_scc0 .LBB224_33
; %bb.34:                               ;   in Loop: Header=BB224_32 Depth=3
	s_add_i32 s14, s14, 1
	s_add_i32 s15, s15, 16
	s_cmp_ge_i32 s14, s16
	s_cbranch_scc0 .LBB224_32
.LBB224_35:                             ;   in Loop: Header=BB224_28 Depth=2
	s_mul_i32 s31, s16, 24
	s_mov_b32 s34, 0
	s_mov_b32 s35, s24
	s_branch .LBB224_37
.LBB224_36:                             ;   in Loop: Header=BB224_37 Depth=3
	s_mul_i32 s14, s37, 0x190
	v_mov_b32_e32 v8, s14
	ds_read_b128 v[8:11], v8
	s_lshl_b32 s14, s34, 4
	s_add_i32 s34, s34, 1
	s_addk_i32 s35, 0x180
	v_add_u32_e32 v16, s14, v6
	s_waitcnt vmcnt(0) lgkmcnt(0)
	v_mul_f64 v[12:13], v[10:11], v[4:5]
	v_mul_f64 v[14:15], v[8:9], v[4:5]
	v_fma_f64 v[12:13], v[8:9], v[2:3], -v[12:13]
	v_fmac_f64_e32 v[14:15], v[10:11], v[2:3]
	v_add_lshl_u32 v2, s36, v0, 4
	s_cmp_eq_u32 s34, s19
	buffer_store_dword v13, v16, s[0:3], 0 offen offset:4
	buffer_store_dword v12, v16, s[0:3], 0 offen
	buffer_store_dword v15, v16, s[0:3], 0 offen offset:12
	buffer_store_dword v14, v16, s[0:3], 0 offen offset:8
	ds_write_b128 v2, v[12:15] offset:9216
	s_cbranch_scc1 .LBB224_27
.LBB224_37:                             ;   Parent Loop BB224_25 Depth=1
                                        ;     Parent Loop BB224_28 Depth=2
                                        ; =>    This Loop Header: Depth=3
                                        ;         Child Loop BB224_39 Depth 4
	s_cmp_lg_u32 s34, 0
	s_cbranch_scc0 .LBB224_41
; %bb.38:                               ;   in Loop: Header=BB224_37 Depth=3
	s_lshl_b32 s14, s34, 4
	v_add_u32_e32 v8, s14, v6
	buffer_load_dword v2, v8, s[0:3], 0 offen
	buffer_load_dword v3, v8, s[0:3], 0 offen offset:4
	buffer_load_dword v4, v8, s[0:3], 0 offen offset:8
	;; [unrolled: 1-line block ×3, first 2 shown]
	s_add_i32 s37, s34, s16
	s_mul_i32 s36, s37, 24
	v_mov_b32_e32 v9, 0
	s_mov_b32 s14, 0
	s_mov_b32 s15, s35
.LBB224_39:                             ;   Parent Loop BB224_25 Depth=1
                                        ;     Parent Loop BB224_28 Depth=2
                                        ;       Parent Loop BB224_37 Depth=3
                                        ; =>      This Inner Loop Header: Depth=4
	buffer_load_dword v14, v9, s[0:3], 0 offen offset:8
	buffer_load_dword v15, v9, s[0:3], 0 offen offset:12
	buffer_load_dword v16, v9, s[0:3], 0 offen
	buffer_load_dword v17, v9, s[0:3], 0 offen offset:4
	v_mov_b32_e32 v10, s15
	ds_read_b128 v[10:13], v10
	s_add_i32 s14, s14, 1
	s_add_i32 s15, s15, 16
	v_add_u32_e32 v9, 16, v9
	s_cmp_ge_u32 s14, s34
	s_waitcnt vmcnt(2) lgkmcnt(0)
	v_mul_f64 v[18:19], v[12:13], v[14:15]
	v_mul_f64 v[14:15], v[10:11], v[14:15]
	s_waitcnt vmcnt(0)
	v_fma_f64 v[10:11], v[10:11], v[16:17], -v[18:19]
	v_fmac_f64_e32 v[14:15], v[12:13], v[16:17]
	v_add_f64 v[2:3], v[2:3], -v[10:11]
	v_add_f64 v[4:5], v[4:5], -v[14:15]
	buffer_store_dword v2, v8, s[0:3], 0 offen
	buffer_store_dword v3, v8, s[0:3], 0 offen offset:4
	buffer_store_dword v4, v8, s[0:3], 0 offen offset:8
	;; [unrolled: 1-line block ×3, first 2 shown]
	s_cbranch_scc0 .LBB224_39
; %bb.40:                               ;   in Loop: Header=BB224_37 Depth=3
	s_branch .LBB224_36
.LBB224_41:                             ;   in Loop: Header=BB224_37 Depth=3
                                        ; implicit-def: $vgpr2_vgpr3
                                        ; implicit-def: $vgpr4_vgpr5
                                        ; implicit-def: $sgpr37
                                        ; implicit-def: $sgpr36
	s_cbranch_execz .LBB224_36
; %bb.42:                               ;   in Loop: Header=BB224_37 Depth=3
	buffer_load_dword v2, off, s[0:3], 0
	buffer_load_dword v3, off, s[0:3], 0 offset:4
	buffer_load_dword v4, off, s[0:3], 0 offset:8
	;; [unrolled: 1-line block ×3, first 2 shown]
	s_mov_b32 s36, s31
	s_mov_b32 s37, s16
	s_branch .LBB224_36
.LBB224_43:
	s_mov_b64 s[12:13], 0
.LBB224_44:
	s_and_b64 vcc, exec, s[12:13]
	s_cbranch_vccz .LBB224_64
; %bb.45:
	v_mov_b32_e32 v1, 0x2400
	s_mul_i32 s16, s33, 0x180
	s_mov_b32 s13, 0
	v_lshl_or_b32 v1, v0, 4, v1
	s_addk_i32 s16, 0xfe80
	v_mov_b32_e32 v6, 0
	s_mov_b32 s12, s13
	s_mov_b32 s17, s38
	s_branch .LBB224_47
.LBB224_46:                             ;   in Loop: Header=BB224_47 Depth=1
	s_cmp_lt_i32 s17, 0
	s_cselect_b64 s[14:15], -1, 0
	s_add_i32 s12, s12, 1
	s_cmp_eq_u32 s12, 3
	s_cselect_b64 s[18:19], -1, 0
	s_or_b64 s[14:15], s[14:15], s[18:19]
	s_and_b64 vcc, exec, s[14:15]
	s_cbranch_vccnz .LBB224_64
.LBB224_47:                             ; =>This Loop Header: Depth=1
                                        ;     Child Loop BB224_50 Depth 2
                                        ;       Child Loop BB224_51 Depth 3
                                        ;       Child Loop BB224_53 Depth 3
                                        ;         Child Loop BB224_54 Depth 4
                                        ;       Child Loop BB224_58 Depth 3
                                        ;         Child Loop BB224_60 Depth 4
	s_lshl_b64 s[14:15], s[12:13], 2
	s_getpc_b64 s[18:19]
	s_add_u32 s18, s18, __const._ZL38rocblas_trsm_small_left_device_sharedBILi24ELi24ELb0E19rocblas_complex_numIdES1_PKS1_PS1_Ev13rocblas_fill_18rocblas_operation_17rocblas_diagonal_iiT3_T4_lilT5_lili.step_sizes@rel32@lo+4
	s_addc_u32 s19, s19, __const._ZL38rocblas_trsm_small_left_device_sharedBILi24ELi24ELb0E19rocblas_complex_numIdES1_PKS1_PS1_Ev13rocblas_fill_18rocblas_operation_17rocblas_diagonal_iiT3_T4_lilT5_lili.step_sizes@rel32@hi+12
	s_add_u32 s14, s14, s18
	s_addc_u32 s15, s15, s19
	s_load_dword s18, s[14:15], 0x0
	s_waitcnt lgkmcnt(0)
	s_add_i32 s19, s18, -1
	s_cmp_lt_i32 s17, s19
	s_cbranch_scc1 .LBB224_46
; %bb.48:                               ;   in Loop: Header=BB224_47 Depth=1
	s_mul_i32 s14, s17, 0x180
	v_add_u32_e32 v7, s14, v1
	s_lshl_b32 s14, s17, 4
	s_add_i32 s24, s16, s14
	s_lshl_b32 s14, s18, 4
	s_max_i32 s20, s18, 1
	s_mul_i32 s21, s18, 0xfffffe80
	s_sub_i32 s30, 0, s14
	s_mul_i32 s31, s17, 0x190
	s_mul_i32 s34, s18, 0xfffffe70
	s_branch .LBB224_50
.LBB224_49:                             ;   in Loop: Header=BB224_50 Depth=2
	s_sub_i32 s17, s17, s18
	s_add_i32 s24, s24, s30
	s_add_i32 s31, s31, s34
	s_cmp_lt_i32 s17, s19
	v_add_u32_e32 v7, s21, v7
	s_cbranch_scc1 .LBB224_46
.LBB224_50:                             ;   Parent Loop BB224_47 Depth=1
                                        ; =>  This Loop Header: Depth=2
                                        ;       Child Loop BB224_51 Depth 3
                                        ;       Child Loop BB224_53 Depth 3
                                        ;         Child Loop BB224_54 Depth 4
                                        ;       Child Loop BB224_58 Depth 3
                                        ;         Child Loop BB224_60 Depth 4
	v_mov_b32_e32 v2, 0
	v_mov_b32_e32 v3, v7
	s_mov_b32 s14, s20
.LBB224_51:                             ;   Parent Loop BB224_47 Depth=1
                                        ;     Parent Loop BB224_50 Depth=2
                                        ; =>    This Inner Loop Header: Depth=3
	ds_read_b128 v[8:11], v3
	s_add_i32 s14, s14, -1
	v_add_u32_e32 v3, 0xfffffe80, v3
	s_cmp_eq_u32 s14, 0
	s_waitcnt lgkmcnt(0)
	buffer_store_dword v11, v2, s[0:3], 0 offen offset:12
	buffer_store_dword v10, v2, s[0:3], 0 offen offset:8
	;; [unrolled: 1-line block ×3, first 2 shown]
	buffer_store_dword v8, v2, s[0:3], 0 offen
	v_add_u32_e32 v2, 16, v2
	s_cbranch_scc0 .LBB224_51
; %bb.52:                               ;   in Loop: Header=BB224_50 Depth=2
	s_cmp_le_i32 s38, s17
	s_mov_b32 s14, s24
	s_mov_b32 s15, s38
	s_cbranch_scc1 .LBB224_56
.LBB224_53:                             ;   Parent Loop BB224_47 Depth=1
                                        ;     Parent Loop BB224_50 Depth=2
                                        ; =>    This Loop Header: Depth=3
                                        ;         Child Loop BB224_54 Depth 4
	s_mul_i32 s35, s15, 24
	v_add_lshl_u32 v2, s35, v0, 4
	ds_read_b128 v[2:5], v2 offset:9216
	v_mov_b32_e32 v8, 0
	s_mov_b32 s35, s20
	s_mov_b32 s36, s14
.LBB224_54:                             ;   Parent Loop BB224_47 Depth=1
                                        ;     Parent Loop BB224_50 Depth=2
                                        ;       Parent Loop BB224_53 Depth=3
                                        ; =>      This Inner Loop Header: Depth=4
	buffer_load_dword v14, v8, s[0:3], 0 offen
	buffer_load_dword v15, v8, s[0:3], 0 offen offset:4
	buffer_load_dword v16, v8, s[0:3], 0 offen offset:8
	;; [unrolled: 1-line block ×3, first 2 shown]
	v_mov_b32_e32 v9, s36
	ds_read_b128 v[10:13], v9
	s_add_i32 s36, s36, -16
	s_add_i32 s35, s35, -1
	s_cmp_eq_u32 s35, 0
	s_waitcnt lgkmcnt(0)
	v_mul_f64 v[18:19], v[4:5], v[12:13]
	v_mul_f64 v[12:13], v[2:3], v[12:13]
	v_fma_f64 v[18:19], v[2:3], v[10:11], -v[18:19]
	v_fmac_f64_e32 v[12:13], v[4:5], v[10:11]
	s_waitcnt vmcnt(2)
	v_add_f64 v[10:11], v[14:15], -v[18:19]
	s_waitcnt vmcnt(0)
	v_add_f64 v[12:13], v[16:17], -v[12:13]
	buffer_store_dword v10, v8, s[0:3], 0 offen
	buffer_store_dword v11, v8, s[0:3], 0 offen offset:4
	buffer_store_dword v12, v8, s[0:3], 0 offen offset:8
	;; [unrolled: 1-line block ×3, first 2 shown]
	v_add_u32_e32 v8, 16, v8
	s_cbranch_scc0 .LBB224_54
; %bb.55:                               ;   in Loop: Header=BB224_53 Depth=3
	s_add_i32 s15, s15, -1
	s_addk_i32 s14, 0xfe80
	s_cmp_le_i32 s15, s17
	s_cbranch_scc0 .LBB224_53
.LBB224_56:                             ;   in Loop: Header=BB224_50 Depth=2
	s_mov_b32 s35, 0
	s_mov_b32 s36, s31
	s_branch .LBB224_58
.LBB224_57:                             ;   in Loop: Header=BB224_58 Depth=3
	s_mul_i32 s14, s37, 0x190
	v_mov_b32_e32 v8, s14
	ds_read_b128 v[8:11], v8
	s_mul_i32 s14, s37, 24
	s_lshl_b32 s15, s35, 4
	s_add_i32 s35, s35, 1
	s_add_i32 s36, s36, -16
	s_waitcnt vmcnt(0) lgkmcnt(0)
	v_mul_f64 v[12:13], v[10:11], v[4:5]
	v_mul_f64 v[14:15], v[8:9], v[4:5]
	v_add_u32_e32 v16, s15, v6
	v_fma_f64 v[12:13], v[8:9], v[2:3], -v[12:13]
	v_fmac_f64_e32 v[14:15], v[10:11], v[2:3]
	v_add_lshl_u32 v2, s14, v0, 4
	s_cmp_eq_u32 s35, s20
	buffer_store_dword v13, v16, s[0:3], 0 offen offset:4
	buffer_store_dword v12, v16, s[0:3], 0 offen
	buffer_store_dword v15, v16, s[0:3], 0 offen offset:12
	buffer_store_dword v14, v16, s[0:3], 0 offen offset:8
	ds_write_b128 v2, v[12:15] offset:9216
	s_cbranch_scc1 .LBB224_49
.LBB224_58:                             ;   Parent Loop BB224_47 Depth=1
                                        ;     Parent Loop BB224_50 Depth=2
                                        ; =>    This Loop Header: Depth=3
                                        ;         Child Loop BB224_60 Depth 4
	s_cmp_lg_u32 s35, 0
	s_cbranch_scc0 .LBB224_62
; %bb.59:                               ;   in Loop: Header=BB224_58 Depth=3
	s_lshl_b32 s14, s35, 4
	v_add_u32_e32 v8, s14, v6
	buffer_load_dword v2, v8, s[0:3], 0 offen
	buffer_load_dword v3, v8, s[0:3], 0 offen offset:4
	buffer_load_dword v4, v8, s[0:3], 0 offen offset:8
	;; [unrolled: 1-line block ×3, first 2 shown]
	s_sub_i32 s37, s17, s35
	v_mov_b32_e32 v9, 0
	s_mov_b32 s14, 0
	s_mov_b32 s15, s36
.LBB224_60:                             ;   Parent Loop BB224_47 Depth=1
                                        ;     Parent Loop BB224_50 Depth=2
                                        ;       Parent Loop BB224_58 Depth=3
                                        ; =>      This Inner Loop Header: Depth=4
	buffer_load_dword v14, v9, s[0:3], 0 offen offset:8
	buffer_load_dword v15, v9, s[0:3], 0 offen offset:12
	buffer_load_dword v16, v9, s[0:3], 0 offen
	buffer_load_dword v17, v9, s[0:3], 0 offen offset:4
	v_mov_b32_e32 v10, s15
	ds_read_b128 v[10:13], v10
	s_add_i32 s14, s14, 1
	s_addk_i32 s15, 0xfe80
	v_add_u32_e32 v9, 16, v9
	s_cmp_ge_u32 s14, s35
	s_waitcnt vmcnt(2) lgkmcnt(0)
	v_mul_f64 v[18:19], v[12:13], v[14:15]
	v_mul_f64 v[14:15], v[10:11], v[14:15]
	s_waitcnt vmcnt(0)
	v_fma_f64 v[10:11], v[10:11], v[16:17], -v[18:19]
	v_fmac_f64_e32 v[14:15], v[12:13], v[16:17]
	v_add_f64 v[2:3], v[2:3], -v[10:11]
	v_add_f64 v[4:5], v[4:5], -v[14:15]
	buffer_store_dword v2, v8, s[0:3], 0 offen
	buffer_store_dword v3, v8, s[0:3], 0 offen offset:4
	buffer_store_dword v4, v8, s[0:3], 0 offen offset:8
	;; [unrolled: 1-line block ×3, first 2 shown]
	s_cbranch_scc0 .LBB224_60
; %bb.61:                               ;   in Loop: Header=BB224_58 Depth=3
	s_branch .LBB224_57
.LBB224_62:                             ;   in Loop: Header=BB224_58 Depth=3
                                        ; implicit-def: $vgpr2_vgpr3
                                        ; implicit-def: $vgpr4_vgpr5
                                        ; implicit-def: $sgpr37
	s_cbranch_execz .LBB224_57
; %bb.63:                               ;   in Loop: Header=BB224_58 Depth=3
	buffer_load_dword v2, off, s[0:3], 0
	buffer_load_dword v3, off, s[0:3], 0 offset:4
	buffer_load_dword v4, off, s[0:3], 0 offset:8
	;; [unrolled: 1-line block ×3, first 2 shown]
	s_mov_b32 s37, s17
	s_branch .LBB224_57
.LBB224_64:
	s_waitcnt lgkmcnt(0)
	; wave barrier
	s_waitcnt lgkmcnt(0)
	s_and_saveexec_b64 s[12:13], s[10:11]
	s_cbranch_execz .LBB224_71
; %bb.65:
	s_cmp_lt_i32 s26, 8
	s_mov_b32 s10, 0
	s_cbranch_scc1 .LBB224_68
; %bb.66:
	v_mad_i64_i32 v[2:3], s[10:11], s25, v0, 0
	v_lshlrev_b64 v[2:3], 4, v[2:3]
	v_mov_b32_e32 v4, s29
	v_add_co_u32_e32 v1, vcc, s27, v2
	v_addc_co_u32_e32 v2, vcc, v4, v3, vcc
	v_mov_b32_e32 v3, 0x2400
	s_lshl_b32 s10, s33, 4
	v_lshl_or_b32 v3, v0, 4, v3
	s_and_b32 s11, s10, 0x180
	s_mov_b32 s10, 0
	s_mov_b64 s[12:13], 0
.LBB224_67:                             ; =>This Inner Loop Header: Depth=1
	v_mov_b32_e32 v28, s13
	v_add_u32_e32 v29, 0x900, v3
	v_add_u32_e32 v32, 0xa80, v3
	v_add_co_u32_e32 v36, vcc, s12, v1
	ds_read2_b64 v[4:7], v3 offset1:1
	ds_read2_b64 v[8:11], v3 offset0:48 offset1:49
	ds_read2_b64 v[12:15], v3 offset0:96 offset1:97
	;; [unrolled: 1-line block ×5, first 2 shown]
	v_addc_co_u32_e32 v37, vcc, v2, v28, vcc
	ds_read2_b64 v[28:31], v29 offset1:1
	ds_read2_b64 v[32:35], v32 offset1:1
	s_add_i32 s10, s10, 8
	s_add_u32 s12, s12, 0x80
	s_addc_u32 s13, s13, 0
	v_add_u32_e32 v3, 0xc00, v3
	s_cmp_lg_u32 s11, s12
	s_waitcnt lgkmcnt(7)
	global_store_dwordx4 v[36:37], v[4:7], off
	s_waitcnt lgkmcnt(6)
	global_store_dwordx4 v[36:37], v[8:11], off offset:16
	s_waitcnt lgkmcnt(5)
	global_store_dwordx4 v[36:37], v[12:15], off offset:32
	;; [unrolled: 2-line block ×7, first 2 shown]
	s_cbranch_scc1 .LBB224_67
.LBB224_68:
	s_and_b32 s12, s33, 7
	s_cmp_eq_u32 s12, 0
	s_mov_b32 s11, 0
	s_cbranch_scc1 .LBB224_71
; %bb.69:
	s_lshl_b64 s[8:9], s[8:9], 4
	v_lshlrev_b32_e32 v1, 4, v0
	v_mov_b32_e32 v2, s9
	v_add_co_u32_e32 v1, vcc, s8, v1
	s_lshl_b64 s[8:9], s[10:11], 4
	s_add_u32 s8, s22, s8
	s_addc_u32 s9, s23, s9
	s_add_u32 s6, s8, s6
	s_addc_u32 s7, s9, s7
	s_add_u32 s4, s6, s4
	s_addc_u32 s5, s7, s5
	v_addc_co_u32_e32 v4, vcc, 0, v2, vcc
	v_pk_mov_b32 v[2:3], s[4:5], s[4:5] op_sel:[0,1]
	v_mad_u64_u32 v[2:3], s[4:5], v1, s25, v[2:3]
	s_mul_i32 s4, s10, 0x180
	v_mul_lo_u32 v1, v1, s28
	v_mul_lo_u32 v4, v4, s25
	v_lshl_add_u32 v0, v0, 4, s4
	v_add3_u32 v3, v4, v3, v1
	v_add_u32_e32 v0, 0x2400, v0
.LBB224_70:                             ; =>This Inner Loop Header: Depth=1
	ds_read2_b64 v[4:7], v0 offset1:1
	s_add_i32 s12, s12, -1
	v_add_u32_e32 v0, 0x180, v0
	s_cmp_lg_u32 s12, 0
	s_waitcnt lgkmcnt(0)
	global_store_dwordx4 v[2:3], v[4:7], off
	v_add_co_u32_e32 v2, vcc, 16, v2
	v_addc_co_u32_e32 v3, vcc, 0, v3, vcc
	s_cbranch_scc1 .LBB224_70
.LBB224_71:
	s_endpgm
	.section	.rodata,"a",@progbits
	.p2align	6, 0x0
	.amdhsa_kernel _ZL38rocblas_trsm_small_left_device_sharedBILi24ELi24ELb0E19rocblas_complex_numIdES1_PKS1_PS1_Ev13rocblas_fill_18rocblas_operation_17rocblas_diagonal_iiT3_T4_lilT5_lili
		.amdhsa_group_segment_fixed_size 18432
		.amdhsa_private_segment_fixed_size 400
		.amdhsa_kernarg_size 368
		.amdhsa_user_sgpr_count 8
		.amdhsa_user_sgpr_private_segment_buffer 1
		.amdhsa_user_sgpr_dispatch_ptr 0
		.amdhsa_user_sgpr_queue_ptr 0
		.amdhsa_user_sgpr_kernarg_segment_ptr 1
		.amdhsa_user_sgpr_dispatch_id 0
		.amdhsa_user_sgpr_flat_scratch_init 1
		.amdhsa_user_sgpr_kernarg_preload_length 0
		.amdhsa_user_sgpr_kernarg_preload_offset 0
		.amdhsa_user_sgpr_private_segment_size 0
		.amdhsa_uses_dynamic_stack 0
		.amdhsa_system_sgpr_private_segment_wavefront_offset 1
		.amdhsa_system_sgpr_workgroup_id_x 1
		.amdhsa_system_sgpr_workgroup_id_y 0
		.amdhsa_system_sgpr_workgroup_id_z 1
		.amdhsa_system_sgpr_workgroup_info 0
		.amdhsa_system_vgpr_workitem_id 0
		.amdhsa_next_free_vgpr 54
		.amdhsa_next_free_sgpr 43
		.amdhsa_accum_offset 56
		.amdhsa_reserve_vcc 1
		.amdhsa_reserve_flat_scratch 0
		.amdhsa_float_round_mode_32 0
		.amdhsa_float_round_mode_16_64 0
		.amdhsa_float_denorm_mode_32 3
		.amdhsa_float_denorm_mode_16_64 3
		.amdhsa_dx10_clamp 1
		.amdhsa_ieee_mode 1
		.amdhsa_fp16_overflow 0
		.amdhsa_tg_split 0
		.amdhsa_exception_fp_ieee_invalid_op 0
		.amdhsa_exception_fp_denorm_src 0
		.amdhsa_exception_fp_ieee_div_zero 0
		.amdhsa_exception_fp_ieee_overflow 0
		.amdhsa_exception_fp_ieee_underflow 0
		.amdhsa_exception_fp_ieee_inexact 0
		.amdhsa_exception_int_div_zero 0
	.end_amdhsa_kernel
	.section	.text._ZL38rocblas_trsm_small_left_device_sharedBILi24ELi24ELb0E19rocblas_complex_numIdES1_PKS1_PS1_Ev13rocblas_fill_18rocblas_operation_17rocblas_diagonal_iiT3_T4_lilT5_lili,"axG",@progbits,_ZL38rocblas_trsm_small_left_device_sharedBILi24ELi24ELb0E19rocblas_complex_numIdES1_PKS1_PS1_Ev13rocblas_fill_18rocblas_operation_17rocblas_diagonal_iiT3_T4_lilT5_lili,comdat
.Lfunc_end224:
	.size	_ZL38rocblas_trsm_small_left_device_sharedBILi24ELi24ELb0E19rocblas_complex_numIdES1_PKS1_PS1_Ev13rocblas_fill_18rocblas_operation_17rocblas_diagonal_iiT3_T4_lilT5_lili, .Lfunc_end224-_ZL38rocblas_trsm_small_left_device_sharedBILi24ELi24ELb0E19rocblas_complex_numIdES1_PKS1_PS1_Ev13rocblas_fill_18rocblas_operation_17rocblas_diagonal_iiT3_T4_lilT5_lili
                                        ; -- End function
	.section	.AMDGPU.csdata,"",@progbits
; Kernel info:
; codeLenInByte = 4344
; NumSgprs: 47
; NumVgprs: 54
; NumAgprs: 0
; TotalNumVgprs: 54
; ScratchSize: 400
; MemoryBound: 0
; FloatMode: 240
; IeeeMode: 1
; LDSByteSize: 18432 bytes/workgroup (compile time only)
; SGPRBlocks: 5
; VGPRBlocks: 6
; NumSGPRsForWavesPerEU: 47
; NumVGPRsForWavesPerEU: 54
; AccumOffset: 56
; Occupancy: 1
; WaveLimiterHint : 0
; COMPUTE_PGM_RSRC2:SCRATCH_EN: 1
; COMPUTE_PGM_RSRC2:USER_SGPR: 8
; COMPUTE_PGM_RSRC2:TRAP_HANDLER: 0
; COMPUTE_PGM_RSRC2:TGID_X_EN: 1
; COMPUTE_PGM_RSRC2:TGID_Y_EN: 0
; COMPUTE_PGM_RSRC2:TGID_Z_EN: 1
; COMPUTE_PGM_RSRC2:TIDIG_COMP_CNT: 0
; COMPUTE_PGM_RSRC3_GFX90A:ACCUM_OFFSET: 13
; COMPUTE_PGM_RSRC3_GFX90A:TG_SPLIT: 0
	.section	.text._ZL30rocblas_trsm_small_left_deviceILi24ELi24ELb0E19rocblas_complex_numIdES1_PKS1_PS1_Ev13rocblas_fill_18rocblas_operation_17rocblas_diagonal_iiT3_T4_lilT5_lili,"axG",@progbits,_ZL30rocblas_trsm_small_left_deviceILi24ELi24ELb0E19rocblas_complex_numIdES1_PKS1_PS1_Ev13rocblas_fill_18rocblas_operation_17rocblas_diagonal_iiT3_T4_lilT5_lili,comdat
	.globl	_ZL30rocblas_trsm_small_left_deviceILi24ELi24ELb0E19rocblas_complex_numIdES1_PKS1_PS1_Ev13rocblas_fill_18rocblas_operation_17rocblas_diagonal_iiT3_T4_lilT5_lili ; -- Begin function _ZL30rocblas_trsm_small_left_deviceILi24ELi24ELb0E19rocblas_complex_numIdES1_PKS1_PS1_Ev13rocblas_fill_18rocblas_operation_17rocblas_diagonal_iiT3_T4_lilT5_lili
	.p2align	8
	.type	_ZL30rocblas_trsm_small_left_deviceILi24ELi24ELb0E19rocblas_complex_numIdES1_PKS1_PS1_Ev13rocblas_fill_18rocblas_operation_17rocblas_diagonal_iiT3_T4_lilT5_lili,@function
_ZL30rocblas_trsm_small_left_deviceILi24ELi24ELb0E19rocblas_complex_numIdES1_PKS1_PS1_Ev13rocblas_fill_18rocblas_operation_17rocblas_diagonal_iiT3_T4_lilT5_lili: ; @_ZL30rocblas_trsm_small_left_deviceILi24ELi24ELb0E19rocblas_complex_numIdES1_PKS1_PS1_Ev13rocblas_fill_18rocblas_operation_17rocblas_diagonal_iiT3_T4_lilT5_lili
; %bb.0:
	s_add_u32 s0, s0, s10
	s_load_dwordx4 s[24:27], s[4:5], 0x4
	s_load_dwordx8 s[12:19], s[4:5], 0x18
	s_load_dwordx4 s[20:23], s[4:5], 0x40
	s_load_dwordx2 s[10:11], s[4:5], 0x50
	s_load_dword s39, s[4:5], 0x70
	s_addc_u32 s1, s1, 0
	s_waitcnt lgkmcnt(0)
	s_min_i32 s38, s26, 24
	s_mov_b32 s40, 0
	s_add_i32 s33, s38, -1
	v_cmp_gt_i32_e32 vcc, s38, v0
	s_and_saveexec_b64 s[28:29], vcc
	s_cbranch_execz .LBB225_15
; %bb.1:
	s_load_dword s30, s[4:5], 0x38
	v_lshlrev_b32_e32 v1, 4, v0
	s_mul_i32 s26, s21, s9
	s_mul_hi_u32 s41, s20, s9
	s_mul_i32 s20, s20, s9
	s_waitcnt lgkmcnt(0)
	s_ashr_i32 s31, s30, 31
	s_cmpk_eq_i32 s24, 0x71
	s_cselect_b64 vcc, -1, 0
	s_cmp_lt_u32 s33, 3
	s_cbranch_scc1 .LBB225_4
; %bb.2:
	s_add_i32 s21, s41, s26
	s_and_b32 s40, s38, -4
	s_lshl_b64 s[6:7], s[20:21], 4
	s_lshl_b64 s[34:35], s[18:19], 4
	s_add_u32 s6, s6, s34
	s_addc_u32 s7, s7, s35
	s_add_u32 s6, s16, s6
	v_lshlrev_b32_e32 v2, 4, v0
	s_addc_u32 s7, s17, s7
	v_mov_b32_e32 v3, s7
	v_add_co_u32_e64 v2, s[6:7], s6, v2
	v_addc_co_u32_e64 v3, s[6:7], 0, v3, s[6:7]
	v_add_co_u32_e64 v2, s[6:7], 8, v2
	s_lshl_b64 s[34:35], s[30:31], 6
	s_lshl_b64 s[36:37], s[30:31], 4
	v_addc_co_u32_e64 v3, s[6:7], 0, v3, s[6:7]
	s_mov_b32 s21, 0
	v_mov_b32_e32 v4, s37
	v_mov_b32_e32 v5, s35
	;; [unrolled: 1-line block ×3, first 2 shown]
.LBB225_3:                              ; =>This Inner Loop Header: Depth=1
	v_add_co_u32_e64 v20, s[6:7], s36, v2
	v_addc_co_u32_e64 v21, s[6:7], v3, v4, s[6:7]
	v_add_co_u32_e64 v22, s[6:7], s36, v20
	global_load_dwordx4 v[8:11], v[2:3], off offset:-8
	v_addc_co_u32_e64 v23, s[6:7], v21, v4, s[6:7]
	global_load_dwordx4 v[12:15], v[20:21], off offset:-8
	global_load_dwordx4 v[16:19], v[22:23], off offset:-8
	v_add_co_u32_e64 v20, s[6:7], s36, v22
	v_addc_co_u32_e64 v21, s[6:7], v23, v4, s[6:7]
	global_load_dwordx4 v[20:23], v[20:21], off offset:-8
	s_add_i32 s21, s21, 4
	v_add_co_u32_e64 v2, s[6:7], s34, v2
	s_cmp_eq_u32 s40, s21
	v_addc_co_u32_e64 v3, s[6:7], v3, v5, s[6:7]
	s_waitcnt vmcnt(3)
	v_xor_b32_e32 v7, 0x80000000, v11
	v_cndmask_b32_e32 v11, v11, v7, vcc
	s_waitcnt vmcnt(2)
	v_xor_b32_e32 v7, 0x80000000, v15
	v_cndmask_b32_e32 v15, v15, v7, vcc
	;; [unrolled: 3-line block ×3, first 2 shown]
	ds_write_b128 v6, v[8:11]
	ds_write_b128 v6, v[12:15] offset:384
	s_waitcnt vmcnt(0)
	v_xor_b32_e32 v7, 0x80000000, v23
	v_cndmask_b32_e32 v23, v23, v7, vcc
	ds_write_b128 v6, v[16:19] offset:768
	ds_write_b128 v6, v[20:23] offset:1152
	v_add_u32_e32 v6, 0x600, v6
	s_cbranch_scc0 .LBB225_3
.LBB225_4:
	s_and_b32 s34, s38, 3
	s_cmp_eq_u32 s34, 0
	s_cbranch_scc1 .LBB225_7
; %bb.5:
	s_mul_i32 s6, s40, 0x180
	s_add_i32 s21, s41, s26
	v_lshl_add_u32 v4, v0, 4, s6
	s_lshl_b64 s[6:7], s[20:21], 4
	s_mul_i32 s20, s31, s40
	s_mul_hi_u32 s21, s30, s40
	s_add_i32 s21, s21, s20
	s_mul_i32 s20, s30, s40
	s_lshl_b64 s[20:21], s[20:21], 4
	s_add_u32 s20, s6, s20
	s_addc_u32 s21, s7, s21
	s_lshl_b64 s[6:7], s[18:19], 4
	s_add_u32 s6, s20, s6
	s_addc_u32 s7, s21, s7
	s_add_u32 s6, s16, s6
	s_addc_u32 s7, s17, s7
	v_mov_b32_e32 v2, s7
	v_add_co_u32_e64 v1, s[6:7], s6, v1
	v_addc_co_u32_e64 v3, s[6:7], 0, v2, s[6:7]
	v_add_co_u32_e64 v2, s[6:7], 8, v1
	s_lshl_b64 s[16:17], s[30:31], 4
	v_addc_co_u32_e64 v3, s[6:7], 0, v3, s[6:7]
	v_mov_b32_e32 v1, s17
.LBB225_6:                              ; =>This Inner Loop Header: Depth=1
	global_load_dwordx4 v[6:9], v[2:3], off offset:-8
	v_add_co_u32_e64 v2, s[6:7], s16, v2
	s_add_i32 s34, s34, -1
	v_addc_co_u32_e64 v3, s[6:7], v3, v1, s[6:7]
	s_cmp_lg_u32 s34, 0
	s_waitcnt vmcnt(0)
	v_xor_b32_e32 v5, 0x80000000, v9
	v_cndmask_b32_e32 v9, v9, v5, vcc
	ds_write_b128 v4, v[6:9]
	v_add_u32_e32 v4, 0x180, v4
	s_cbranch_scc1 .LBB225_6
.LBB225_7:
	v_mul_u32_u24_e32 v1, 25, v0
	s_cmpk_lg_i32 s25, 0x84
	v_lshlrev_b32_e32 v1, 4, v1
	s_cbranch_scc0 .LBB225_13
; %bb.8:
	ds_read_b128 v[2:5], v1
	s_waitcnt lgkmcnt(0)
	v_xor_b32_e32 v7, 0x80000000, v3
	v_cmp_gt_f64_e32 vcc, 0, v[2:3]
	v_xor_b32_e32 v8, 0x80000000, v5
	v_cndmask_b32_e32 v7, v3, v7, vcc
	v_cmp_gt_f64_e32 vcc, 0, v[4:5]
	v_mov_b32_e32 v6, v2
	v_cndmask_b32_e32 v9, v5, v8, vcc
	v_mov_b32_e32 v8, v4
	v_cmp_ngt_f64_e32 vcc, v[6:7], v[8:9]
                                        ; implicit-def: $vgpr8_vgpr9
	s_and_saveexec_b64 s[6:7], vcc
	s_xor_b64 s[6:7], exec, s[6:7]
	s_cbranch_execz .LBB225_10
; %bb.9:
	v_div_scale_f64 v[6:7], s[16:17], v[4:5], v[4:5], v[2:3]
	v_rcp_f64_e32 v[8:9], v[6:7]
	v_div_scale_f64 v[10:11], vcc, v[2:3], v[4:5], v[2:3]
	v_fma_f64 v[12:13], -v[6:7], v[8:9], 1.0
	v_fmac_f64_e32 v[8:9], v[8:9], v[12:13]
	v_fma_f64 v[12:13], -v[6:7], v[8:9], 1.0
	v_fmac_f64_e32 v[8:9], v[8:9], v[12:13]
	v_mul_f64 v[12:13], v[10:11], v[8:9]
	v_fma_f64 v[6:7], -v[6:7], v[12:13], v[10:11]
	v_div_fmas_f64 v[6:7], v[6:7], v[8:9], v[12:13]
	v_div_fixup_f64 v[8:9], v[6:7], v[4:5], v[2:3]
	v_fmac_f64_e32 v[4:5], v[2:3], v[8:9]
	v_div_scale_f64 v[2:3], s[16:17], v[4:5], v[4:5], 1.0
	v_rcp_f64_e32 v[6:7], v[2:3]
	v_fma_f64 v[10:11], -v[2:3], v[6:7], 1.0
	v_fmac_f64_e32 v[6:7], v[6:7], v[10:11]
	v_fma_f64 v[10:11], -v[2:3], v[6:7], 1.0
	v_fmac_f64_e32 v[6:7], v[6:7], v[10:11]
	v_div_scale_f64 v[10:11], vcc, 1.0, v[4:5], 1.0
	v_mul_f64 v[12:13], v[10:11], v[6:7]
	v_fma_f64 v[2:3], -v[2:3], v[12:13], v[10:11]
	s_nop 1
	v_div_fmas_f64 v[2:3], v[2:3], v[6:7], v[12:13]
	v_div_fixup_f64 v[2:3], v[2:3], v[4:5], 1.0
	v_add_f64 v[4:5], v[8:9], 0
	v_mul_f64 v[6:7], v[4:5], v[2:3]
	v_fma_f64 v[4:5], v[8:9], 0, -1.0
	v_mul_f64 v[8:9], v[4:5], v[2:3]
                                        ; implicit-def: $vgpr2_vgpr3
.LBB225_10:
	s_andn2_saveexec_b64 s[6:7], s[6:7]
	s_cbranch_execz .LBB225_12
; %bb.11:
	v_div_scale_f64 v[6:7], s[16:17], v[2:3], v[2:3], v[4:5]
	v_rcp_f64_e32 v[8:9], v[6:7]
	v_div_scale_f64 v[10:11], vcc, v[4:5], v[2:3], v[4:5]
	v_fma_f64 v[12:13], -v[6:7], v[8:9], 1.0
	v_fmac_f64_e32 v[8:9], v[8:9], v[12:13]
	v_fma_f64 v[12:13], -v[6:7], v[8:9], 1.0
	v_fmac_f64_e32 v[8:9], v[8:9], v[12:13]
	v_mul_f64 v[12:13], v[10:11], v[8:9]
	v_fma_f64 v[6:7], -v[6:7], v[12:13], v[10:11]
	v_div_fmas_f64 v[6:7], v[6:7], v[8:9], v[12:13]
	v_div_fixup_f64 v[8:9], v[6:7], v[2:3], v[4:5]
	v_fmac_f64_e32 v[2:3], v[4:5], v[8:9]
	v_div_scale_f64 v[4:5], s[16:17], v[2:3], v[2:3], 1.0
	v_rcp_f64_e32 v[6:7], v[4:5]
	v_fma_f64 v[10:11], -v[4:5], v[6:7], 1.0
	v_fmac_f64_e32 v[6:7], v[6:7], v[10:11]
	v_fma_f64 v[10:11], -v[4:5], v[6:7], 1.0
	v_fmac_f64_e32 v[6:7], v[6:7], v[10:11]
	v_div_scale_f64 v[10:11], vcc, 1.0, v[2:3], 1.0
	v_mul_f64 v[12:13], v[10:11], v[6:7]
	v_fma_f64 v[4:5], -v[4:5], v[12:13], v[10:11]
	s_nop 1
	v_div_fmas_f64 v[4:5], v[4:5], v[6:7], v[12:13]
	v_div_fixup_f64 v[2:3], v[4:5], v[2:3], 1.0
	v_fma_f64 v[4:5], v[8:9], 0, 1.0
	v_mul_f64 v[6:7], v[4:5], v[2:3]
	v_add_f64 v[4:5], -v[8:9], 0
	v_mul_f64 v[8:9], v[4:5], v[2:3]
.LBB225_12:
	s_or_b64 exec, exec, s[6:7]
	s_branch .LBB225_14
.LBB225_13:
	v_mov_b32_e32 v6, 0
	v_mov_b32_e32 v7, 0x3ff00000
	v_pk_mov_b32 v[8:9], 0, 0
.LBB225_14:
	ds_write_b128 v1, v[6:9]
.LBB225_15:
	s_or_b64 exec, exec, s[28:29]
	s_mul_i32 s6, s8, 0xffffffe8
	s_add_i32 s39, s39, -1
	s_add_i32 s6, s6, s27
	s_cmp_ge_u32 s8, s39
	s_cselect_b32 s6, s6, 24
	v_cmp_gt_i32_e32 vcc, s6, v0
	s_waitcnt lgkmcnt(0)
	; wave barrier
	s_waitcnt lgkmcnt(0)
	s_and_saveexec_b64 s[6:7], vcc
	s_cbranch_execz .LBB225_58
; %bb.16:
	s_load_dwordx2 s[6:7], s[4:5], 0x60
	s_load_dword s16, s[4:5], 0x58
	s_waitcnt lgkmcnt(0)
	s_mul_i32 s5, s9, s7
	s_mul_hi_u32 s7, s9, s6
	s_mul_i32 s4, s9, s6
	s_add_i32 s5, s7, s5
	s_lshl_b64 s[4:5], s[4:5], 4
	s_add_u32 s9, s22, s4
	s_addc_u32 s17, s23, s5
	s_lshl_b64 s[6:7], s[10:11], 4
	s_add_u32 s10, s9, s6
	v_mad_u64_u32 v[0:1], s[8:9], s8, 24, v[0:1]
	v_mad_i64_i32 v[0:1], s[8:9], s16, v0, 0
	s_addc_u32 s11, s17, s7
	v_lshlrev_b64 v[4:5], 4, v[0:1]
	v_mov_b32_e32 v0, s11
	v_add_co_u32_e32 v8, vcc, s10, v4
	v_addc_co_u32_e32 v9, vcc, v0, v5, vcc
	s_cmpk_eq_i32 s24, 0x6f
	s_mov_b64 s[8:9], -1
	s_cbranch_scc1 .LBB225_38
; %bb.17:
	s_add_u32 s8, s22, s6
	s_addc_u32 s9, s23, s7
	s_add_u32 s8, s8, s4
	s_addc_u32 s9, s9, s5
	v_mov_b32_e32 v0, s9
	v_add_co_u32_e32 v1, vcc, s8, v4
	v_addc_co_u32_e32 v0, vcc, v0, v5, vcc
	v_add_co_u32_e32 v10, vcc, 8, v1
	s_mov_b32 s9, 0
	v_addc_co_u32_e32 v11, vcc, 0, v0, vcc
	v_mov_b32_e32 v12, 0
	s_mov_b32 s10, s9
	s_mov_b32 s16, s9
	s_branch .LBB225_19
.LBB225_18:                             ;   in Loop: Header=BB225_19 Depth=1
	s_cmp_ge_i32 s16, s38
	s_cselect_b64 s[18:19], -1, 0
	s_add_i32 s10, s10, 1
	s_cmp_eq_u32 s10, 3
	s_cselect_b64 s[20:21], -1, 0
	s_or_b64 s[18:19], s[18:19], s[20:21]
	s_andn2_b64 vcc, exec, s[18:19]
	s_cbranch_vccz .LBB225_37
.LBB225_19:                             ; =>This Loop Header: Depth=1
                                        ;     Child Loop BB225_22 Depth 2
                                        ;       Child Loop BB225_23 Depth 3
                                        ;       Child Loop BB225_26 Depth 3
                                        ;         Child Loop BB225_27 Depth 4
                                        ;       Child Loop BB225_31 Depth 3
                                        ;         Child Loop BB225_33 Depth 4
	s_mov_b32 s11, s9
	s_lshl_b64 s[18:19], s[10:11], 2
	s_getpc_b64 s[20:21]
	s_add_u32 s20, s20, __const._ZL30rocblas_trsm_small_left_deviceILi24ELi24ELb0E19rocblas_complex_numIdES1_PKS1_PS1_Ev13rocblas_fill_18rocblas_operation_17rocblas_diagonal_iiT3_T4_lilT5_lili.step_sizes@rel32@lo+4
	s_addc_u32 s21, s21, __const._ZL30rocblas_trsm_small_left_deviceILi24ELi24ELb0E19rocblas_complex_numIdES1_PKS1_PS1_Ev13rocblas_fill_18rocblas_operation_17rocblas_diagonal_iiT3_T4_lilT5_lili.step_sizes@rel32@hi+12
	s_add_u32 s18, s18, s20
	s_addc_u32 s19, s19, s21
	s_load_dword s18, s[18:19], 0x0
	s_waitcnt lgkmcnt(0)
	s_add_i32 s11, s18, -1
	s_add_i32 s8, s11, s16
	s_cmp_ge_i32 s8, s38
	s_cbranch_scc1 .LBB225_18
; %bb.20:                               ;   in Loop: Header=BB225_19 Depth=1
	s_ashr_i32 s17, s16, 31
	s_lshl_b64 s[20:21], s[16:17], 4
	s_ashr_i32 s19, s18, 31
	v_mov_b32_e32 v0, s21
	v_add_co_u32_e32 v6, vcc, s20, v10
	s_lshl_b64 s[20:21], s[18:19], 4
	s_max_i32 s28, s18, 1
	v_addc_co_u32_e32 v7, vcc, v11, v0, vcc
	s_mul_i32 s17, s16, 0x180
	s_mul_i32 s19, s18, 0x180
	;; [unrolled: 1-line block ×4, first 2 shown]
	v_mov_b32_e32 v13, s21
	s_branch .LBB225_22
.LBB225_21:                             ;   in Loop: Header=BB225_22 Depth=2
	s_add_i32 s16, s16, s18
	s_add_i32 s8, s11, s16
	;; [unrolled: 1-line block ×4, first 2 shown]
	v_add_co_u32_e32 v6, vcc, s20, v6
	s_cmp_ge_i32 s8, s38
	v_addc_co_u32_e32 v7, vcc, v7, v13, vcc
	s_cbranch_scc1 .LBB225_18
.LBB225_22:                             ;   Parent Loop BB225_19 Depth=1
                                        ; =>  This Loop Header: Depth=2
                                        ;       Child Loop BB225_23 Depth 3
                                        ;       Child Loop BB225_26 Depth 3
                                        ;         Child Loop BB225_27 Depth 4
                                        ;       Child Loop BB225_31 Depth 3
                                        ;         Child Loop BB225_33 Depth 4
	v_mov_b32_e32 v2, 0
	v_pk_mov_b32 v[0:1], v[6:7], v[6:7] op_sel:[0,1]
	s_mov_b32 s8, s28
.LBB225_23:                             ;   Parent Loop BB225_19 Depth=1
                                        ;     Parent Loop BB225_22 Depth=2
                                        ; =>    This Inner Loop Header: Depth=3
	global_load_dwordx4 v[14:17], v[0:1], off offset:-8
	s_add_i32 s8, s8, -1
	v_add_co_u32_e32 v0, vcc, 16, v0
	v_addc_co_u32_e32 v1, vcc, 0, v1, vcc
	s_cmp_eq_u32 s8, 0
	s_waitcnt vmcnt(0)
	v_mul_f64 v[18:19], s[14:15], v[16:17]
	v_mul_f64 v[16:17], s[12:13], v[16:17]
	v_fma_f64 v[18:19], s[12:13], v[14:15], -v[18:19]
	v_fmac_f64_e32 v[16:17], s[14:15], v[14:15]
	buffer_store_dword v19, v2, s[0:3], 0 offen offset:4
	buffer_store_dword v18, v2, s[0:3], 0 offen
	buffer_store_dword v17, v2, s[0:3], 0 offen offset:12
	buffer_store_dword v16, v2, s[0:3], 0 offen offset:8
	v_add_u32_e32 v2, 16, v2
	s_cbranch_scc0 .LBB225_23
; %bb.24:                               ;   in Loop: Header=BB225_22 Depth=2
	s_cmp_lt_i32 s16, 1
	s_cbranch_scc1 .LBB225_29
; %bb.25:                               ;   in Loop: Header=BB225_22 Depth=2
	s_mov_b32 s8, 0
	s_mov_b32 s21, s17
.LBB225_26:                             ;   Parent Loop BB225_19 Depth=1
                                        ;     Parent Loop BB225_22 Depth=2
                                        ; =>    This Loop Header: Depth=3
                                        ;         Child Loop BB225_27 Depth 4
	s_lshl_b64 s[24:25], s[8:9], 4
	v_mov_b32_e32 v1, s25
	v_add_co_u32_e32 v0, vcc, s24, v8
	v_addc_co_u32_e32 v1, vcc, v9, v1, vcc
	global_load_dwordx4 v[0:3], v[0:1], off
	v_mov_b32_e32 v14, 0
	s_mov_b32 s24, s21
	s_mov_b32 s25, s28
.LBB225_27:                             ;   Parent Loop BB225_19 Depth=1
                                        ;     Parent Loop BB225_22 Depth=2
                                        ;       Parent Loop BB225_26 Depth=3
                                        ; =>      This Inner Loop Header: Depth=4
	buffer_load_dword v20, v14, s[0:3], 0 offen
	buffer_load_dword v21, v14, s[0:3], 0 offen offset:4
	buffer_load_dword v22, v14, s[0:3], 0 offen offset:8
	;; [unrolled: 1-line block ×3, first 2 shown]
	v_mov_b32_e32 v15, s24
	ds_read_b128 v[16:19], v15
	s_add_i32 s25, s25, -1
	s_addk_i32 s24, 0x180
	s_cmp_eq_u32 s25, 0
	s_waitcnt vmcnt(4) lgkmcnt(0)
	v_mul_f64 v[24:25], v[2:3], v[18:19]
	v_mul_f64 v[18:19], v[0:1], v[18:19]
	v_fma_f64 v[24:25], v[0:1], v[16:17], -v[24:25]
	v_fmac_f64_e32 v[18:19], v[2:3], v[16:17]
	s_waitcnt vmcnt(2)
	v_add_f64 v[16:17], v[20:21], -v[24:25]
	s_waitcnt vmcnt(0)
	v_add_f64 v[18:19], v[22:23], -v[18:19]
	buffer_store_dword v16, v14, s[0:3], 0 offen
	buffer_store_dword v17, v14, s[0:3], 0 offen offset:4
	buffer_store_dword v18, v14, s[0:3], 0 offen offset:8
	;; [unrolled: 1-line block ×3, first 2 shown]
	v_add_u32_e32 v14, 16, v14
	s_cbranch_scc0 .LBB225_27
; %bb.28:                               ;   in Loop: Header=BB225_26 Depth=3
	s_add_i32 s8, s8, 1
	s_add_i32 s21, s21, 16
	s_cmp_ge_i32 s8, s16
	s_cbranch_scc0 .LBB225_26
.LBB225_29:                             ;   in Loop: Header=BB225_22 Depth=2
	s_mov_b32 s8, 0
	s_mov_b32 s21, s29
	s_branch .LBB225_31
.LBB225_30:                             ;   in Loop: Header=BB225_31 Depth=3
	s_mul_i32 s25, s24, 0x190
	v_mov_b32_e32 v14, s25
	ds_read_b128 v[14:17], v14
	s_lshl_b32 s25, s8, 4
	v_add_u32_e32 v22, s25, v12
	s_ashr_i32 s25, s24, 31
	s_lshl_b64 s[24:25], s[24:25], 4
	s_waitcnt vmcnt(0) lgkmcnt(0)
	v_mul_f64 v[18:19], v[16:17], v[2:3]
	v_mul_f64 v[20:21], v[14:15], v[2:3]
	v_fma_f64 v[18:19], v[14:15], v[0:1], -v[18:19]
	v_fmac_f64_e32 v[20:21], v[16:17], v[0:1]
	v_mov_b32_e32 v1, s25
	v_add_co_u32_e32 v0, vcc, s24, v8
	s_add_i32 s8, s8, 1
	s_addk_i32 s21, 0x180
	v_addc_co_u32_e32 v1, vcc, v9, v1, vcc
	s_cmp_eq_u32 s8, s28
	buffer_store_dword v19, v22, s[0:3], 0 offen offset:4
	buffer_store_dword v18, v22, s[0:3], 0 offen
	buffer_store_dword v21, v22, s[0:3], 0 offen offset:12
	buffer_store_dword v20, v22, s[0:3], 0 offen offset:8
	global_store_dwordx4 v[0:1], v[18:21], off
	s_cbranch_scc1 .LBB225_21
.LBB225_31:                             ;   Parent Loop BB225_19 Depth=1
                                        ;     Parent Loop BB225_22 Depth=2
                                        ; =>    This Loop Header: Depth=3
                                        ;         Child Loop BB225_33 Depth 4
	s_cmp_lg_u32 s8, 0
	s_cbranch_scc0 .LBB225_35
; %bb.32:                               ;   in Loop: Header=BB225_31 Depth=3
	s_lshl_b32 s24, s8, 4
	v_add_u32_e32 v14, s24, v12
	buffer_load_dword v0, v14, s[0:3], 0 offen
	buffer_load_dword v1, v14, s[0:3], 0 offen offset:4
	buffer_load_dword v2, v14, s[0:3], 0 offen offset:8
	;; [unrolled: 1-line block ×3, first 2 shown]
	s_add_i32 s24, s8, s16
	v_mov_b32_e32 v15, 0
	s_mov_b32 s25, 0
	s_mov_b32 s26, s21
.LBB225_33:                             ;   Parent Loop BB225_19 Depth=1
                                        ;     Parent Loop BB225_22 Depth=2
                                        ;       Parent Loop BB225_31 Depth=3
                                        ; =>      This Inner Loop Header: Depth=4
	buffer_load_dword v20, v15, s[0:3], 0 offen offset:8
	buffer_load_dword v21, v15, s[0:3], 0 offen offset:12
	buffer_load_dword v22, v15, s[0:3], 0 offen
	buffer_load_dword v23, v15, s[0:3], 0 offen offset:4
	v_mov_b32_e32 v16, s26
	ds_read_b128 v[16:19], v16
	s_add_i32 s25, s25, 1
	s_add_i32 s26, s26, 16
	v_add_u32_e32 v15, 16, v15
	s_cmp_ge_u32 s25, s8
	s_waitcnt vmcnt(2) lgkmcnt(0)
	v_mul_f64 v[24:25], v[18:19], v[20:21]
	v_mul_f64 v[20:21], v[16:17], v[20:21]
	s_waitcnt vmcnt(0)
	v_fma_f64 v[16:17], v[16:17], v[22:23], -v[24:25]
	v_fmac_f64_e32 v[20:21], v[18:19], v[22:23]
	v_add_f64 v[0:1], v[0:1], -v[16:17]
	v_add_f64 v[2:3], v[2:3], -v[20:21]
	buffer_store_dword v0, v14, s[0:3], 0 offen
	buffer_store_dword v1, v14, s[0:3], 0 offen offset:4
	buffer_store_dword v2, v14, s[0:3], 0 offen offset:8
	buffer_store_dword v3, v14, s[0:3], 0 offen offset:12
	s_cbranch_scc0 .LBB225_33
; %bb.34:                               ;   in Loop: Header=BB225_31 Depth=3
	s_branch .LBB225_30
.LBB225_35:                             ;   in Loop: Header=BB225_31 Depth=3
                                        ; implicit-def: $vgpr0_vgpr1
                                        ; implicit-def: $vgpr2_vgpr3
                                        ; implicit-def: $sgpr24
	s_cbranch_execz .LBB225_30
; %bb.36:                               ;   in Loop: Header=BB225_31 Depth=3
	buffer_load_dword v0, off, s[0:3], 0
	buffer_load_dword v1, off, s[0:3], 0 offset:4
	buffer_load_dword v2, off, s[0:3], 0 offset:8
	;; [unrolled: 1-line block ×3, first 2 shown]
	s_mov_b32 s24, s16
	s_branch .LBB225_30
.LBB225_37:
	s_mov_b64 s[8:9], 0
.LBB225_38:
	s_and_b64 vcc, exec, s[8:9]
	s_cbranch_vccz .LBB225_58
; %bb.39:
	s_add_u32 s6, s22, s6
	s_addc_u32 s7, s23, s7
	s_add_u32 s4, s6, s4
	s_addc_u32 s5, s7, s5
	v_mov_b32_e32 v0, s5
	v_add_co_u32_e32 v1, vcc, s4, v4
	v_addc_co_u32_e32 v0, vcc, v0, v5, vcc
	v_add_co_u32_e32 v4, vcc, 8, v1
	s_mul_i32 s18, s38, 0x180
	s_mov_b32 s5, 0
	v_addc_co_u32_e32 v5, vcc, 0, v0, vcc
	s_addk_i32 s18, 0xfe80
	v_mov_b32_e32 v6, 0
	s_mov_b32 s6, s33
	s_mov_b32 s4, s5
	s_branch .LBB225_41
.LBB225_40:                             ;   in Loop: Header=BB225_41 Depth=1
	s_cmp_lt_i32 s6, 0
	s_cselect_b64 s[8:9], -1, 0
	s_add_i32 s4, s4, 1
	s_cmp_eq_u32 s4, 3
	s_cselect_b64 s[10:11], -1, 0
	s_or_b64 s[8:9], s[8:9], s[10:11]
	s_and_b64 vcc, exec, s[8:9]
	s_cbranch_vccnz .LBB225_58
.LBB225_41:                             ; =>This Loop Header: Depth=1
                                        ;     Child Loop BB225_44 Depth 2
                                        ;       Child Loop BB225_45 Depth 3
                                        ;       Child Loop BB225_47 Depth 3
                                        ;         Child Loop BB225_48 Depth 4
                                        ;       Child Loop BB225_52 Depth 3
                                        ;         Child Loop BB225_54 Depth 4
	s_lshl_b64 s[8:9], s[4:5], 2
	s_getpc_b64 s[10:11]
	s_add_u32 s10, s10, __const._ZL30rocblas_trsm_small_left_deviceILi24ELi24ELb0E19rocblas_complex_numIdES1_PKS1_PS1_Ev13rocblas_fill_18rocblas_operation_17rocblas_diagonal_iiT3_T4_lilT5_lili.step_sizes@rel32@lo+4
	s_addc_u32 s11, s11, __const._ZL30rocblas_trsm_small_left_deviceILi24ELi24ELb0E19rocblas_complex_numIdES1_PKS1_PS1_Ev13rocblas_fill_18rocblas_operation_17rocblas_diagonal_iiT3_T4_lilT5_lili.step_sizes@rel32@hi+12
	s_add_u32 s8, s8, s10
	s_addc_u32 s9, s9, s11
	s_load_dword s19, s[8:9], 0x0
	s_waitcnt lgkmcnt(0)
	s_add_i32 s20, s19, -1
	s_cmp_lt_i32 s6, s20
	s_cbranch_scc1 .LBB225_40
; %bb.42:                               ;   in Loop: Header=BB225_41 Depth=1
	s_lshl_b32 s7, s6, 4
	s_add_i32 s22, s18, s7
	s_lshl_b32 s7, s19, 4
	s_max_i32 s21, s19, 1
	s_sub_i32 s23, 0, s7
	s_mul_i32 s24, s6, 0x190
	s_mul_i32 s25, s19, 0xfffffe70
	s_branch .LBB225_44
.LBB225_43:                             ;   in Loop: Header=BB225_44 Depth=2
	s_sub_i32 s6, s6, s19
	s_add_i32 s22, s22, s23
	s_add_i32 s24, s24, s25
	s_cmp_lt_i32 s6, s20
	s_cbranch_scc1 .LBB225_40
.LBB225_44:                             ;   Parent Loop BB225_41 Depth=1
                                        ; =>  This Loop Header: Depth=2
                                        ;       Child Loop BB225_45 Depth 3
                                        ;       Child Loop BB225_47 Depth 3
                                        ;         Child Loop BB225_48 Depth 4
                                        ;       Child Loop BB225_52 Depth 3
                                        ;         Child Loop BB225_54 Depth 4
	s_ashr_i32 s7, s6, 31
	s_lshl_b64 s[8:9], s[6:7], 4
	v_mov_b32_e32 v1, s9
	v_add_co_u32_e32 v0, vcc, s8, v4
	v_addc_co_u32_e32 v1, vcc, v5, v1, vcc
	v_mov_b32_e32 v2, 0
	s_mov_b32 s8, s21
.LBB225_45:                             ;   Parent Loop BB225_41 Depth=1
                                        ;     Parent Loop BB225_44 Depth=2
                                        ; =>    This Inner Loop Header: Depth=3
	global_load_dwordx4 v[10:13], v[0:1], off offset:-8
	s_add_i32 s8, s8, -1
	v_add_co_u32_e32 v0, vcc, -16, v0
	v_addc_co_u32_e32 v1, vcc, -1, v1, vcc
	s_cmp_eq_u32 s8, 0
	s_waitcnt vmcnt(0)
	v_mul_f64 v[14:15], s[14:15], v[12:13]
	v_mul_f64 v[12:13], s[12:13], v[12:13]
	v_fma_f64 v[14:15], s[12:13], v[10:11], -v[14:15]
	v_fmac_f64_e32 v[12:13], s[14:15], v[10:11]
	buffer_store_dword v15, v2, s[0:3], 0 offen offset:4
	buffer_store_dword v14, v2, s[0:3], 0 offen
	buffer_store_dword v13, v2, s[0:3], 0 offen offset:12
	buffer_store_dword v12, v2, s[0:3], 0 offen offset:8
	v_add_u32_e32 v2, 16, v2
	s_cbranch_scc0 .LBB225_45
; %bb.46:                               ;   in Loop: Header=BB225_44 Depth=2
	s_cmp_le_i32 s33, s6
	s_mov_b32 s10, s22
	s_mov_b32 s8, s33
	s_cbranch_scc1 .LBB225_50
.LBB225_47:                             ;   Parent Loop BB225_41 Depth=1
                                        ;     Parent Loop BB225_44 Depth=2
                                        ; =>    This Loop Header: Depth=3
                                        ;         Child Loop BB225_48 Depth 4
	s_ashr_i32 s9, s8, 31
	s_lshl_b64 s[16:17], s[8:9], 4
	v_mov_b32_e32 v1, s17
	v_add_co_u32_e32 v0, vcc, s16, v8
	v_addc_co_u32_e32 v1, vcc, v9, v1, vcc
	global_load_dwordx4 v[0:3], v[0:1], off
	v_mov_b32_e32 v7, 0
	s_mov_b32 s9, s21
	s_mov_b32 s11, s10
.LBB225_48:                             ;   Parent Loop BB225_41 Depth=1
                                        ;     Parent Loop BB225_44 Depth=2
                                        ;       Parent Loop BB225_47 Depth=3
                                        ; =>      This Inner Loop Header: Depth=4
	buffer_load_dword v14, v7, s[0:3], 0 offen
	buffer_load_dword v15, v7, s[0:3], 0 offen offset:4
	buffer_load_dword v16, v7, s[0:3], 0 offen offset:8
	;; [unrolled: 1-line block ×3, first 2 shown]
	v_mov_b32_e32 v10, s11
	ds_read_b128 v[10:13], v10
	s_add_i32 s11, s11, -16
	s_add_i32 s9, s9, -1
	s_cmp_eq_u32 s9, 0
	s_waitcnt vmcnt(4) lgkmcnt(0)
	v_mul_f64 v[18:19], v[2:3], v[12:13]
	v_mul_f64 v[12:13], v[0:1], v[12:13]
	v_fma_f64 v[18:19], v[0:1], v[10:11], -v[18:19]
	v_fmac_f64_e32 v[12:13], v[2:3], v[10:11]
	s_waitcnt vmcnt(2)
	v_add_f64 v[10:11], v[14:15], -v[18:19]
	s_waitcnt vmcnt(0)
	v_add_f64 v[12:13], v[16:17], -v[12:13]
	buffer_store_dword v10, v7, s[0:3], 0 offen
	buffer_store_dword v11, v7, s[0:3], 0 offen offset:4
	buffer_store_dword v12, v7, s[0:3], 0 offen offset:8
	;; [unrolled: 1-line block ×3, first 2 shown]
	v_add_u32_e32 v7, 16, v7
	s_cbranch_scc0 .LBB225_48
; %bb.49:                               ;   in Loop: Header=BB225_47 Depth=3
	s_add_i32 s8, s8, -1
	s_addk_i32 s10, 0xfe80
	s_cmp_le_i32 s8, s6
	s_cbranch_scc0 .LBB225_47
.LBB225_50:                             ;   in Loop: Header=BB225_44 Depth=2
	s_mov_b32 s26, 0
	s_mov_b32 s27, s24
	s_branch .LBB225_52
.LBB225_51:                             ;   in Loop: Header=BB225_52 Depth=3
	s_mulk_i32 s10, 0x190
	v_mov_b32_e32 v7, s10
	ds_read_b128 v[10:13], v7
	s_lshl_b64 s[8:9], s[8:9], 4
	s_lshl_b32 s10, s26, 4
	s_add_i32 s26, s26, 1
	s_add_i32 s27, s27, -16
	s_waitcnt vmcnt(0) lgkmcnt(0)
	v_mul_f64 v[14:15], v[12:13], v[2:3]
	v_mul_f64 v[16:17], v[10:11], v[2:3]
	v_fma_f64 v[14:15], v[10:11], v[0:1], -v[14:15]
	v_fmac_f64_e32 v[16:17], v[12:13], v[0:1]
	v_mov_b32_e32 v1, s9
	v_add_co_u32_e32 v0, vcc, s8, v8
	v_add_u32_e32 v7, s10, v6
	v_addc_co_u32_e32 v1, vcc, v9, v1, vcc
	s_cmp_eq_u32 s26, s21
	buffer_store_dword v15, v7, s[0:3], 0 offen offset:4
	buffer_store_dword v14, v7, s[0:3], 0 offen
	buffer_store_dword v17, v7, s[0:3], 0 offen offset:12
	buffer_store_dword v16, v7, s[0:3], 0 offen offset:8
	global_store_dwordx4 v[0:1], v[14:17], off
	s_cbranch_scc1 .LBB225_43
.LBB225_52:                             ;   Parent Loop BB225_41 Depth=1
                                        ;     Parent Loop BB225_44 Depth=2
                                        ; =>    This Loop Header: Depth=3
                                        ;         Child Loop BB225_54 Depth 4
	s_cmp_lg_u32 s26, 0
	s_cbranch_scc0 .LBB225_56
; %bb.53:                               ;   in Loop: Header=BB225_52 Depth=3
	s_lshl_b32 s8, s26, 4
	v_add_u32_e32 v7, s8, v6
	buffer_load_dword v0, v7, s[0:3], 0 offen
	buffer_load_dword v1, v7, s[0:3], 0 offen offset:4
	buffer_load_dword v2, v7, s[0:3], 0 offen offset:8
	;; [unrolled: 1-line block ×3, first 2 shown]
	v_mov_b32_e32 v10, 0
	s_mov_b32 s8, 0
	s_mov_b32 s9, s27
.LBB225_54:                             ;   Parent Loop BB225_41 Depth=1
                                        ;     Parent Loop BB225_44 Depth=2
                                        ;       Parent Loop BB225_52 Depth=3
                                        ; =>      This Inner Loop Header: Depth=4
	buffer_load_dword v16, v10, s[0:3], 0 offen offset:8
	buffer_load_dword v17, v10, s[0:3], 0 offen offset:12
	buffer_load_dword v18, v10, s[0:3], 0 offen
	buffer_load_dword v19, v10, s[0:3], 0 offen offset:4
	v_mov_b32_e32 v11, s9
	ds_read_b128 v[12:15], v11
	s_add_i32 s8, s8, 1
	s_addk_i32 s9, 0xfe80
	v_add_u32_e32 v10, 16, v10
	s_cmp_ge_u32 s8, s26
	s_waitcnt vmcnt(2) lgkmcnt(0)
	v_mul_f64 v[20:21], v[14:15], v[16:17]
	v_mul_f64 v[16:17], v[12:13], v[16:17]
	s_waitcnt vmcnt(0)
	v_fma_f64 v[12:13], v[12:13], v[18:19], -v[20:21]
	v_fmac_f64_e32 v[16:17], v[14:15], v[18:19]
	v_add_f64 v[0:1], v[0:1], -v[12:13]
	v_add_f64 v[2:3], v[2:3], -v[16:17]
	buffer_store_dword v0, v7, s[0:3], 0 offen
	buffer_store_dword v1, v7, s[0:3], 0 offen offset:4
	buffer_store_dword v2, v7, s[0:3], 0 offen offset:8
	;; [unrolled: 1-line block ×3, first 2 shown]
	s_cbranch_scc0 .LBB225_54
; %bb.55:                               ;   in Loop: Header=BB225_52 Depth=3
	s_sub_i32 s10, s6, s26
	s_ashr_i32 s11, s10, 31
	s_mov_b64 s[8:9], s[10:11]
	s_branch .LBB225_51
.LBB225_56:                             ;   in Loop: Header=BB225_52 Depth=3
                                        ; implicit-def: $vgpr0_vgpr1
                                        ; implicit-def: $vgpr2_vgpr3
                                        ; implicit-def: $sgpr10
                                        ; implicit-def: $sgpr8_sgpr9
	s_cbranch_execz .LBB225_51
; %bb.57:                               ;   in Loop: Header=BB225_52 Depth=3
	buffer_load_dword v0, off, s[0:3], 0
	buffer_load_dword v1, off, s[0:3], 0 offset:4
	buffer_load_dword v2, off, s[0:3], 0 offset:8
	buffer_load_dword v3, off, s[0:3], 0 offset:12
	s_mov_b64 s[8:9], s[6:7]
	s_mov_b32 s10, s6
	s_branch .LBB225_51
.LBB225_58:
	s_endpgm
	.section	.rodata,"a",@progbits
	.p2align	6, 0x0
	.amdhsa_kernel _ZL30rocblas_trsm_small_left_deviceILi24ELi24ELb0E19rocblas_complex_numIdES1_PKS1_PS1_Ev13rocblas_fill_18rocblas_operation_17rocblas_diagonal_iiT3_T4_lilT5_lili
		.amdhsa_group_segment_fixed_size 9216
		.amdhsa_private_segment_fixed_size 400
		.amdhsa_kernarg_size 368
		.amdhsa_user_sgpr_count 8
		.amdhsa_user_sgpr_private_segment_buffer 1
		.amdhsa_user_sgpr_dispatch_ptr 0
		.amdhsa_user_sgpr_queue_ptr 0
		.amdhsa_user_sgpr_kernarg_segment_ptr 1
		.amdhsa_user_sgpr_dispatch_id 0
		.amdhsa_user_sgpr_flat_scratch_init 1
		.amdhsa_user_sgpr_kernarg_preload_length 0
		.amdhsa_user_sgpr_kernarg_preload_offset 0
		.amdhsa_user_sgpr_private_segment_size 0
		.amdhsa_uses_dynamic_stack 0
		.amdhsa_system_sgpr_private_segment_wavefront_offset 1
		.amdhsa_system_sgpr_workgroup_id_x 1
		.amdhsa_system_sgpr_workgroup_id_y 0
		.amdhsa_system_sgpr_workgroup_id_z 1
		.amdhsa_system_sgpr_workgroup_info 0
		.amdhsa_system_vgpr_workitem_id 0
		.amdhsa_next_free_vgpr 26
		.amdhsa_next_free_sgpr 42
		.amdhsa_accum_offset 28
		.amdhsa_reserve_vcc 1
		.amdhsa_reserve_flat_scratch 0
		.amdhsa_float_round_mode_32 0
		.amdhsa_float_round_mode_16_64 0
		.amdhsa_float_denorm_mode_32 3
		.amdhsa_float_denorm_mode_16_64 3
		.amdhsa_dx10_clamp 1
		.amdhsa_ieee_mode 1
		.amdhsa_fp16_overflow 0
		.amdhsa_tg_split 0
		.amdhsa_exception_fp_ieee_invalid_op 0
		.amdhsa_exception_fp_denorm_src 0
		.amdhsa_exception_fp_ieee_div_zero 0
		.amdhsa_exception_fp_ieee_overflow 0
		.amdhsa_exception_fp_ieee_underflow 0
		.amdhsa_exception_fp_ieee_inexact 0
		.amdhsa_exception_int_div_zero 0
	.end_amdhsa_kernel
	.section	.text._ZL30rocblas_trsm_small_left_deviceILi24ELi24ELb0E19rocblas_complex_numIdES1_PKS1_PS1_Ev13rocblas_fill_18rocblas_operation_17rocblas_diagonal_iiT3_T4_lilT5_lili,"axG",@progbits,_ZL30rocblas_trsm_small_left_deviceILi24ELi24ELb0E19rocblas_complex_numIdES1_PKS1_PS1_Ev13rocblas_fill_18rocblas_operation_17rocblas_diagonal_iiT3_T4_lilT5_lili,comdat
.Lfunc_end225:
	.size	_ZL30rocblas_trsm_small_left_deviceILi24ELi24ELb0E19rocblas_complex_numIdES1_PKS1_PS1_Ev13rocblas_fill_18rocblas_operation_17rocblas_diagonal_iiT3_T4_lilT5_lili, .Lfunc_end225-_ZL30rocblas_trsm_small_left_deviceILi24ELi24ELb0E19rocblas_complex_numIdES1_PKS1_PS1_Ev13rocblas_fill_18rocblas_operation_17rocblas_diagonal_iiT3_T4_lilT5_lili
                                        ; -- End function
	.section	.AMDGPU.csdata,"",@progbits
; Kernel info:
; codeLenInByte = 3284
; NumSgprs: 46
; NumVgprs: 26
; NumAgprs: 0
; TotalNumVgprs: 26
; ScratchSize: 400
; MemoryBound: 0
; FloatMode: 240
; IeeeMode: 1
; LDSByteSize: 9216 bytes/workgroup (compile time only)
; SGPRBlocks: 5
; VGPRBlocks: 3
; NumSGPRsForWavesPerEU: 46
; NumVGPRsForWavesPerEU: 26
; AccumOffset: 28
; Occupancy: 2
; WaveLimiterHint : 0
; COMPUTE_PGM_RSRC2:SCRATCH_EN: 1
; COMPUTE_PGM_RSRC2:USER_SGPR: 8
; COMPUTE_PGM_RSRC2:TRAP_HANDLER: 0
; COMPUTE_PGM_RSRC2:TGID_X_EN: 1
; COMPUTE_PGM_RSRC2:TGID_Y_EN: 0
; COMPUTE_PGM_RSRC2:TGID_Z_EN: 1
; COMPUTE_PGM_RSRC2:TIDIG_COMP_CNT: 0
; COMPUTE_PGM_RSRC3_GFX90A:ACCUM_OFFSET: 6
; COMPUTE_PGM_RSRC3_GFX90A:TG_SPLIT: 0
	.section	.text._ZL38rocblas_trsm_small_left_device_sharedBILi24ELi24ELb1E19rocblas_complex_numIdES1_PKS1_PS1_Ev13rocblas_fill_18rocblas_operation_17rocblas_diagonal_iiT3_T4_lilT5_lili,"axG",@progbits,_ZL38rocblas_trsm_small_left_device_sharedBILi24ELi24ELb1E19rocblas_complex_numIdES1_PKS1_PS1_Ev13rocblas_fill_18rocblas_operation_17rocblas_diagonal_iiT3_T4_lilT5_lili,comdat
	.globl	_ZL38rocblas_trsm_small_left_device_sharedBILi24ELi24ELb1E19rocblas_complex_numIdES1_PKS1_PS1_Ev13rocblas_fill_18rocblas_operation_17rocblas_diagonal_iiT3_T4_lilT5_lili ; -- Begin function _ZL38rocblas_trsm_small_left_device_sharedBILi24ELi24ELb1E19rocblas_complex_numIdES1_PKS1_PS1_Ev13rocblas_fill_18rocblas_operation_17rocblas_diagonal_iiT3_T4_lilT5_lili
	.p2align	8
	.type	_ZL38rocblas_trsm_small_left_device_sharedBILi24ELi24ELb1E19rocblas_complex_numIdES1_PKS1_PS1_Ev13rocblas_fill_18rocblas_operation_17rocblas_diagonal_iiT3_T4_lilT5_lili,@function
_ZL38rocblas_trsm_small_left_device_sharedBILi24ELi24ELb1E19rocblas_complex_numIdES1_PKS1_PS1_Ev13rocblas_fill_18rocblas_operation_17rocblas_diagonal_iiT3_T4_lilT5_lili: ; @_ZL38rocblas_trsm_small_left_device_sharedBILi24ELi24ELb1E19rocblas_complex_numIdES1_PKS1_PS1_Ev13rocblas_fill_18rocblas_operation_17rocblas_diagonal_iiT3_T4_lilT5_lili
; %bb.0:
	s_add_u32 s0, s0, s10
	s_load_dwordx4 s[24:27], s[4:5], 0x4
	s_load_dwordx8 s[12:19], s[4:5], 0x18
	s_load_dwordx4 s[20:23], s[4:5], 0x40
	s_load_dwordx2 s[10:11], s[4:5], 0x50
	s_load_dword s39, s[4:5], 0x70
	s_addc_u32 s1, s1, 0
	s_waitcnt lgkmcnt(0)
	s_min_i32 s33, s26, 24
	s_mov_b32 s40, 0
	s_add_i32 s38, s33, -1
	v_cmp_gt_i32_e32 vcc, s33, v0
	s_and_saveexec_b64 s[28:29], vcc
	s_cbranch_execz .LBB226_15
; %bb.1:
	s_load_dword s30, s[4:5], 0x38
	s_mul_i32 s41, s21, s9
	s_mul_hi_u32 s42, s20, s9
	s_mul_i32 s20, s20, s9
	s_waitcnt lgkmcnt(0)
	s_ashr_i32 s31, s30, 31
	s_cmpk_eq_i32 s24, 0x71
	s_cselect_b64 vcc, -1, 0
	s_cmp_lt_u32 s38, 3
	s_cbranch_scc1 .LBB226_4
; %bb.2:
	s_add_i32 s21, s42, s41
	s_and_b32 s40, s33, -4
	s_lshl_b64 s[6:7], s[20:21], 4
	s_lshl_b64 s[34:35], s[18:19], 4
	s_add_u32 s6, s6, s34
	s_addc_u32 s7, s7, s35
	s_add_u32 s6, s16, s6
	v_lshlrev_b32_e32 v2, 4, v0
	s_addc_u32 s7, s17, s7
	v_mov_b32_e32 v3, s7
	v_add_co_u32_e64 v2, s[6:7], s6, v2
	v_addc_co_u32_e64 v3, s[6:7], 0, v3, s[6:7]
	v_add_co_u32_e64 v2, s[6:7], 8, v2
	s_lshl_b64 s[34:35], s[30:31], 6
	s_lshl_b64 s[36:37], s[30:31], 4
	v_lshlrev_b32_e32 v1, 4, v0
	v_addc_co_u32_e64 v3, s[6:7], 0, v3, s[6:7]
	s_mov_b32 s21, 0
	v_mov_b32_e32 v4, s37
	v_mov_b32_e32 v5, s35
.LBB226_3:                              ; =>This Inner Loop Header: Depth=1
	v_add_co_u32_e64 v18, s[6:7], s36, v2
	v_addc_co_u32_e64 v19, s[6:7], v3, v4, s[6:7]
	v_add_co_u32_e64 v20, s[6:7], s36, v18
	global_load_dwordx4 v[6:9], v[2:3], off offset:-8
	v_addc_co_u32_e64 v21, s[6:7], v19, v4, s[6:7]
	global_load_dwordx4 v[10:13], v[18:19], off offset:-8
	global_load_dwordx4 v[14:17], v[20:21], off offset:-8
	v_add_co_u32_e64 v18, s[6:7], s36, v20
	v_addc_co_u32_e64 v19, s[6:7], v21, v4, s[6:7]
	global_load_dwordx4 v[18:21], v[18:19], off offset:-8
	s_add_i32 s21, s21, 4
	v_add_co_u32_e64 v2, s[6:7], s34, v2
	s_cmp_eq_u32 s40, s21
	v_addc_co_u32_e64 v3, s[6:7], v3, v5, s[6:7]
	s_waitcnt vmcnt(3)
	v_xor_b32_e32 v22, 0x80000000, v9
	v_cndmask_b32_e32 v9, v9, v22, vcc
	ds_write_b128 v1, v[6:9]
	s_waitcnt vmcnt(1)
	v_xor_b32_e32 v6, 0x80000000, v17
	v_xor_b32_e32 v22, 0x80000000, v13
	v_cndmask_b32_e32 v17, v17, v6, vcc
	v_cndmask_b32_e32 v13, v13, v22, vcc
	ds_write_b128 v1, v[10:13] offset:384
	s_waitcnt vmcnt(0)
	v_xor_b32_e32 v6, 0x80000000, v21
	v_cndmask_b32_e32 v21, v21, v6, vcc
	ds_write_b128 v1, v[14:17] offset:768
	ds_write_b128 v1, v[18:21] offset:1152
	v_add_u32_e32 v1, 0x600, v1
	s_cbranch_scc0 .LBB226_3
.LBB226_4:
	s_and_b32 s34, s33, 3
	s_cmp_eq_u32 s34, 0
	s_cbranch_scc1 .LBB226_7
; %bb.5:
	s_mul_i32 s6, s40, 0x180
	s_add_i32 s21, s42, s41
	v_lshl_add_u32 v1, v0, 4, s6
	s_lshl_b64 s[6:7], s[20:21], 4
	s_mul_i32 s20, s31, s40
	s_mul_hi_u32 s21, s30, s40
	s_add_i32 s21, s21, s20
	s_mul_i32 s20, s30, s40
	s_lshl_b64 s[20:21], s[20:21], 4
	s_add_u32 s20, s6, s20
	s_addc_u32 s21, s7, s21
	s_lshl_b64 s[6:7], s[18:19], 4
	s_add_u32 s6, s20, s6
	s_addc_u32 s7, s21, s7
	s_add_u32 s6, s16, s6
	v_lshlrev_b32_e32 v2, 4, v0
	s_addc_u32 s7, s17, s7
	v_mov_b32_e32 v3, s7
	v_add_co_u32_e64 v2, s[6:7], s6, v2
	v_addc_co_u32_e64 v3, s[6:7], 0, v3, s[6:7]
	v_add_co_u32_e64 v2, s[6:7], 8, v2
	s_lshl_b64 s[16:17], s[30:31], 4
	v_addc_co_u32_e64 v3, s[6:7], 0, v3, s[6:7]
	v_mov_b32_e32 v4, s17
.LBB226_6:                              ; =>This Inner Loop Header: Depth=1
	global_load_dwordx4 v[6:9], v[2:3], off offset:-8
	v_add_co_u32_e64 v2, s[6:7], s16, v2
	s_add_i32 s34, s34, -1
	v_addc_co_u32_e64 v3, s[6:7], v3, v4, s[6:7]
	s_cmp_lg_u32 s34, 0
	s_waitcnt vmcnt(0)
	v_xor_b32_e32 v5, 0x80000000, v9
	v_cndmask_b32_e32 v9, v9, v5, vcc
	ds_write_b128 v1, v[6:9]
	v_add_u32_e32 v1, 0x180, v1
	s_cbranch_scc1 .LBB226_6
.LBB226_7:
	v_mul_u32_u24_e32 v1, 25, v0
	s_cmpk_lg_i32 s25, 0x84
	v_lshlrev_b32_e32 v1, 4, v1
	s_cbranch_scc0 .LBB226_13
; %bb.8:
	ds_read_b128 v[2:5], v1
	s_waitcnt lgkmcnt(0)
	v_xor_b32_e32 v7, 0x80000000, v3
	v_cmp_gt_f64_e32 vcc, 0, v[2:3]
	v_xor_b32_e32 v8, 0x80000000, v5
	v_cndmask_b32_e32 v7, v3, v7, vcc
	v_cmp_gt_f64_e32 vcc, 0, v[4:5]
	v_mov_b32_e32 v6, v2
	v_cndmask_b32_e32 v9, v5, v8, vcc
	v_mov_b32_e32 v8, v4
	v_cmp_ngt_f64_e32 vcc, v[6:7], v[8:9]
                                        ; implicit-def: $vgpr8_vgpr9
	s_and_saveexec_b64 s[6:7], vcc
	s_xor_b64 s[6:7], exec, s[6:7]
	s_cbranch_execz .LBB226_10
; %bb.9:
	v_div_scale_f64 v[6:7], s[16:17], v[4:5], v[4:5], v[2:3]
	v_rcp_f64_e32 v[8:9], v[6:7]
	v_div_scale_f64 v[10:11], vcc, v[2:3], v[4:5], v[2:3]
	v_fma_f64 v[12:13], -v[6:7], v[8:9], 1.0
	v_fmac_f64_e32 v[8:9], v[8:9], v[12:13]
	v_fma_f64 v[12:13], -v[6:7], v[8:9], 1.0
	v_fmac_f64_e32 v[8:9], v[8:9], v[12:13]
	v_mul_f64 v[12:13], v[10:11], v[8:9]
	v_fma_f64 v[6:7], -v[6:7], v[12:13], v[10:11]
	v_div_fmas_f64 v[6:7], v[6:7], v[8:9], v[12:13]
	v_div_fixup_f64 v[8:9], v[6:7], v[4:5], v[2:3]
	v_fmac_f64_e32 v[4:5], v[2:3], v[8:9]
	v_div_scale_f64 v[2:3], s[16:17], v[4:5], v[4:5], 1.0
	v_rcp_f64_e32 v[6:7], v[2:3]
	v_fma_f64 v[10:11], -v[2:3], v[6:7], 1.0
	v_fmac_f64_e32 v[6:7], v[6:7], v[10:11]
	v_fma_f64 v[10:11], -v[2:3], v[6:7], 1.0
	v_fmac_f64_e32 v[6:7], v[6:7], v[10:11]
	v_div_scale_f64 v[10:11], vcc, 1.0, v[4:5], 1.0
	v_mul_f64 v[12:13], v[10:11], v[6:7]
	v_fma_f64 v[2:3], -v[2:3], v[12:13], v[10:11]
	s_nop 1
	v_div_fmas_f64 v[2:3], v[2:3], v[6:7], v[12:13]
	v_div_fixup_f64 v[2:3], v[2:3], v[4:5], 1.0
	v_add_f64 v[4:5], v[8:9], 0
	v_mul_f64 v[6:7], v[4:5], v[2:3]
	v_fma_f64 v[4:5], v[8:9], 0, -1.0
	v_mul_f64 v[8:9], v[4:5], v[2:3]
                                        ; implicit-def: $vgpr2_vgpr3
.LBB226_10:
	s_andn2_saveexec_b64 s[6:7], s[6:7]
	s_cbranch_execz .LBB226_12
; %bb.11:
	v_div_scale_f64 v[6:7], s[16:17], v[2:3], v[2:3], v[4:5]
	v_rcp_f64_e32 v[8:9], v[6:7]
	v_div_scale_f64 v[10:11], vcc, v[4:5], v[2:3], v[4:5]
	v_fma_f64 v[12:13], -v[6:7], v[8:9], 1.0
	v_fmac_f64_e32 v[8:9], v[8:9], v[12:13]
	v_fma_f64 v[12:13], -v[6:7], v[8:9], 1.0
	v_fmac_f64_e32 v[8:9], v[8:9], v[12:13]
	v_mul_f64 v[12:13], v[10:11], v[8:9]
	v_fma_f64 v[6:7], -v[6:7], v[12:13], v[10:11]
	v_div_fmas_f64 v[6:7], v[6:7], v[8:9], v[12:13]
	v_div_fixup_f64 v[8:9], v[6:7], v[2:3], v[4:5]
	v_fmac_f64_e32 v[2:3], v[4:5], v[8:9]
	v_div_scale_f64 v[4:5], s[16:17], v[2:3], v[2:3], 1.0
	v_rcp_f64_e32 v[6:7], v[4:5]
	v_fma_f64 v[10:11], -v[4:5], v[6:7], 1.0
	v_fmac_f64_e32 v[6:7], v[6:7], v[10:11]
	v_fma_f64 v[10:11], -v[4:5], v[6:7], 1.0
	v_fmac_f64_e32 v[6:7], v[6:7], v[10:11]
	v_div_scale_f64 v[10:11], vcc, 1.0, v[2:3], 1.0
	v_mul_f64 v[12:13], v[10:11], v[6:7]
	v_fma_f64 v[4:5], -v[4:5], v[12:13], v[10:11]
	s_nop 1
	v_div_fmas_f64 v[4:5], v[4:5], v[6:7], v[12:13]
	v_div_fixup_f64 v[2:3], v[4:5], v[2:3], 1.0
	v_fma_f64 v[4:5], v[8:9], 0, 1.0
	v_mul_f64 v[6:7], v[4:5], v[2:3]
	v_add_f64 v[4:5], -v[8:9], 0
	v_mul_f64 v[8:9], v[4:5], v[2:3]
.LBB226_12:
	s_or_b64 exec, exec, s[6:7]
	s_branch .LBB226_14
.LBB226_13:
	v_mov_b32_e32 v6, 0
	v_mov_b32_e32 v7, 0x3ff00000
	v_pk_mov_b32 v[8:9], 0, 0
.LBB226_14:
	ds_write_b128 v1, v[6:9]
.LBB226_15:
	s_or_b64 exec, exec, s[28:29]
	s_load_dword s25, s[4:5], 0x58
	s_load_dwordx2 s[6:7], s[4:5], 0x60
	s_waitcnt lgkmcnt(0)
	s_ashr_i32 s28, s25, 31
	s_mul_i32 s5, s9, s7
	s_mul_hi_u32 s7, s9, s6
	s_mul_i32 s4, s9, s6
	s_add_i32 s5, s7, s5
	s_lshl_b64 s[4:5], s[4:5], 4
	s_add_u32 s9, s22, s4
	s_addc_u32 s16, s23, s5
	s_lshl_b64 s[6:7], s[10:11], 4
	s_add_u32 s17, s9, s6
	s_mul_i32 s9, s8, 0xffffffe8
	s_addc_u32 s16, s16, s7
	s_add_i32 s39, s39, -1
	s_add_i32 s9, s9, s27
	s_cmp_ge_u32 s8, s39
	s_mul_i32 s8, s8, 24
	s_mul_hi_i32 s11, s25, s8
	s_mul_i32 s10, s25, s8
	s_cselect_b32 s18, s9, 24
	s_ashr_i32 s9, s8, 31
	s_lshl_b64 s[10:11], s[10:11], 4
	s_add_u32 s27, s17, s10
	s_addc_u32 s29, s16, s11
	s_cmp_gt_i32 s26, 0
	v_cmp_gt_i32_e32 vcc, s18, v0
	s_cselect_b64 s[10:11], -1, 0
	s_mov_b32 s18, 0
	s_and_b64 s[10:11], vcc, s[10:11]
	s_and_saveexec_b64 s[16:17], s[10:11]
	s_cbranch_execz .LBB226_22
; %bb.16:
	s_cmp_lt_i32 s26, 8
	s_cbranch_scc1 .LBB226_19
; %bb.17:
	v_mad_i64_i32 v[2:3], s[18:19], s25, v0, 0
	v_lshlrev_b64 v[2:3], 4, v[2:3]
	v_mov_b32_e32 v4, s29
	v_add_co_u32_e32 v1, vcc, s27, v2
	v_addc_co_u32_e32 v2, vcc, v4, v3, vcc
	v_mov_b32_e32 v3, 0x2400
	s_lshl_b32 s18, s33, 4
	v_lshl_or_b32 v3, v0, 4, v3
	s_and_b32 s19, s18, 0x180
	s_mov_b32 s18, 0
	s_mov_b64 s[20:21], 0
.LBB226_18:                             ; =>This Inner Loop Header: Depth=1
	v_mov_b32_e32 v4, s21
	v_add_co_u32_e32 v36, vcc, s20, v1
	v_addc_co_u32_e32 v37, vcc, v2, v4, vcc
	global_load_dwordx4 v[4:7], v[36:37], off
	global_load_dwordx4 v[8:11], v[36:37], off offset:16
	global_load_dwordx4 v[12:15], v[36:37], off offset:32
	;; [unrolled: 1-line block ×7, first 2 shown]
	s_add_i32 s18, s18, 8
	s_add_u32 s20, s20, 0x80
	s_addc_u32 s21, s21, 0
	s_cmp_lg_u32 s19, s20
	s_waitcnt vmcnt(7)
	v_mul_f64 v[38:39], s[14:15], v[6:7]
	v_mul_f64 v[36:37], s[12:13], v[6:7]
	s_waitcnt vmcnt(6)
	v_mul_f64 v[40:41], s[14:15], v[10:11]
	v_mul_f64 v[6:7], s[12:13], v[10:11]
	;; [unrolled: 3-line block ×8, first 2 shown]
	v_fma_f64 v[34:35], s[12:13], v[4:5], -v[38:39]
	v_fmac_f64_e32 v[36:37], s[14:15], v[4:5]
	v_fma_f64 v[4:5], s[12:13], v[8:9], -v[40:41]
	v_fmac_f64_e32 v[6:7], s[14:15], v[8:9]
	;; [unrolled: 2-line block ×8, first 2 shown]
	ds_write_b128 v3, v[34:37]
	ds_write_b128 v3, v[4:7] offset:384
	ds_write_b128 v3, v[8:11] offset:768
	;; [unrolled: 1-line block ×7, first 2 shown]
	v_add_u32_e32 v3, 0xc00, v3
	s_cbranch_scc1 .LBB226_18
.LBB226_19:
	s_and_b32 s20, s33, 7
	s_cmp_eq_u32 s20, 0
	s_mov_b32 s19, 0
	s_cbranch_scc1 .LBB226_22
; %bb.20:
	s_mul_i32 s21, s18, 0x180
	s_lshl_b64 s[30:31], s[8:9], 4
	s_lshl_b64 s[18:19], s[18:19], 4
	s_add_u32 s18, s22, s18
	s_addc_u32 s19, s23, s19
	s_add_u32 s18, s18, s6
	s_addc_u32 s19, s19, s7
	v_lshlrev_b32_e32 v2, 4, v0
	s_add_u32 s18, s18, s4
	v_mov_b32_e32 v3, s31
	v_add_co_u32_e32 v4, vcc, s30, v2
	s_addc_u32 s19, s19, s5
	v_addc_co_u32_e32 v5, vcc, 0, v3, vcc
	v_pk_mov_b32 v[2:3], s[18:19], s[18:19] op_sel:[0,1]
	v_mad_u64_u32 v[2:3], s[18:19], v4, s25, v[2:3]
	v_mul_lo_u32 v4, v4, s28
	v_mul_lo_u32 v5, v5, s25
	v_lshl_add_u32 v1, v0, 4, s21
	v_add3_u32 v3, v5, v3, v4
	v_add_co_u32_e32 v2, vcc, 8, v2
	v_add_u32_e32 v1, 0x2400, v1
	v_addc_co_u32_e32 v3, vcc, 0, v3, vcc
.LBB226_21:                             ; =>This Inner Loop Header: Depth=1
	global_load_dwordx4 v[4:7], v[2:3], off offset:-8
	v_add_co_u32_e32 v2, vcc, 16, v2
	s_add_i32 s20, s20, -1
	v_addc_co_u32_e32 v3, vcc, 0, v3, vcc
	s_cmp_lg_u32 s20, 0
	s_waitcnt vmcnt(0)
	v_mul_f64 v[10:11], s[14:15], v[6:7]
	v_mul_f64 v[8:9], s[12:13], v[6:7]
	v_fma_f64 v[6:7], s[12:13], v[4:5], -v[10:11]
	v_fmac_f64_e32 v[8:9], s[14:15], v[4:5]
	ds_write_b128 v1, v[6:9]
	v_add_u32_e32 v1, 0x180, v1
	s_cbranch_scc1 .LBB226_21
.LBB226_22:
	s_or_b64 exec, exec, s[16:17]
	s_cmpk_eq_i32 s24, 0x6f
	s_mov_b64 s[12:13], -1
	s_waitcnt lgkmcnt(0)
	; wave barrier
	s_waitcnt lgkmcnt(0)
	s_cbranch_scc1 .LBB226_43
; %bb.23:
	v_mov_b32_e32 v1, 0x2400
	s_lshl_b32 s16, s33, 4
	s_mov_b32 s13, 0
	v_lshl_or_b32 v1, v0, 4, v1
	s_add_i32 s16, s16, -16
	v_mov_b32_e32 v6, 0
	s_mov_b32 s12, s13
	s_mov_b32 s17, s38
	s_branch .LBB226_25
.LBB226_24:                             ;   in Loop: Header=BB226_25 Depth=1
	s_cmp_lt_i32 s17, 0
	s_cselect_b64 s[14:15], -1, 0
	s_add_i32 s12, s12, 1
	s_cmp_eq_u32 s12, 3
	s_cselect_b64 s[18:19], -1, 0
	s_or_b64 s[14:15], s[14:15], s[18:19]
	s_andn2_b64 vcc, exec, s[14:15]
	s_cbranch_vccz .LBB226_42
.LBB226_25:                             ; =>This Loop Header: Depth=1
                                        ;     Child Loop BB226_28 Depth 2
                                        ;       Child Loop BB226_29 Depth 3
                                        ;       Child Loop BB226_31 Depth 3
                                        ;         Child Loop BB226_32 Depth 4
                                        ;       Child Loop BB226_36 Depth 3
                                        ;         Child Loop BB226_38 Depth 4
	s_lshl_b64 s[14:15], s[12:13], 2
	s_getpc_b64 s[18:19]
	s_add_u32 s18, s18, __const._ZL38rocblas_trsm_small_left_device_sharedBILi24ELi24ELb1E19rocblas_complex_numIdES1_PKS1_PS1_Ev13rocblas_fill_18rocblas_operation_17rocblas_diagonal_iiT3_T4_lilT5_lili.step_sizes@rel32@lo+4
	s_addc_u32 s19, s19, __const._ZL38rocblas_trsm_small_left_device_sharedBILi24ELi24ELb1E19rocblas_complex_numIdES1_PKS1_PS1_Ev13rocblas_fill_18rocblas_operation_17rocblas_diagonal_iiT3_T4_lilT5_lili.step_sizes@rel32@hi+12
	s_add_u32 s14, s14, s18
	s_addc_u32 s15, s15, s19
	s_load_dword s18, s[14:15], 0x0
	s_waitcnt lgkmcnt(0)
	s_add_i32 s19, s18, -1
	s_cmp_lt_i32 s17, s19
	s_cbranch_scc1 .LBB226_24
; %bb.26:                               ;   in Loop: Header=BB226_25 Depth=1
	s_mul_i32 s14, s17, 0x180
	s_max_i32 s20, s18, 1
	v_add_u32_e32 v7, s14, v1
	s_mul_i32 s21, s18, 0xfffffe80
	s_add_i32 s24, s16, s14
	s_mul_i32 s30, s17, 0x190
	s_mul_i32 s31, s18, 0xfffffe70
	s_branch .LBB226_28
.LBB226_27:                             ;   in Loop: Header=BB226_28 Depth=2
	s_sub_i32 s17, s17, s18
	s_add_i32 s24, s24, s21
	s_add_i32 s30, s30, s31
	s_cmp_lt_i32 s17, s19
	v_add_u32_e32 v7, s21, v7
	s_cbranch_scc1 .LBB226_24
.LBB226_28:                             ;   Parent Loop BB226_25 Depth=1
                                        ; =>  This Loop Header: Depth=2
                                        ;       Child Loop BB226_29 Depth 3
                                        ;       Child Loop BB226_31 Depth 3
                                        ;         Child Loop BB226_32 Depth 4
                                        ;       Child Loop BB226_36 Depth 3
                                        ;         Child Loop BB226_38 Depth 4
	v_mov_b32_e32 v2, 0
	v_mov_b32_e32 v3, v7
	s_mov_b32 s14, s20
.LBB226_29:                             ;   Parent Loop BB226_25 Depth=1
                                        ;     Parent Loop BB226_28 Depth=2
                                        ; =>    This Inner Loop Header: Depth=3
	ds_read_b128 v[8:11], v3
	s_add_i32 s14, s14, -1
	v_add_u32_e32 v3, 0xfffffe80, v3
	s_cmp_eq_u32 s14, 0
	s_waitcnt lgkmcnt(0)
	buffer_store_dword v11, v2, s[0:3], 0 offen offset:12
	buffer_store_dword v10, v2, s[0:3], 0 offen offset:8
	;; [unrolled: 1-line block ×3, first 2 shown]
	buffer_store_dword v8, v2, s[0:3], 0 offen
	v_add_u32_e32 v2, 16, v2
	s_cbranch_scc0 .LBB226_29
; %bb.30:                               ;   in Loop: Header=BB226_28 Depth=2
	s_cmp_le_i32 s38, s17
	s_mov_b32 s14, s24
	s_mov_b32 s15, s38
	s_cbranch_scc1 .LBB226_34
.LBB226_31:                             ;   Parent Loop BB226_25 Depth=1
                                        ;     Parent Loop BB226_28 Depth=2
                                        ; =>    This Loop Header: Depth=3
                                        ;         Child Loop BB226_32 Depth 4
	s_mul_i32 s34, s15, 24
	v_add_lshl_u32 v2, s34, v0, 4
	ds_read_b128 v[2:5], v2 offset:9216
	v_mov_b32_e32 v8, 0
	s_mov_b32 s34, s14
	s_mov_b32 s35, s20
.LBB226_32:                             ;   Parent Loop BB226_25 Depth=1
                                        ;     Parent Loop BB226_28 Depth=2
                                        ;       Parent Loop BB226_31 Depth=3
                                        ; =>      This Inner Loop Header: Depth=4
	buffer_load_dword v14, v8, s[0:3], 0 offen
	buffer_load_dword v15, v8, s[0:3], 0 offen offset:4
	buffer_load_dword v16, v8, s[0:3], 0 offen offset:8
	;; [unrolled: 1-line block ×3, first 2 shown]
	v_mov_b32_e32 v9, s34
	ds_read_b128 v[10:13], v9
	s_add_i32 s35, s35, -1
	s_addk_i32 s34, 0xfe80
	s_cmp_eq_u32 s35, 0
	s_waitcnt lgkmcnt(0)
	v_mul_f64 v[18:19], v[4:5], v[12:13]
	v_mul_f64 v[12:13], v[2:3], v[12:13]
	v_fma_f64 v[18:19], v[2:3], v[10:11], -v[18:19]
	v_fmac_f64_e32 v[12:13], v[4:5], v[10:11]
	s_waitcnt vmcnt(2)
	v_add_f64 v[10:11], v[14:15], -v[18:19]
	s_waitcnt vmcnt(0)
	v_add_f64 v[12:13], v[16:17], -v[12:13]
	buffer_store_dword v10, v8, s[0:3], 0 offen
	buffer_store_dword v11, v8, s[0:3], 0 offen offset:4
	buffer_store_dword v12, v8, s[0:3], 0 offen offset:8
	;; [unrolled: 1-line block ×3, first 2 shown]
	v_add_u32_e32 v8, 16, v8
	s_cbranch_scc0 .LBB226_32
; %bb.33:                               ;   in Loop: Header=BB226_31 Depth=3
	s_add_i32 s15, s15, -1
	s_add_i32 s14, s14, -16
	s_cmp_le_i32 s15, s17
	s_cbranch_scc0 .LBB226_31
.LBB226_34:                             ;   in Loop: Header=BB226_28 Depth=2
	s_mul_i32 s34, s17, 24
	s_mov_b32 s35, 0
	s_mov_b32 s36, s30
	s_branch .LBB226_36
.LBB226_35:                             ;   in Loop: Header=BB226_36 Depth=3
	s_mul_i32 s14, s39, 0x190
	v_mov_b32_e32 v8, s14
	ds_read_b128 v[8:11], v8
	s_lshl_b32 s14, s35, 4
	s_add_i32 s35, s35, 1
	s_addk_i32 s36, 0xfe80
	v_add_u32_e32 v16, s14, v6
	s_waitcnt vmcnt(0) lgkmcnt(0)
	v_mul_f64 v[12:13], v[10:11], v[4:5]
	v_mul_f64 v[14:15], v[8:9], v[4:5]
	v_fma_f64 v[12:13], v[8:9], v[2:3], -v[12:13]
	v_fmac_f64_e32 v[14:15], v[10:11], v[2:3]
	v_add_lshl_u32 v2, s37, v0, 4
	s_cmp_eq_u32 s35, s20
	buffer_store_dword v13, v16, s[0:3], 0 offen offset:4
	buffer_store_dword v12, v16, s[0:3], 0 offen
	buffer_store_dword v15, v16, s[0:3], 0 offen offset:12
	buffer_store_dword v14, v16, s[0:3], 0 offen offset:8
	ds_write_b128 v2, v[12:15] offset:9216
	s_cbranch_scc1 .LBB226_27
.LBB226_36:                             ;   Parent Loop BB226_25 Depth=1
                                        ;     Parent Loop BB226_28 Depth=2
                                        ; =>    This Loop Header: Depth=3
                                        ;         Child Loop BB226_38 Depth 4
	s_cmp_lg_u32 s35, 0
	s_cbranch_scc0 .LBB226_40
; %bb.37:                               ;   in Loop: Header=BB226_36 Depth=3
	s_lshl_b32 s14, s35, 4
	v_add_u32_e32 v8, s14, v6
	buffer_load_dword v2, v8, s[0:3], 0 offen
	buffer_load_dword v3, v8, s[0:3], 0 offen offset:4
	buffer_load_dword v4, v8, s[0:3], 0 offen offset:8
	;; [unrolled: 1-line block ×3, first 2 shown]
	s_sub_i32 s39, s17, s35
	s_mul_i32 s37, s39, 24
	v_mov_b32_e32 v9, 0
	s_mov_b32 s14, 0
	s_mov_b32 s15, s36
.LBB226_38:                             ;   Parent Loop BB226_25 Depth=1
                                        ;     Parent Loop BB226_28 Depth=2
                                        ;       Parent Loop BB226_36 Depth=3
                                        ; =>      This Inner Loop Header: Depth=4
	buffer_load_dword v14, v9, s[0:3], 0 offen offset:8
	buffer_load_dword v15, v9, s[0:3], 0 offen offset:12
	buffer_load_dword v16, v9, s[0:3], 0 offen
	buffer_load_dword v17, v9, s[0:3], 0 offen offset:4
	v_mov_b32_e32 v10, s15
	ds_read_b128 v[10:13], v10
	s_add_i32 s14, s14, 1
	s_add_i32 s15, s15, -16
	v_add_u32_e32 v9, 16, v9
	s_cmp_ge_u32 s14, s35
	s_waitcnt vmcnt(2) lgkmcnt(0)
	v_mul_f64 v[18:19], v[12:13], v[14:15]
	v_mul_f64 v[14:15], v[10:11], v[14:15]
	s_waitcnt vmcnt(0)
	v_fma_f64 v[10:11], v[10:11], v[16:17], -v[18:19]
	v_fmac_f64_e32 v[14:15], v[12:13], v[16:17]
	v_add_f64 v[2:3], v[2:3], -v[10:11]
	v_add_f64 v[4:5], v[4:5], -v[14:15]
	buffer_store_dword v2, v8, s[0:3], 0 offen
	buffer_store_dword v3, v8, s[0:3], 0 offen offset:4
	buffer_store_dword v4, v8, s[0:3], 0 offen offset:8
	;; [unrolled: 1-line block ×3, first 2 shown]
	s_cbranch_scc0 .LBB226_38
; %bb.39:                               ;   in Loop: Header=BB226_36 Depth=3
	s_branch .LBB226_35
.LBB226_40:                             ;   in Loop: Header=BB226_36 Depth=3
                                        ; implicit-def: $vgpr2_vgpr3
                                        ; implicit-def: $vgpr4_vgpr5
                                        ; implicit-def: $sgpr39
                                        ; implicit-def: $sgpr37
	s_cbranch_execz .LBB226_35
; %bb.41:                               ;   in Loop: Header=BB226_36 Depth=3
	buffer_load_dword v2, off, s[0:3], 0
	buffer_load_dword v3, off, s[0:3], 0 offset:4
	buffer_load_dword v4, off, s[0:3], 0 offset:8
	;; [unrolled: 1-line block ×3, first 2 shown]
	s_mov_b32 s37, s34
	s_mov_b32 s39, s17
	s_branch .LBB226_35
.LBB226_42:
	s_mov_b64 s[12:13], 0
.LBB226_43:
	s_and_b64 vcc, exec, s[12:13]
	s_cbranch_vccz .LBB226_64
; %bb.44:
	v_mov_b32_e32 v1, 0x2400
	s_mov_b32 s13, 0
	v_lshl_or_b32 v1, v0, 4, v1
	v_mov_b32_e32 v6, 0
	s_mov_b32 s12, s13
	s_mov_b32 s16, s13
	s_branch .LBB226_46
.LBB226_45:                             ;   in Loop: Header=BB226_46 Depth=1
	s_cmp_ge_i32 s16, s33
	s_cselect_b64 s[14:15], -1, 0
	s_add_i32 s12, s12, 1
	s_cmp_eq_u32 s12, 3
	s_cselect_b64 s[18:19], -1, 0
	s_or_b64 s[14:15], s[14:15], s[18:19]
	s_and_b64 vcc, exec, s[14:15]
	s_cbranch_vccnz .LBB226_64
.LBB226_46:                             ; =>This Loop Header: Depth=1
                                        ;     Child Loop BB226_49 Depth 2
                                        ;       Child Loop BB226_50 Depth 3
                                        ;       Child Loop BB226_53 Depth 3
                                        ;         Child Loop BB226_54 Depth 4
                                        ;       Child Loop BB226_58 Depth 3
                                        ;         Child Loop BB226_60 Depth 4
	s_lshl_b64 s[14:15], s[12:13], 2
	s_getpc_b64 s[18:19]
	s_add_u32 s18, s18, __const._ZL38rocblas_trsm_small_left_device_sharedBILi24ELi24ELb1E19rocblas_complex_numIdES1_PKS1_PS1_Ev13rocblas_fill_18rocblas_operation_17rocblas_diagonal_iiT3_T4_lilT5_lili.step_sizes@rel32@lo+4
	s_addc_u32 s19, s19, __const._ZL38rocblas_trsm_small_left_device_sharedBILi24ELi24ELb1E19rocblas_complex_numIdES1_PKS1_PS1_Ev13rocblas_fill_18rocblas_operation_17rocblas_diagonal_iiT3_T4_lilT5_lili.step_sizes@rel32@hi+12
	s_add_u32 s14, s14, s18
	s_addc_u32 s15, s15, s19
	s_load_dword s17, s[14:15], 0x0
	s_waitcnt lgkmcnt(0)
	s_add_i32 s18, s17, -1
	s_add_i32 s14, s18, s16
	s_cmp_ge_i32 s14, s33
	s_cbranch_scc1 .LBB226_45
; %bb.47:                               ;   in Loop: Header=BB226_46 Depth=1
	s_mul_i32 s14, s16, 0x180
	s_max_i32 s19, s17, 1
	v_add_u32_e32 v7, s14, v1
	s_mul_i32 s20, s17, 0x180
	s_lshl_b32 s21, s16, 4
	s_lshl_b32 s24, s17, 4
	s_mul_i32 s30, s16, 0x190
	s_mul_i32 s31, s17, 0x190
	s_branch .LBB226_49
.LBB226_48:                             ;   in Loop: Header=BB226_49 Depth=2
	s_add_i32 s16, s16, s17
	s_add_i32 s14, s18, s16
	;; [unrolled: 1-line block ×4, first 2 shown]
	s_cmp_ge_i32 s14, s33
	v_add_u32_e32 v7, s20, v7
	s_cbranch_scc1 .LBB226_45
.LBB226_49:                             ;   Parent Loop BB226_46 Depth=1
                                        ; =>  This Loop Header: Depth=2
                                        ;       Child Loop BB226_50 Depth 3
                                        ;       Child Loop BB226_53 Depth 3
                                        ;         Child Loop BB226_54 Depth 4
                                        ;       Child Loop BB226_58 Depth 3
                                        ;         Child Loop BB226_60 Depth 4
	v_mov_b32_e32 v2, 0
	v_mov_b32_e32 v3, v7
	s_mov_b32 s14, s19
.LBB226_50:                             ;   Parent Loop BB226_46 Depth=1
                                        ;     Parent Loop BB226_49 Depth=2
                                        ; =>    This Inner Loop Header: Depth=3
	ds_read_b128 v[8:11], v3
	s_add_i32 s14, s14, -1
	v_add_u32_e32 v3, 0x180, v3
	s_cmp_eq_u32 s14, 0
	s_waitcnt lgkmcnt(0)
	buffer_store_dword v11, v2, s[0:3], 0 offen offset:12
	buffer_store_dword v10, v2, s[0:3], 0 offen offset:8
	;; [unrolled: 1-line block ×3, first 2 shown]
	buffer_store_dword v8, v2, s[0:3], 0 offen
	v_add_u32_e32 v2, 16, v2
	s_cbranch_scc0 .LBB226_50
; %bb.51:                               ;   in Loop: Header=BB226_49 Depth=2
	s_cmp_lt_i32 s16, 1
	s_cbranch_scc1 .LBB226_56
; %bb.52:                               ;   in Loop: Header=BB226_49 Depth=2
	s_mov_b32 s14, 0
	s_mov_b32 s15, s21
.LBB226_53:                             ;   Parent Loop BB226_46 Depth=1
                                        ;     Parent Loop BB226_49 Depth=2
                                        ; =>    This Loop Header: Depth=3
                                        ;         Child Loop BB226_54 Depth 4
	s_mul_i32 s34, s14, 24
	v_add_lshl_u32 v2, s34, v0, 4
	ds_read_b128 v[2:5], v2 offset:9216
	v_mov_b32_e32 v8, 0
	s_mov_b32 s34, s15
	s_mov_b32 s35, s19
.LBB226_54:                             ;   Parent Loop BB226_46 Depth=1
                                        ;     Parent Loop BB226_49 Depth=2
                                        ;       Parent Loop BB226_53 Depth=3
                                        ; =>      This Inner Loop Header: Depth=4
	buffer_load_dword v14, v8, s[0:3], 0 offen
	buffer_load_dword v15, v8, s[0:3], 0 offen offset:4
	buffer_load_dword v16, v8, s[0:3], 0 offen offset:8
	;; [unrolled: 1-line block ×3, first 2 shown]
	v_mov_b32_e32 v9, s34
	ds_read_b128 v[10:13], v9
	s_add_i32 s35, s35, -1
	s_add_i32 s34, s34, 16
	s_cmp_eq_u32 s35, 0
	s_waitcnt lgkmcnt(0)
	v_mul_f64 v[18:19], v[4:5], v[12:13]
	v_mul_f64 v[12:13], v[2:3], v[12:13]
	v_fma_f64 v[18:19], v[2:3], v[10:11], -v[18:19]
	v_fmac_f64_e32 v[12:13], v[4:5], v[10:11]
	s_waitcnt vmcnt(2)
	v_add_f64 v[10:11], v[14:15], -v[18:19]
	s_waitcnt vmcnt(0)
	v_add_f64 v[12:13], v[16:17], -v[12:13]
	buffer_store_dword v10, v8, s[0:3], 0 offen
	buffer_store_dword v11, v8, s[0:3], 0 offen offset:4
	buffer_store_dword v12, v8, s[0:3], 0 offen offset:8
	;; [unrolled: 1-line block ×3, first 2 shown]
	v_add_u32_e32 v8, 16, v8
	s_cbranch_scc0 .LBB226_54
; %bb.55:                               ;   in Loop: Header=BB226_53 Depth=3
	s_add_i32 s14, s14, 1
	s_addk_i32 s15, 0x180
	s_cmp_ge_i32 s14, s16
	s_cbranch_scc0 .LBB226_53
.LBB226_56:                             ;   in Loop: Header=BB226_49 Depth=2
	s_mov_b32 s34, 0
	s_mov_b32 s35, s30
	s_branch .LBB226_58
.LBB226_57:                             ;   in Loop: Header=BB226_58 Depth=3
	s_mul_i32 s14, s36, 0x190
	v_mov_b32_e32 v8, s14
	ds_read_b128 v[8:11], v8
	s_mul_i32 s14, s36, 24
	s_lshl_b32 s15, s34, 4
	s_add_i32 s34, s34, 1
	s_add_i32 s35, s35, 16
	s_waitcnt vmcnt(0) lgkmcnt(0)
	v_mul_f64 v[12:13], v[10:11], v[4:5]
	v_mul_f64 v[14:15], v[8:9], v[4:5]
	v_add_u32_e32 v16, s15, v6
	v_fma_f64 v[12:13], v[8:9], v[2:3], -v[12:13]
	v_fmac_f64_e32 v[14:15], v[10:11], v[2:3]
	v_add_lshl_u32 v2, s14, v0, 4
	s_cmp_eq_u32 s34, s19
	buffer_store_dword v13, v16, s[0:3], 0 offen offset:4
	buffer_store_dword v12, v16, s[0:3], 0 offen
	buffer_store_dword v15, v16, s[0:3], 0 offen offset:12
	buffer_store_dword v14, v16, s[0:3], 0 offen offset:8
	ds_write_b128 v2, v[12:15] offset:9216
	s_cbranch_scc1 .LBB226_48
.LBB226_58:                             ;   Parent Loop BB226_46 Depth=1
                                        ;     Parent Loop BB226_49 Depth=2
                                        ; =>    This Loop Header: Depth=3
                                        ;         Child Loop BB226_60 Depth 4
	s_cmp_lg_u32 s34, 0
	s_cbranch_scc0 .LBB226_62
; %bb.59:                               ;   in Loop: Header=BB226_58 Depth=3
	s_lshl_b32 s14, s34, 4
	v_add_u32_e32 v8, s14, v6
	buffer_load_dword v2, v8, s[0:3], 0 offen
	buffer_load_dword v3, v8, s[0:3], 0 offen offset:4
	buffer_load_dword v4, v8, s[0:3], 0 offen offset:8
	;; [unrolled: 1-line block ×3, first 2 shown]
	s_add_i32 s36, s34, s16
	v_mov_b32_e32 v9, 0
	s_mov_b32 s14, 0
	s_mov_b32 s15, s35
.LBB226_60:                             ;   Parent Loop BB226_46 Depth=1
                                        ;     Parent Loop BB226_49 Depth=2
                                        ;       Parent Loop BB226_58 Depth=3
                                        ; =>      This Inner Loop Header: Depth=4
	buffer_load_dword v14, v9, s[0:3], 0 offen offset:8
	buffer_load_dword v15, v9, s[0:3], 0 offen offset:12
	buffer_load_dword v16, v9, s[0:3], 0 offen
	buffer_load_dword v17, v9, s[0:3], 0 offen offset:4
	v_mov_b32_e32 v10, s15
	ds_read_b128 v[10:13], v10
	s_add_i32 s14, s14, 1
	s_addk_i32 s15, 0x180
	v_add_u32_e32 v9, 16, v9
	s_cmp_ge_u32 s14, s34
	s_waitcnt vmcnt(2) lgkmcnt(0)
	v_mul_f64 v[18:19], v[12:13], v[14:15]
	v_mul_f64 v[14:15], v[10:11], v[14:15]
	s_waitcnt vmcnt(0)
	v_fma_f64 v[10:11], v[10:11], v[16:17], -v[18:19]
	v_fmac_f64_e32 v[14:15], v[12:13], v[16:17]
	v_add_f64 v[2:3], v[2:3], -v[10:11]
	v_add_f64 v[4:5], v[4:5], -v[14:15]
	buffer_store_dword v2, v8, s[0:3], 0 offen
	buffer_store_dword v3, v8, s[0:3], 0 offen offset:4
	buffer_store_dword v4, v8, s[0:3], 0 offen offset:8
	;; [unrolled: 1-line block ×3, first 2 shown]
	s_cbranch_scc0 .LBB226_60
; %bb.61:                               ;   in Loop: Header=BB226_58 Depth=3
	s_branch .LBB226_57
.LBB226_62:                             ;   in Loop: Header=BB226_58 Depth=3
                                        ; implicit-def: $vgpr2_vgpr3
                                        ; implicit-def: $vgpr4_vgpr5
                                        ; implicit-def: $sgpr36
	s_cbranch_execz .LBB226_57
; %bb.63:                               ;   in Loop: Header=BB226_58 Depth=3
	buffer_load_dword v2, off, s[0:3], 0
	buffer_load_dword v3, off, s[0:3], 0 offset:4
	buffer_load_dword v4, off, s[0:3], 0 offset:8
	;; [unrolled: 1-line block ×3, first 2 shown]
	s_mov_b32 s36, s16
	s_branch .LBB226_57
.LBB226_64:
	s_waitcnt lgkmcnt(0)
	; wave barrier
	s_waitcnt lgkmcnt(0)
	s_and_saveexec_b64 s[12:13], s[10:11]
	s_cbranch_execz .LBB226_71
; %bb.65:
	s_cmp_lt_i32 s26, 8
	s_mov_b32 s10, 0
	s_cbranch_scc1 .LBB226_68
; %bb.66:
	v_mad_i64_i32 v[2:3], s[10:11], s25, v0, 0
	v_lshlrev_b64 v[2:3], 4, v[2:3]
	v_mov_b32_e32 v4, s29
	v_add_co_u32_e32 v1, vcc, s27, v2
	v_addc_co_u32_e32 v2, vcc, v4, v3, vcc
	v_mov_b32_e32 v3, 0x2400
	s_lshl_b32 s10, s33, 4
	v_lshl_or_b32 v3, v0, 4, v3
	s_and_b32 s11, s10, 0x180
	s_mov_b32 s10, 0
	s_mov_b64 s[12:13], 0
.LBB226_67:                             ; =>This Inner Loop Header: Depth=1
	v_mov_b32_e32 v28, s13
	v_add_u32_e32 v29, 0x900, v3
	v_add_u32_e32 v32, 0xa80, v3
	v_add_co_u32_e32 v36, vcc, s12, v1
	ds_read2_b64 v[4:7], v3 offset1:1
	ds_read2_b64 v[8:11], v3 offset0:48 offset1:49
	ds_read2_b64 v[12:15], v3 offset0:96 offset1:97
	ds_read2_b64 v[16:19], v3 offset0:144 offset1:145
	ds_read2_b64 v[20:23], v3 offset0:192 offset1:193
	ds_read2_b64 v[24:27], v3 offset0:240 offset1:241
	v_addc_co_u32_e32 v37, vcc, v2, v28, vcc
	ds_read2_b64 v[28:31], v29 offset1:1
	ds_read2_b64 v[32:35], v32 offset1:1
	s_add_i32 s10, s10, 8
	s_add_u32 s12, s12, 0x80
	s_addc_u32 s13, s13, 0
	v_add_u32_e32 v3, 0xc00, v3
	s_cmp_lg_u32 s11, s12
	s_waitcnt lgkmcnt(7)
	global_store_dwordx4 v[36:37], v[4:7], off
	s_waitcnt lgkmcnt(6)
	global_store_dwordx4 v[36:37], v[8:11], off offset:16
	s_waitcnt lgkmcnt(5)
	global_store_dwordx4 v[36:37], v[12:15], off offset:32
	;; [unrolled: 2-line block ×7, first 2 shown]
	s_cbranch_scc1 .LBB226_67
.LBB226_68:
	s_and_b32 s12, s33, 7
	s_cmp_eq_u32 s12, 0
	s_mov_b32 s11, 0
	s_cbranch_scc1 .LBB226_71
; %bb.69:
	s_lshl_b64 s[8:9], s[8:9], 4
	v_lshlrev_b32_e32 v1, 4, v0
	v_mov_b32_e32 v2, s9
	v_add_co_u32_e32 v1, vcc, s8, v1
	s_lshl_b64 s[8:9], s[10:11], 4
	s_add_u32 s8, s22, s8
	s_addc_u32 s9, s23, s9
	s_add_u32 s6, s8, s6
	s_addc_u32 s7, s9, s7
	;; [unrolled: 2-line block ×3, first 2 shown]
	v_addc_co_u32_e32 v4, vcc, 0, v2, vcc
	v_pk_mov_b32 v[2:3], s[4:5], s[4:5] op_sel:[0,1]
	v_mad_u64_u32 v[2:3], s[4:5], v1, s25, v[2:3]
	s_mul_i32 s4, s10, 0x180
	v_mul_lo_u32 v1, v1, s28
	v_mul_lo_u32 v4, v4, s25
	v_lshl_add_u32 v0, v0, 4, s4
	v_add3_u32 v3, v4, v3, v1
	v_add_u32_e32 v0, 0x2400, v0
.LBB226_70:                             ; =>This Inner Loop Header: Depth=1
	ds_read2_b64 v[4:7], v0 offset1:1
	s_add_i32 s12, s12, -1
	v_add_u32_e32 v0, 0x180, v0
	s_cmp_lg_u32 s12, 0
	s_waitcnt lgkmcnt(0)
	global_store_dwordx4 v[2:3], v[4:7], off
	v_add_co_u32_e32 v2, vcc, 16, v2
	v_addc_co_u32_e32 v3, vcc, 0, v3, vcc
	s_cbranch_scc1 .LBB226_70
.LBB226_71:
	s_endpgm
	.section	.rodata,"a",@progbits
	.p2align	6, 0x0
	.amdhsa_kernel _ZL38rocblas_trsm_small_left_device_sharedBILi24ELi24ELb1E19rocblas_complex_numIdES1_PKS1_PS1_Ev13rocblas_fill_18rocblas_operation_17rocblas_diagonal_iiT3_T4_lilT5_lili
		.amdhsa_group_segment_fixed_size 18432
		.amdhsa_private_segment_fixed_size 400
		.amdhsa_kernarg_size 368
		.amdhsa_user_sgpr_count 8
		.amdhsa_user_sgpr_private_segment_buffer 1
		.amdhsa_user_sgpr_dispatch_ptr 0
		.amdhsa_user_sgpr_queue_ptr 0
		.amdhsa_user_sgpr_kernarg_segment_ptr 1
		.amdhsa_user_sgpr_dispatch_id 0
		.amdhsa_user_sgpr_flat_scratch_init 1
		.amdhsa_user_sgpr_kernarg_preload_length 0
		.amdhsa_user_sgpr_kernarg_preload_offset 0
		.amdhsa_user_sgpr_private_segment_size 0
		.amdhsa_uses_dynamic_stack 0
		.amdhsa_system_sgpr_private_segment_wavefront_offset 1
		.amdhsa_system_sgpr_workgroup_id_x 1
		.amdhsa_system_sgpr_workgroup_id_y 0
		.amdhsa_system_sgpr_workgroup_id_z 1
		.amdhsa_system_sgpr_workgroup_info 0
		.amdhsa_system_vgpr_workitem_id 0
		.amdhsa_next_free_vgpr 54
		.amdhsa_next_free_sgpr 43
		.amdhsa_accum_offset 56
		.amdhsa_reserve_vcc 1
		.amdhsa_reserve_flat_scratch 0
		.amdhsa_float_round_mode_32 0
		.amdhsa_float_round_mode_16_64 0
		.amdhsa_float_denorm_mode_32 3
		.amdhsa_float_denorm_mode_16_64 3
		.amdhsa_dx10_clamp 1
		.amdhsa_ieee_mode 1
		.amdhsa_fp16_overflow 0
		.amdhsa_tg_split 0
		.amdhsa_exception_fp_ieee_invalid_op 0
		.amdhsa_exception_fp_denorm_src 0
		.amdhsa_exception_fp_ieee_div_zero 0
		.amdhsa_exception_fp_ieee_overflow 0
		.amdhsa_exception_fp_ieee_underflow 0
		.amdhsa_exception_fp_ieee_inexact 0
		.amdhsa_exception_int_div_zero 0
	.end_amdhsa_kernel
	.section	.text._ZL38rocblas_trsm_small_left_device_sharedBILi24ELi24ELb1E19rocblas_complex_numIdES1_PKS1_PS1_Ev13rocblas_fill_18rocblas_operation_17rocblas_diagonal_iiT3_T4_lilT5_lili,"axG",@progbits,_ZL38rocblas_trsm_small_left_device_sharedBILi24ELi24ELb1E19rocblas_complex_numIdES1_PKS1_PS1_Ev13rocblas_fill_18rocblas_operation_17rocblas_diagonal_iiT3_T4_lilT5_lili,comdat
.Lfunc_end226:
	.size	_ZL38rocblas_trsm_small_left_device_sharedBILi24ELi24ELb1E19rocblas_complex_numIdES1_PKS1_PS1_Ev13rocblas_fill_18rocblas_operation_17rocblas_diagonal_iiT3_T4_lilT5_lili, .Lfunc_end226-_ZL38rocblas_trsm_small_left_device_sharedBILi24ELi24ELb1E19rocblas_complex_numIdES1_PKS1_PS1_Ev13rocblas_fill_18rocblas_operation_17rocblas_diagonal_iiT3_T4_lilT5_lili
                                        ; -- End function
	.section	.AMDGPU.csdata,"",@progbits
; Kernel info:
; codeLenInByte = 4336
; NumSgprs: 47
; NumVgprs: 54
; NumAgprs: 0
; TotalNumVgprs: 54
; ScratchSize: 400
; MemoryBound: 0
; FloatMode: 240
; IeeeMode: 1
; LDSByteSize: 18432 bytes/workgroup (compile time only)
; SGPRBlocks: 5
; VGPRBlocks: 6
; NumSGPRsForWavesPerEU: 47
; NumVGPRsForWavesPerEU: 54
; AccumOffset: 56
; Occupancy: 1
; WaveLimiterHint : 0
; COMPUTE_PGM_RSRC2:SCRATCH_EN: 1
; COMPUTE_PGM_RSRC2:USER_SGPR: 8
; COMPUTE_PGM_RSRC2:TRAP_HANDLER: 0
; COMPUTE_PGM_RSRC2:TGID_X_EN: 1
; COMPUTE_PGM_RSRC2:TGID_Y_EN: 0
; COMPUTE_PGM_RSRC2:TGID_Z_EN: 1
; COMPUTE_PGM_RSRC2:TIDIG_COMP_CNT: 0
; COMPUTE_PGM_RSRC3_GFX90A:ACCUM_OFFSET: 13
; COMPUTE_PGM_RSRC3_GFX90A:TG_SPLIT: 0
	.section	.text._ZL30rocblas_trsm_small_left_deviceILi24ELi24ELb1E19rocblas_complex_numIdES1_PKS1_PS1_Ev13rocblas_fill_18rocblas_operation_17rocblas_diagonal_iiT3_T4_lilT5_lili,"axG",@progbits,_ZL30rocblas_trsm_small_left_deviceILi24ELi24ELb1E19rocblas_complex_numIdES1_PKS1_PS1_Ev13rocblas_fill_18rocblas_operation_17rocblas_diagonal_iiT3_T4_lilT5_lili,comdat
	.globl	_ZL30rocblas_trsm_small_left_deviceILi24ELi24ELb1E19rocblas_complex_numIdES1_PKS1_PS1_Ev13rocblas_fill_18rocblas_operation_17rocblas_diagonal_iiT3_T4_lilT5_lili ; -- Begin function _ZL30rocblas_trsm_small_left_deviceILi24ELi24ELb1E19rocblas_complex_numIdES1_PKS1_PS1_Ev13rocblas_fill_18rocblas_operation_17rocblas_diagonal_iiT3_T4_lilT5_lili
	.p2align	8
	.type	_ZL30rocblas_trsm_small_left_deviceILi24ELi24ELb1E19rocblas_complex_numIdES1_PKS1_PS1_Ev13rocblas_fill_18rocblas_operation_17rocblas_diagonal_iiT3_T4_lilT5_lili,@function
_ZL30rocblas_trsm_small_left_deviceILi24ELi24ELb1E19rocblas_complex_numIdES1_PKS1_PS1_Ev13rocblas_fill_18rocblas_operation_17rocblas_diagonal_iiT3_T4_lilT5_lili: ; @_ZL30rocblas_trsm_small_left_deviceILi24ELi24ELb1E19rocblas_complex_numIdES1_PKS1_PS1_Ev13rocblas_fill_18rocblas_operation_17rocblas_diagonal_iiT3_T4_lilT5_lili
; %bb.0:
	s_add_u32 s0, s0, s10
	s_load_dwordx4 s[24:27], s[4:5], 0x4
	s_load_dwordx8 s[12:19], s[4:5], 0x18
	s_load_dwordx4 s[20:23], s[4:5], 0x40
	s_load_dwordx2 s[10:11], s[4:5], 0x50
	s_load_dword s38, s[4:5], 0x70
	s_addc_u32 s1, s1, 0
	s_waitcnt lgkmcnt(0)
	s_min_i32 s26, s26, 24
	s_mov_b32 s39, 0
	s_add_i32 s33, s26, -1
	v_cmp_gt_i32_e32 vcc, s26, v0
	s_and_saveexec_b64 s[28:29], vcc
	s_cbranch_execz .LBB227_15
; %bb.1:
	s_load_dword s30, s[4:5], 0x38
	v_lshlrev_b32_e32 v1, 4, v0
	s_mul_i32 s40, s21, s9
	s_mul_hi_u32 s41, s20, s9
	s_mul_i32 s20, s20, s9
	s_waitcnt lgkmcnt(0)
	s_ashr_i32 s31, s30, 31
	s_cmpk_eq_i32 s24, 0x71
	s_cselect_b64 vcc, -1, 0
	s_cmp_lt_u32 s33, 3
	s_cbranch_scc1 .LBB227_4
; %bb.2:
	s_add_i32 s21, s41, s40
	s_and_b32 s39, s26, -4
	s_lshl_b64 s[6:7], s[20:21], 4
	s_lshl_b64 s[34:35], s[18:19], 4
	s_add_u32 s6, s6, s34
	s_addc_u32 s7, s7, s35
	s_add_u32 s6, s16, s6
	v_lshlrev_b32_e32 v2, 4, v0
	s_addc_u32 s7, s17, s7
	v_mov_b32_e32 v3, s7
	v_add_co_u32_e64 v2, s[6:7], s6, v2
	v_addc_co_u32_e64 v3, s[6:7], 0, v3, s[6:7]
	v_add_co_u32_e64 v2, s[6:7], 8, v2
	s_lshl_b64 s[34:35], s[30:31], 6
	s_lshl_b64 s[36:37], s[30:31], 4
	v_addc_co_u32_e64 v3, s[6:7], 0, v3, s[6:7]
	s_mov_b32 s21, 0
	v_mov_b32_e32 v4, s37
	v_mov_b32_e32 v5, s35
	;; [unrolled: 1-line block ×3, first 2 shown]
.LBB227_3:                              ; =>This Inner Loop Header: Depth=1
	v_add_co_u32_e64 v20, s[6:7], s36, v2
	v_addc_co_u32_e64 v21, s[6:7], v3, v4, s[6:7]
	v_add_co_u32_e64 v22, s[6:7], s36, v20
	global_load_dwordx4 v[8:11], v[2:3], off offset:-8
	v_addc_co_u32_e64 v23, s[6:7], v21, v4, s[6:7]
	global_load_dwordx4 v[12:15], v[20:21], off offset:-8
	global_load_dwordx4 v[16:19], v[22:23], off offset:-8
	v_add_co_u32_e64 v20, s[6:7], s36, v22
	v_addc_co_u32_e64 v21, s[6:7], v23, v4, s[6:7]
	global_load_dwordx4 v[20:23], v[20:21], off offset:-8
	s_add_i32 s21, s21, 4
	v_add_co_u32_e64 v2, s[6:7], s34, v2
	s_cmp_eq_u32 s39, s21
	v_addc_co_u32_e64 v3, s[6:7], v3, v5, s[6:7]
	s_waitcnt vmcnt(3)
	v_xor_b32_e32 v7, 0x80000000, v11
	v_cndmask_b32_e32 v11, v11, v7, vcc
	s_waitcnt vmcnt(2)
	v_xor_b32_e32 v7, 0x80000000, v15
	v_cndmask_b32_e32 v15, v15, v7, vcc
	;; [unrolled: 3-line block ×3, first 2 shown]
	ds_write_b128 v6, v[8:11]
	ds_write_b128 v6, v[12:15] offset:384
	s_waitcnt vmcnt(0)
	v_xor_b32_e32 v7, 0x80000000, v23
	v_cndmask_b32_e32 v23, v23, v7, vcc
	ds_write_b128 v6, v[16:19] offset:768
	ds_write_b128 v6, v[20:23] offset:1152
	v_add_u32_e32 v6, 0x600, v6
	s_cbranch_scc0 .LBB227_3
.LBB227_4:
	s_and_b32 s34, s26, 3
	s_cmp_eq_u32 s34, 0
	s_cbranch_scc1 .LBB227_7
; %bb.5:
	s_mul_i32 s6, s39, 0x180
	s_add_i32 s21, s41, s40
	v_lshl_add_u32 v4, v0, 4, s6
	s_lshl_b64 s[6:7], s[20:21], 4
	s_mul_i32 s20, s31, s39
	s_mul_hi_u32 s21, s30, s39
	s_add_i32 s21, s21, s20
	s_mul_i32 s20, s30, s39
	s_lshl_b64 s[20:21], s[20:21], 4
	s_add_u32 s20, s6, s20
	s_addc_u32 s21, s7, s21
	s_lshl_b64 s[6:7], s[18:19], 4
	s_add_u32 s6, s20, s6
	s_addc_u32 s7, s21, s7
	s_add_u32 s6, s16, s6
	s_addc_u32 s7, s17, s7
	v_mov_b32_e32 v2, s7
	v_add_co_u32_e64 v1, s[6:7], s6, v1
	v_addc_co_u32_e64 v3, s[6:7], 0, v2, s[6:7]
	v_add_co_u32_e64 v2, s[6:7], 8, v1
	s_lshl_b64 s[16:17], s[30:31], 4
	v_addc_co_u32_e64 v3, s[6:7], 0, v3, s[6:7]
	v_mov_b32_e32 v1, s17
.LBB227_6:                              ; =>This Inner Loop Header: Depth=1
	global_load_dwordx4 v[6:9], v[2:3], off offset:-8
	v_add_co_u32_e64 v2, s[6:7], s16, v2
	s_add_i32 s34, s34, -1
	v_addc_co_u32_e64 v3, s[6:7], v3, v1, s[6:7]
	s_cmp_lg_u32 s34, 0
	s_waitcnt vmcnt(0)
	v_xor_b32_e32 v5, 0x80000000, v9
	v_cndmask_b32_e32 v9, v9, v5, vcc
	ds_write_b128 v4, v[6:9]
	v_add_u32_e32 v4, 0x180, v4
	s_cbranch_scc1 .LBB227_6
.LBB227_7:
	v_mul_u32_u24_e32 v1, 25, v0
	s_cmpk_lg_i32 s25, 0x84
	v_lshlrev_b32_e32 v1, 4, v1
	s_cbranch_scc0 .LBB227_13
; %bb.8:
	ds_read_b128 v[2:5], v1
	s_waitcnt lgkmcnt(0)
	v_xor_b32_e32 v7, 0x80000000, v3
	v_cmp_gt_f64_e32 vcc, 0, v[2:3]
	v_xor_b32_e32 v8, 0x80000000, v5
	v_cndmask_b32_e32 v7, v3, v7, vcc
	v_cmp_gt_f64_e32 vcc, 0, v[4:5]
	v_mov_b32_e32 v6, v2
	v_cndmask_b32_e32 v9, v5, v8, vcc
	v_mov_b32_e32 v8, v4
	v_cmp_ngt_f64_e32 vcc, v[6:7], v[8:9]
                                        ; implicit-def: $vgpr8_vgpr9
	s_and_saveexec_b64 s[6:7], vcc
	s_xor_b64 s[6:7], exec, s[6:7]
	s_cbranch_execz .LBB227_10
; %bb.9:
	v_div_scale_f64 v[6:7], s[16:17], v[4:5], v[4:5], v[2:3]
	v_rcp_f64_e32 v[8:9], v[6:7]
	v_div_scale_f64 v[10:11], vcc, v[2:3], v[4:5], v[2:3]
	v_fma_f64 v[12:13], -v[6:7], v[8:9], 1.0
	v_fmac_f64_e32 v[8:9], v[8:9], v[12:13]
	v_fma_f64 v[12:13], -v[6:7], v[8:9], 1.0
	v_fmac_f64_e32 v[8:9], v[8:9], v[12:13]
	v_mul_f64 v[12:13], v[10:11], v[8:9]
	v_fma_f64 v[6:7], -v[6:7], v[12:13], v[10:11]
	v_div_fmas_f64 v[6:7], v[6:7], v[8:9], v[12:13]
	v_div_fixup_f64 v[8:9], v[6:7], v[4:5], v[2:3]
	v_fmac_f64_e32 v[4:5], v[2:3], v[8:9]
	v_div_scale_f64 v[2:3], s[16:17], v[4:5], v[4:5], 1.0
	v_rcp_f64_e32 v[6:7], v[2:3]
	v_fma_f64 v[10:11], -v[2:3], v[6:7], 1.0
	v_fmac_f64_e32 v[6:7], v[6:7], v[10:11]
	v_fma_f64 v[10:11], -v[2:3], v[6:7], 1.0
	v_fmac_f64_e32 v[6:7], v[6:7], v[10:11]
	v_div_scale_f64 v[10:11], vcc, 1.0, v[4:5], 1.0
	v_mul_f64 v[12:13], v[10:11], v[6:7]
	v_fma_f64 v[2:3], -v[2:3], v[12:13], v[10:11]
	s_nop 1
	v_div_fmas_f64 v[2:3], v[2:3], v[6:7], v[12:13]
	v_div_fixup_f64 v[2:3], v[2:3], v[4:5], 1.0
	v_add_f64 v[4:5], v[8:9], 0
	v_mul_f64 v[6:7], v[4:5], v[2:3]
	v_fma_f64 v[4:5], v[8:9], 0, -1.0
	v_mul_f64 v[8:9], v[4:5], v[2:3]
                                        ; implicit-def: $vgpr2_vgpr3
.LBB227_10:
	s_andn2_saveexec_b64 s[6:7], s[6:7]
	s_cbranch_execz .LBB227_12
; %bb.11:
	v_div_scale_f64 v[6:7], s[16:17], v[2:3], v[2:3], v[4:5]
	v_rcp_f64_e32 v[8:9], v[6:7]
	v_div_scale_f64 v[10:11], vcc, v[4:5], v[2:3], v[4:5]
	v_fma_f64 v[12:13], -v[6:7], v[8:9], 1.0
	v_fmac_f64_e32 v[8:9], v[8:9], v[12:13]
	v_fma_f64 v[12:13], -v[6:7], v[8:9], 1.0
	v_fmac_f64_e32 v[8:9], v[8:9], v[12:13]
	v_mul_f64 v[12:13], v[10:11], v[8:9]
	v_fma_f64 v[6:7], -v[6:7], v[12:13], v[10:11]
	v_div_fmas_f64 v[6:7], v[6:7], v[8:9], v[12:13]
	v_div_fixup_f64 v[8:9], v[6:7], v[2:3], v[4:5]
	v_fmac_f64_e32 v[2:3], v[4:5], v[8:9]
	v_div_scale_f64 v[4:5], s[16:17], v[2:3], v[2:3], 1.0
	v_rcp_f64_e32 v[6:7], v[4:5]
	v_fma_f64 v[10:11], -v[4:5], v[6:7], 1.0
	v_fmac_f64_e32 v[6:7], v[6:7], v[10:11]
	v_fma_f64 v[10:11], -v[4:5], v[6:7], 1.0
	v_fmac_f64_e32 v[6:7], v[6:7], v[10:11]
	v_div_scale_f64 v[10:11], vcc, 1.0, v[2:3], 1.0
	v_mul_f64 v[12:13], v[10:11], v[6:7]
	v_fma_f64 v[4:5], -v[4:5], v[12:13], v[10:11]
	s_nop 1
	v_div_fmas_f64 v[4:5], v[4:5], v[6:7], v[12:13]
	v_div_fixup_f64 v[2:3], v[4:5], v[2:3], 1.0
	v_fma_f64 v[4:5], v[8:9], 0, 1.0
	v_mul_f64 v[6:7], v[4:5], v[2:3]
	v_add_f64 v[4:5], -v[8:9], 0
	v_mul_f64 v[8:9], v[4:5], v[2:3]
.LBB227_12:
	s_or_b64 exec, exec, s[6:7]
	s_branch .LBB227_14
.LBB227_13:
	v_mov_b32_e32 v6, 0
	v_mov_b32_e32 v7, 0x3ff00000
	v_pk_mov_b32 v[8:9], 0, 0
.LBB227_14:
	ds_write_b128 v1, v[6:9]
.LBB227_15:
	s_or_b64 exec, exec, s[28:29]
	s_mul_i32 s6, s8, 0xffffffe8
	s_add_i32 s38, s38, -1
	s_add_i32 s6, s6, s27
	s_cmp_ge_u32 s8, s38
	s_cselect_b32 s6, s6, 24
	v_cmp_gt_i32_e32 vcc, s6, v0
	s_waitcnt lgkmcnt(0)
	; wave barrier
	s_waitcnt lgkmcnt(0)
	s_and_saveexec_b64 s[6:7], vcc
	s_cbranch_execz .LBB227_58
; %bb.16:
	s_load_dwordx2 s[6:7], s[4:5], 0x60
	s_load_dword s16, s[4:5], 0x58
	s_waitcnt lgkmcnt(0)
	s_mul_i32 s5, s9, s7
	s_mul_hi_u32 s7, s9, s6
	s_mul_i32 s4, s9, s6
	s_add_i32 s5, s7, s5
	s_lshl_b64 s[4:5], s[4:5], 4
	s_add_u32 s9, s22, s4
	s_addc_u32 s17, s23, s5
	s_lshl_b64 s[6:7], s[10:11], 4
	s_add_u32 s10, s9, s6
	v_mad_u64_u32 v[0:1], s[8:9], s8, 24, v[0:1]
	v_mad_i64_i32 v[0:1], s[8:9], s16, v0, 0
	s_addc_u32 s11, s17, s7
	v_lshlrev_b64 v[4:5], 4, v[0:1]
	v_mov_b32_e32 v0, s11
	v_add_co_u32_e32 v6, vcc, s10, v4
	v_addc_co_u32_e32 v7, vcc, v0, v5, vcc
	s_cmpk_eq_i32 s24, 0x6f
	s_mov_b64 s[8:9], -1
	s_cbranch_scc1 .LBB227_37
; %bb.17:
	s_add_u32 s8, s22, s6
	s_addc_u32 s9, s23, s7
	s_add_u32 s8, s8, s4
	s_addc_u32 s9, s9, s5
	v_mov_b32_e32 v0, s9
	v_add_co_u32_e32 v1, vcc, s8, v4
	v_addc_co_u32_e32 v0, vcc, v0, v5, vcc
	v_add_co_u32_e32 v8, vcc, 8, v1
	s_lshl_b32 s24, s26, 4
	s_mov_b32 s9, 0
	v_addc_co_u32_e32 v9, vcc, 0, v0, vcc
	s_add_i32 s24, s24, -16
	v_mov_b32_e32 v10, 0
	s_mov_b32 s8, s9
	s_mov_b32 s10, s33
	s_branch .LBB227_19
.LBB227_18:                             ;   in Loop: Header=BB227_19 Depth=1
	s_cmp_lt_i32 s10, 0
	s_cselect_b64 s[16:17], -1, 0
	s_add_i32 s8, s8, 1
	s_cmp_eq_u32 s8, 3
	s_cselect_b64 s[18:19], -1, 0
	s_or_b64 s[16:17], s[16:17], s[18:19]
	s_andn2_b64 vcc, exec, s[16:17]
	s_cbranch_vccz .LBB227_36
.LBB227_19:                             ; =>This Loop Header: Depth=1
                                        ;     Child Loop BB227_22 Depth 2
                                        ;       Child Loop BB227_23 Depth 3
                                        ;       Child Loop BB227_25 Depth 3
                                        ;         Child Loop BB227_26 Depth 4
                                        ;       Child Loop BB227_30 Depth 3
                                        ;         Child Loop BB227_32 Depth 4
	s_lshl_b64 s[16:17], s[8:9], 2
	s_getpc_b64 s[18:19]
	s_add_u32 s18, s18, __const._ZL30rocblas_trsm_small_left_deviceILi24ELi24ELb1E19rocblas_complex_numIdES1_PKS1_PS1_Ev13rocblas_fill_18rocblas_operation_17rocblas_diagonal_iiT3_T4_lilT5_lili.step_sizes@rel32@lo+4
	s_addc_u32 s19, s19, __const._ZL30rocblas_trsm_small_left_deviceILi24ELi24ELb1E19rocblas_complex_numIdES1_PKS1_PS1_Ev13rocblas_fill_18rocblas_operation_17rocblas_diagonal_iiT3_T4_lilT5_lili.step_sizes@rel32@hi+12
	s_add_u32 s16, s16, s18
	s_addc_u32 s17, s17, s19
	s_load_dword s25, s[16:17], 0x0
	s_waitcnt lgkmcnt(0)
	s_add_i32 s27, s25, -1
	s_cmp_lt_i32 s10, s27
	s_cbranch_scc1 .LBB227_18
; %bb.20:                               ;   in Loop: Header=BB227_19 Depth=1
	s_mul_i32 s11, s10, 0x180
	s_max_i32 s28, s25, 1
	s_add_i32 s29, s24, s11
	s_mul_i32 s30, s25, 0xfffffe80
	s_mul_i32 s31, s10, 0x190
	;; [unrolled: 1-line block ×3, first 2 shown]
	s_branch .LBB227_22
.LBB227_21:                             ;   in Loop: Header=BB227_22 Depth=2
	s_sub_i32 s10, s10, s25
	s_add_i32 s29, s29, s30
	s_add_i32 s31, s31, s34
	s_cmp_lt_i32 s10, s27
	s_cbranch_scc1 .LBB227_18
.LBB227_22:                             ;   Parent Loop BB227_19 Depth=1
                                        ; =>  This Loop Header: Depth=2
                                        ;       Child Loop BB227_23 Depth 3
                                        ;       Child Loop BB227_25 Depth 3
                                        ;         Child Loop BB227_26 Depth 4
                                        ;       Child Loop BB227_30 Depth 3
                                        ;         Child Loop BB227_32 Depth 4
	s_ashr_i32 s11, s10, 31
	s_lshl_b64 s[16:17], s[10:11], 4
	v_mov_b32_e32 v1, s17
	v_add_co_u32_e32 v0, vcc, s16, v8
	v_addc_co_u32_e32 v1, vcc, v9, v1, vcc
	v_mov_b32_e32 v2, 0
	s_mov_b32 s16, s28
.LBB227_23:                             ;   Parent Loop BB227_19 Depth=1
                                        ;     Parent Loop BB227_22 Depth=2
                                        ; =>    This Inner Loop Header: Depth=3
	global_load_dwordx4 v[12:15], v[0:1], off offset:-8
	s_add_i32 s16, s16, -1
	v_add_co_u32_e32 v0, vcc, -16, v0
	v_addc_co_u32_e32 v1, vcc, -1, v1, vcc
	s_cmp_eq_u32 s16, 0
	s_waitcnt vmcnt(0)
	v_mul_f64 v[16:17], s[14:15], v[14:15]
	v_mul_f64 v[14:15], s[12:13], v[14:15]
	v_fma_f64 v[16:17], s[12:13], v[12:13], -v[16:17]
	v_fmac_f64_e32 v[14:15], s[14:15], v[12:13]
	buffer_store_dword v17, v2, s[0:3], 0 offen offset:4
	buffer_store_dword v16, v2, s[0:3], 0 offen
	buffer_store_dword v15, v2, s[0:3], 0 offen offset:12
	buffer_store_dword v14, v2, s[0:3], 0 offen offset:8
	v_add_u32_e32 v2, 16, v2
	s_cbranch_scc0 .LBB227_23
; %bb.24:                               ;   in Loop: Header=BB227_22 Depth=2
	s_cmp_le_i32 s33, s10
	s_mov_b32 s18, s29
	s_mov_b32 s16, s33
	s_cbranch_scc1 .LBB227_28
.LBB227_25:                             ;   Parent Loop BB227_19 Depth=1
                                        ;     Parent Loop BB227_22 Depth=2
                                        ; =>    This Loop Header: Depth=3
                                        ;         Child Loop BB227_26 Depth 4
	s_ashr_i32 s17, s16, 31
	s_lshl_b64 s[20:21], s[16:17], 4
	v_mov_b32_e32 v1, s21
	v_add_co_u32_e32 v0, vcc, s20, v6
	v_addc_co_u32_e32 v1, vcc, v7, v1, vcc
	global_load_dwordx4 v[0:3], v[0:1], off
	v_mov_b32_e32 v11, 0
	s_mov_b32 s17, s18
	s_mov_b32 s19, s28
.LBB227_26:                             ;   Parent Loop BB227_19 Depth=1
                                        ;     Parent Loop BB227_22 Depth=2
                                        ;       Parent Loop BB227_25 Depth=3
                                        ; =>      This Inner Loop Header: Depth=4
	buffer_load_dword v16, v11, s[0:3], 0 offen
	buffer_load_dword v17, v11, s[0:3], 0 offen offset:4
	buffer_load_dword v18, v11, s[0:3], 0 offen offset:8
	;; [unrolled: 1-line block ×3, first 2 shown]
	v_mov_b32_e32 v12, s17
	ds_read_b128 v[12:15], v12
	s_add_i32 s19, s19, -1
	s_addk_i32 s17, 0xfe80
	s_cmp_eq_u32 s19, 0
	s_waitcnt vmcnt(4) lgkmcnt(0)
	v_mul_f64 v[20:21], v[2:3], v[14:15]
	v_mul_f64 v[14:15], v[0:1], v[14:15]
	v_fma_f64 v[20:21], v[0:1], v[12:13], -v[20:21]
	v_fmac_f64_e32 v[14:15], v[2:3], v[12:13]
	s_waitcnt vmcnt(2)
	v_add_f64 v[12:13], v[16:17], -v[20:21]
	s_waitcnt vmcnt(0)
	v_add_f64 v[14:15], v[18:19], -v[14:15]
	buffer_store_dword v12, v11, s[0:3], 0 offen
	buffer_store_dword v13, v11, s[0:3], 0 offen offset:4
	buffer_store_dword v14, v11, s[0:3], 0 offen offset:8
	;; [unrolled: 1-line block ×3, first 2 shown]
	v_add_u32_e32 v11, 16, v11
	s_cbranch_scc0 .LBB227_26
; %bb.27:                               ;   in Loop: Header=BB227_25 Depth=3
	s_add_i32 s16, s16, -1
	s_add_i32 s18, s18, -16
	s_cmp_le_i32 s16, s10
	s_cbranch_scc0 .LBB227_25
.LBB227_28:                             ;   in Loop: Header=BB227_22 Depth=2
	s_mov_b32 s35, 0
	s_mov_b32 s36, s31
	s_branch .LBB227_30
.LBB227_29:                             ;   in Loop: Header=BB227_30 Depth=3
	s_mulk_i32 s18, 0x190
	v_mov_b32_e32 v11, s18
	ds_read_b128 v[12:15], v11
	s_lshl_b64 s[16:17], s[16:17], 4
	s_lshl_b32 s18, s35, 4
	s_add_i32 s35, s35, 1
	s_addk_i32 s36, 0xfe80
	s_waitcnt vmcnt(0) lgkmcnt(0)
	v_mul_f64 v[16:17], v[14:15], v[2:3]
	v_mul_f64 v[18:19], v[12:13], v[2:3]
	v_fma_f64 v[16:17], v[12:13], v[0:1], -v[16:17]
	v_fmac_f64_e32 v[18:19], v[14:15], v[0:1]
	v_mov_b32_e32 v1, s17
	v_add_co_u32_e32 v0, vcc, s16, v6
	v_add_u32_e32 v11, s18, v10
	v_addc_co_u32_e32 v1, vcc, v7, v1, vcc
	s_cmp_eq_u32 s35, s28
	buffer_store_dword v17, v11, s[0:3], 0 offen offset:4
	buffer_store_dword v16, v11, s[0:3], 0 offen
	buffer_store_dword v19, v11, s[0:3], 0 offen offset:12
	buffer_store_dword v18, v11, s[0:3], 0 offen offset:8
	global_store_dwordx4 v[0:1], v[16:19], off
	s_cbranch_scc1 .LBB227_21
.LBB227_30:                             ;   Parent Loop BB227_19 Depth=1
                                        ;     Parent Loop BB227_22 Depth=2
                                        ; =>    This Loop Header: Depth=3
                                        ;         Child Loop BB227_32 Depth 4
	s_cmp_lg_u32 s35, 0
	s_cbranch_scc0 .LBB227_34
; %bb.31:                               ;   in Loop: Header=BB227_30 Depth=3
	s_lshl_b32 s16, s35, 4
	v_add_u32_e32 v11, s16, v10
	buffer_load_dword v0, v11, s[0:3], 0 offen
	buffer_load_dword v1, v11, s[0:3], 0 offen offset:4
	buffer_load_dword v2, v11, s[0:3], 0 offen offset:8
	;; [unrolled: 1-line block ×3, first 2 shown]
	v_mov_b32_e32 v12, 0
	s_mov_b32 s16, 0
	s_mov_b32 s17, s36
.LBB227_32:                             ;   Parent Loop BB227_19 Depth=1
                                        ;     Parent Loop BB227_22 Depth=2
                                        ;       Parent Loop BB227_30 Depth=3
                                        ; =>      This Inner Loop Header: Depth=4
	buffer_load_dword v18, v12, s[0:3], 0 offen offset:8
	buffer_load_dword v19, v12, s[0:3], 0 offen offset:12
	buffer_load_dword v20, v12, s[0:3], 0 offen
	buffer_load_dword v21, v12, s[0:3], 0 offen offset:4
	v_mov_b32_e32 v13, s17
	ds_read_b128 v[14:17], v13
	s_add_i32 s16, s16, 1
	s_add_i32 s17, s17, -16
	v_add_u32_e32 v12, 16, v12
	s_cmp_ge_u32 s16, s35
	s_waitcnt vmcnt(2) lgkmcnt(0)
	v_mul_f64 v[22:23], v[16:17], v[18:19]
	v_mul_f64 v[18:19], v[14:15], v[18:19]
	s_waitcnt vmcnt(0)
	v_fma_f64 v[14:15], v[14:15], v[20:21], -v[22:23]
	v_fmac_f64_e32 v[18:19], v[16:17], v[20:21]
	v_add_f64 v[0:1], v[0:1], -v[14:15]
	v_add_f64 v[2:3], v[2:3], -v[18:19]
	buffer_store_dword v0, v11, s[0:3], 0 offen
	buffer_store_dword v1, v11, s[0:3], 0 offen offset:4
	buffer_store_dword v2, v11, s[0:3], 0 offen offset:8
	;; [unrolled: 1-line block ×3, first 2 shown]
	s_cbranch_scc0 .LBB227_32
; %bb.33:                               ;   in Loop: Header=BB227_30 Depth=3
	s_sub_i32 s18, s10, s35
	s_ashr_i32 s19, s18, 31
	s_mov_b64 s[16:17], s[18:19]
	s_branch .LBB227_29
.LBB227_34:                             ;   in Loop: Header=BB227_30 Depth=3
                                        ; implicit-def: $vgpr0_vgpr1
                                        ; implicit-def: $vgpr2_vgpr3
                                        ; implicit-def: $sgpr18
                                        ; implicit-def: $sgpr16_sgpr17
	s_cbranch_execz .LBB227_29
; %bb.35:                               ;   in Loop: Header=BB227_30 Depth=3
	buffer_load_dword v0, off, s[0:3], 0
	buffer_load_dword v1, off, s[0:3], 0 offset:4
	buffer_load_dword v2, off, s[0:3], 0 offset:8
	;; [unrolled: 1-line block ×3, first 2 shown]
	s_mov_b64 s[16:17], s[10:11]
	s_mov_b32 s18, s10
	s_branch .LBB227_29
.LBB227_36:
	s_mov_b64 s[8:9], 0
.LBB227_37:
	s_and_b64 vcc, exec, s[8:9]
	s_cbranch_vccz .LBB227_58
; %bb.38:
	s_add_u32 s6, s22, s6
	s_addc_u32 s7, s23, s7
	s_add_u32 s4, s6, s4
	s_addc_u32 s5, s7, s5
	v_mov_b32_e32 v0, s5
	v_add_co_u32_e32 v1, vcc, s4, v4
	v_addc_co_u32_e32 v0, vcc, v0, v5, vcc
	v_add_co_u32_e32 v8, vcc, 8, v1
	s_mov_b32 s5, 0
	v_addc_co_u32_e32 v9, vcc, 0, v0, vcc
	v_mov_b32_e32 v10, 0
	s_mov_b32 s6, s5
	s_mov_b32 s8, s5
	s_branch .LBB227_40
.LBB227_39:                             ;   in Loop: Header=BB227_40 Depth=1
	s_cmp_ge_i32 s6, s26
	s_cselect_b64 s[10:11], -1, 0
	s_add_i32 s8, s8, 1
	s_cmp_eq_u32 s8, 3
	s_cselect_b64 s[16:17], -1, 0
	s_or_b64 s[10:11], s[10:11], s[16:17]
	s_and_b64 vcc, exec, s[10:11]
	s_cbranch_vccnz .LBB227_58
.LBB227_40:                             ; =>This Loop Header: Depth=1
                                        ;     Child Loop BB227_43 Depth 2
                                        ;       Child Loop BB227_44 Depth 3
                                        ;       Child Loop BB227_47 Depth 3
                                        ;         Child Loop BB227_48 Depth 4
                                        ;       Child Loop BB227_52 Depth 3
                                        ;         Child Loop BB227_54 Depth 4
	s_mov_b32 s9, s5
	s_lshl_b64 s[10:11], s[8:9], 2
	s_getpc_b64 s[16:17]
	s_add_u32 s16, s16, __const._ZL30rocblas_trsm_small_left_deviceILi24ELi24ELb1E19rocblas_complex_numIdES1_PKS1_PS1_Ev13rocblas_fill_18rocblas_operation_17rocblas_diagonal_iiT3_T4_lilT5_lili.step_sizes@rel32@lo+4
	s_addc_u32 s17, s17, __const._ZL30rocblas_trsm_small_left_deviceILi24ELi24ELb1E19rocblas_complex_numIdES1_PKS1_PS1_Ev13rocblas_fill_18rocblas_operation_17rocblas_diagonal_iiT3_T4_lilT5_lili.step_sizes@rel32@hi+12
	s_add_u32 s10, s10, s16
	s_addc_u32 s11, s11, s17
	s_load_dword s10, s[10:11], 0x0
	s_waitcnt lgkmcnt(0)
	s_add_i32 s9, s10, -1
	s_add_i32 s4, s9, s6
	s_cmp_ge_i32 s4, s26
	s_cbranch_scc1 .LBB227_39
; %bb.41:                               ;   in Loop: Header=BB227_40 Depth=1
	s_ashr_i32 s7, s6, 31
	s_lshl_b64 s[16:17], s[6:7], 4
	s_ashr_i32 s11, s10, 31
	v_mov_b32_e32 v0, s17
	v_add_co_u32_e32 v4, vcc, s16, v8
	s_lshl_b64 s[16:17], s[10:11], 4
	s_max_i32 s22, s10, 1
	v_addc_co_u32_e32 v5, vcc, v9, v0, vcc
	s_lshl_b32 s7, s6, 4
	s_lshl_b32 s11, s10, 4
	s_mul_i32 s23, s6, 0x190
	s_mul_i32 s24, s10, 0x190
	v_mov_b32_e32 v11, s17
	s_branch .LBB227_43
.LBB227_42:                             ;   in Loop: Header=BB227_43 Depth=2
	s_add_i32 s6, s6, s10
	s_add_i32 s4, s9, s6
	;; [unrolled: 1-line block ×4, first 2 shown]
	v_add_co_u32_e32 v4, vcc, s16, v4
	s_cmp_ge_i32 s4, s26
	v_addc_co_u32_e32 v5, vcc, v5, v11, vcc
	s_cbranch_scc1 .LBB227_39
.LBB227_43:                             ;   Parent Loop BB227_40 Depth=1
                                        ; =>  This Loop Header: Depth=2
                                        ;       Child Loop BB227_44 Depth 3
                                        ;       Child Loop BB227_47 Depth 3
                                        ;         Child Loop BB227_48 Depth 4
                                        ;       Child Loop BB227_52 Depth 3
                                        ;         Child Loop BB227_54 Depth 4
	v_mov_b32_e32 v2, 0
	v_pk_mov_b32 v[0:1], v[4:5], v[4:5] op_sel:[0,1]
	s_mov_b32 s4, s22
.LBB227_44:                             ;   Parent Loop BB227_40 Depth=1
                                        ;     Parent Loop BB227_43 Depth=2
                                        ; =>    This Inner Loop Header: Depth=3
	global_load_dwordx4 v[12:15], v[0:1], off offset:-8
	s_add_i32 s4, s4, -1
	v_add_co_u32_e32 v0, vcc, 16, v0
	v_addc_co_u32_e32 v1, vcc, 0, v1, vcc
	s_cmp_eq_u32 s4, 0
	s_waitcnt vmcnt(0)
	v_mul_f64 v[16:17], s[14:15], v[14:15]
	v_mul_f64 v[14:15], s[12:13], v[14:15]
	v_fma_f64 v[16:17], s[12:13], v[12:13], -v[16:17]
	v_fmac_f64_e32 v[14:15], s[14:15], v[12:13]
	buffer_store_dword v17, v2, s[0:3], 0 offen offset:4
	buffer_store_dword v16, v2, s[0:3], 0 offen
	buffer_store_dword v15, v2, s[0:3], 0 offen offset:12
	buffer_store_dword v14, v2, s[0:3], 0 offen offset:8
	v_add_u32_e32 v2, 16, v2
	s_cbranch_scc0 .LBB227_44
; %bb.45:                               ;   in Loop: Header=BB227_43 Depth=2
	s_cmp_lt_i32 s6, 1
	s_cbranch_scc1 .LBB227_50
; %bb.46:                               ;   in Loop: Header=BB227_43 Depth=2
	s_mov_b32 s4, 0
	s_mov_b32 s17, s7
.LBB227_47:                             ;   Parent Loop BB227_40 Depth=1
                                        ;     Parent Loop BB227_43 Depth=2
                                        ; =>    This Loop Header: Depth=3
                                        ;         Child Loop BB227_48 Depth 4
	s_lshl_b64 s[18:19], s[4:5], 4
	v_mov_b32_e32 v1, s19
	v_add_co_u32_e32 v0, vcc, s18, v6
	v_addc_co_u32_e32 v1, vcc, v7, v1, vcc
	global_load_dwordx4 v[0:3], v[0:1], off
	v_mov_b32_e32 v12, 0
	s_mov_b32 s18, s17
	s_mov_b32 s19, s22
.LBB227_48:                             ;   Parent Loop BB227_40 Depth=1
                                        ;     Parent Loop BB227_43 Depth=2
                                        ;       Parent Loop BB227_47 Depth=3
                                        ; =>      This Inner Loop Header: Depth=4
	buffer_load_dword v18, v12, s[0:3], 0 offen
	buffer_load_dword v19, v12, s[0:3], 0 offen offset:4
	buffer_load_dword v20, v12, s[0:3], 0 offen offset:8
	;; [unrolled: 1-line block ×3, first 2 shown]
	v_mov_b32_e32 v13, s18
	ds_read_b128 v[14:17], v13
	s_add_i32 s19, s19, -1
	s_add_i32 s18, s18, 16
	s_cmp_eq_u32 s19, 0
	s_waitcnt vmcnt(4) lgkmcnt(0)
	v_mul_f64 v[22:23], v[2:3], v[16:17]
	v_mul_f64 v[16:17], v[0:1], v[16:17]
	v_fma_f64 v[22:23], v[0:1], v[14:15], -v[22:23]
	v_fmac_f64_e32 v[16:17], v[2:3], v[14:15]
	s_waitcnt vmcnt(2)
	v_add_f64 v[14:15], v[18:19], -v[22:23]
	s_waitcnt vmcnt(0)
	v_add_f64 v[16:17], v[20:21], -v[16:17]
	buffer_store_dword v14, v12, s[0:3], 0 offen
	buffer_store_dword v15, v12, s[0:3], 0 offen offset:4
	buffer_store_dword v16, v12, s[0:3], 0 offen offset:8
	;; [unrolled: 1-line block ×3, first 2 shown]
	v_add_u32_e32 v12, 16, v12
	s_cbranch_scc0 .LBB227_48
; %bb.49:                               ;   in Loop: Header=BB227_47 Depth=3
	s_add_i32 s4, s4, 1
	s_addk_i32 s17, 0x180
	s_cmp_ge_i32 s4, s6
	s_cbranch_scc0 .LBB227_47
.LBB227_50:                             ;   in Loop: Header=BB227_43 Depth=2
	s_mov_b32 s4, 0
	s_mov_b32 s17, s23
	s_branch .LBB227_52
.LBB227_51:                             ;   in Loop: Header=BB227_52 Depth=3
	s_mul_i32 s19, s18, 0x190
	v_mov_b32_e32 v12, s19
	ds_read_b128 v[12:15], v12
	s_lshl_b32 s19, s4, 4
	v_add_u32_e32 v20, s19, v10
	s_ashr_i32 s19, s18, 31
	s_lshl_b64 s[18:19], s[18:19], 4
	s_waitcnt vmcnt(0) lgkmcnt(0)
	v_mul_f64 v[16:17], v[14:15], v[2:3]
	v_mul_f64 v[18:19], v[12:13], v[2:3]
	v_fma_f64 v[16:17], v[12:13], v[0:1], -v[16:17]
	v_fmac_f64_e32 v[18:19], v[14:15], v[0:1]
	v_mov_b32_e32 v1, s19
	v_add_co_u32_e32 v0, vcc, s18, v6
	s_add_i32 s4, s4, 1
	s_add_i32 s17, s17, 16
	v_addc_co_u32_e32 v1, vcc, v7, v1, vcc
	s_cmp_eq_u32 s4, s22
	buffer_store_dword v17, v20, s[0:3], 0 offen offset:4
	buffer_store_dword v16, v20, s[0:3], 0 offen
	buffer_store_dword v19, v20, s[0:3], 0 offen offset:12
	buffer_store_dword v18, v20, s[0:3], 0 offen offset:8
	global_store_dwordx4 v[0:1], v[16:19], off
	s_cbranch_scc1 .LBB227_42
.LBB227_52:                             ;   Parent Loop BB227_40 Depth=1
                                        ;     Parent Loop BB227_43 Depth=2
                                        ; =>    This Loop Header: Depth=3
                                        ;         Child Loop BB227_54 Depth 4
	s_cmp_lg_u32 s4, 0
	s_cbranch_scc0 .LBB227_56
; %bb.53:                               ;   in Loop: Header=BB227_52 Depth=3
	s_lshl_b32 s18, s4, 4
	v_add_u32_e32 v12, s18, v10
	buffer_load_dword v0, v12, s[0:3], 0 offen
	buffer_load_dword v1, v12, s[0:3], 0 offen offset:4
	buffer_load_dword v2, v12, s[0:3], 0 offen offset:8
	;; [unrolled: 1-line block ×3, first 2 shown]
	s_add_i32 s18, s4, s6
	v_mov_b32_e32 v13, 0
	s_mov_b32 s19, 0
	s_mov_b32 s20, s17
.LBB227_54:                             ;   Parent Loop BB227_40 Depth=1
                                        ;     Parent Loop BB227_43 Depth=2
                                        ;       Parent Loop BB227_52 Depth=3
                                        ; =>      This Inner Loop Header: Depth=4
	buffer_load_dword v18, v13, s[0:3], 0 offen offset:8
	buffer_load_dword v19, v13, s[0:3], 0 offen offset:12
	buffer_load_dword v20, v13, s[0:3], 0 offen
	buffer_load_dword v21, v13, s[0:3], 0 offen offset:4
	v_mov_b32_e32 v14, s20
	ds_read_b128 v[14:17], v14
	s_add_i32 s19, s19, 1
	s_addk_i32 s20, 0x180
	v_add_u32_e32 v13, 16, v13
	s_cmp_ge_u32 s19, s4
	s_waitcnt vmcnt(2) lgkmcnt(0)
	v_mul_f64 v[22:23], v[16:17], v[18:19]
	v_mul_f64 v[18:19], v[14:15], v[18:19]
	s_waitcnt vmcnt(0)
	v_fma_f64 v[14:15], v[14:15], v[20:21], -v[22:23]
	v_fmac_f64_e32 v[18:19], v[16:17], v[20:21]
	v_add_f64 v[0:1], v[0:1], -v[14:15]
	v_add_f64 v[2:3], v[2:3], -v[18:19]
	buffer_store_dword v0, v12, s[0:3], 0 offen
	buffer_store_dword v1, v12, s[0:3], 0 offen offset:4
	buffer_store_dword v2, v12, s[0:3], 0 offen offset:8
	;; [unrolled: 1-line block ×3, first 2 shown]
	s_cbranch_scc0 .LBB227_54
; %bb.55:                               ;   in Loop: Header=BB227_52 Depth=3
	s_branch .LBB227_51
.LBB227_56:                             ;   in Loop: Header=BB227_52 Depth=3
                                        ; implicit-def: $vgpr0_vgpr1
                                        ; implicit-def: $vgpr2_vgpr3
                                        ; implicit-def: $sgpr18
	s_cbranch_execz .LBB227_51
; %bb.57:                               ;   in Loop: Header=BB227_52 Depth=3
	buffer_load_dword v0, off, s[0:3], 0
	buffer_load_dword v1, off, s[0:3], 0 offset:4
	buffer_load_dword v2, off, s[0:3], 0 offset:8
	;; [unrolled: 1-line block ×3, first 2 shown]
	s_mov_b32 s18, s6
	s_branch .LBB227_51
.LBB227_58:
	s_endpgm
	.section	.rodata,"a",@progbits
	.p2align	6, 0x0
	.amdhsa_kernel _ZL30rocblas_trsm_small_left_deviceILi24ELi24ELb1E19rocblas_complex_numIdES1_PKS1_PS1_Ev13rocblas_fill_18rocblas_operation_17rocblas_diagonal_iiT3_T4_lilT5_lili
		.amdhsa_group_segment_fixed_size 9216
		.amdhsa_private_segment_fixed_size 400
		.amdhsa_kernarg_size 368
		.amdhsa_user_sgpr_count 8
		.amdhsa_user_sgpr_private_segment_buffer 1
		.amdhsa_user_sgpr_dispatch_ptr 0
		.amdhsa_user_sgpr_queue_ptr 0
		.amdhsa_user_sgpr_kernarg_segment_ptr 1
		.amdhsa_user_sgpr_dispatch_id 0
		.amdhsa_user_sgpr_flat_scratch_init 1
		.amdhsa_user_sgpr_kernarg_preload_length 0
		.amdhsa_user_sgpr_kernarg_preload_offset 0
		.amdhsa_user_sgpr_private_segment_size 0
		.amdhsa_uses_dynamic_stack 0
		.amdhsa_system_sgpr_private_segment_wavefront_offset 1
		.amdhsa_system_sgpr_workgroup_id_x 1
		.amdhsa_system_sgpr_workgroup_id_y 0
		.amdhsa_system_sgpr_workgroup_id_z 1
		.amdhsa_system_sgpr_workgroup_info 0
		.amdhsa_system_vgpr_workitem_id 0
		.amdhsa_next_free_vgpr 24
		.amdhsa_next_free_sgpr 42
		.amdhsa_accum_offset 24
		.amdhsa_reserve_vcc 1
		.amdhsa_reserve_flat_scratch 0
		.amdhsa_float_round_mode_32 0
		.amdhsa_float_round_mode_16_64 0
		.amdhsa_float_denorm_mode_32 3
		.amdhsa_float_denorm_mode_16_64 3
		.amdhsa_dx10_clamp 1
		.amdhsa_ieee_mode 1
		.amdhsa_fp16_overflow 0
		.amdhsa_tg_split 0
		.amdhsa_exception_fp_ieee_invalid_op 0
		.amdhsa_exception_fp_denorm_src 0
		.amdhsa_exception_fp_ieee_div_zero 0
		.amdhsa_exception_fp_ieee_overflow 0
		.amdhsa_exception_fp_ieee_underflow 0
		.amdhsa_exception_fp_ieee_inexact 0
		.amdhsa_exception_int_div_zero 0
	.end_amdhsa_kernel
	.section	.text._ZL30rocblas_trsm_small_left_deviceILi24ELi24ELb1E19rocblas_complex_numIdES1_PKS1_PS1_Ev13rocblas_fill_18rocblas_operation_17rocblas_diagonal_iiT3_T4_lilT5_lili,"axG",@progbits,_ZL30rocblas_trsm_small_left_deviceILi24ELi24ELb1E19rocblas_complex_numIdES1_PKS1_PS1_Ev13rocblas_fill_18rocblas_operation_17rocblas_diagonal_iiT3_T4_lilT5_lili,comdat
.Lfunc_end227:
	.size	_ZL30rocblas_trsm_small_left_deviceILi24ELi24ELb1E19rocblas_complex_numIdES1_PKS1_PS1_Ev13rocblas_fill_18rocblas_operation_17rocblas_diagonal_iiT3_T4_lilT5_lili, .Lfunc_end227-_ZL30rocblas_trsm_small_left_deviceILi24ELi24ELb1E19rocblas_complex_numIdES1_PKS1_PS1_Ev13rocblas_fill_18rocblas_operation_17rocblas_diagonal_iiT3_T4_lilT5_lili
                                        ; -- End function
	.section	.AMDGPU.csdata,"",@progbits
; Kernel info:
; codeLenInByte = 3276
; NumSgprs: 46
; NumVgprs: 24
; NumAgprs: 0
; TotalNumVgprs: 24
; ScratchSize: 400
; MemoryBound: 0
; FloatMode: 240
; IeeeMode: 1
; LDSByteSize: 9216 bytes/workgroup (compile time only)
; SGPRBlocks: 5
; VGPRBlocks: 2
; NumSGPRsForWavesPerEU: 46
; NumVGPRsForWavesPerEU: 24
; AccumOffset: 24
; Occupancy: 2
; WaveLimiterHint : 0
; COMPUTE_PGM_RSRC2:SCRATCH_EN: 1
; COMPUTE_PGM_RSRC2:USER_SGPR: 8
; COMPUTE_PGM_RSRC2:TRAP_HANDLER: 0
; COMPUTE_PGM_RSRC2:TGID_X_EN: 1
; COMPUTE_PGM_RSRC2:TGID_Y_EN: 0
; COMPUTE_PGM_RSRC2:TGID_Z_EN: 1
; COMPUTE_PGM_RSRC2:TIDIG_COMP_CNT: 0
; COMPUTE_PGM_RSRC3_GFX90A:ACCUM_OFFSET: 5
; COMPUTE_PGM_RSRC3_GFX90A:TG_SPLIT: 0
	.section	.text._ZL31rocblas_trsm_small_right_deviceI19rocblas_complex_numIdES1_PKS1_PS1_Li24EEv13rocblas_fill_18rocblas_operation_17rocblas_diagonal_iiT0_T1_lilT2_lili,"axG",@progbits,_ZL31rocblas_trsm_small_right_deviceI19rocblas_complex_numIdES1_PKS1_PS1_Li24EEv13rocblas_fill_18rocblas_operation_17rocblas_diagonal_iiT0_T1_lilT2_lili,comdat
	.globl	_ZL31rocblas_trsm_small_right_deviceI19rocblas_complex_numIdES1_PKS1_PS1_Li24EEv13rocblas_fill_18rocblas_operation_17rocblas_diagonal_iiT0_T1_lilT2_lili ; -- Begin function _ZL31rocblas_trsm_small_right_deviceI19rocblas_complex_numIdES1_PKS1_PS1_Li24EEv13rocblas_fill_18rocblas_operation_17rocblas_diagonal_iiT0_T1_lilT2_lili
	.p2align	8
	.type	_ZL31rocblas_trsm_small_right_deviceI19rocblas_complex_numIdES1_PKS1_PS1_Li24EEv13rocblas_fill_18rocblas_operation_17rocblas_diagonal_iiT0_T1_lilT2_lili,@function
_ZL31rocblas_trsm_small_right_deviceI19rocblas_complex_numIdES1_PKS1_PS1_Li24EEv13rocblas_fill_18rocblas_operation_17rocblas_diagonal_iiT0_T1_lilT2_lili: ; @_ZL31rocblas_trsm_small_right_deviceI19rocblas_complex_numIdES1_PKS1_PS1_Li24EEv13rocblas_fill_18rocblas_operation_17rocblas_diagonal_iiT0_T1_lilT2_lili
; %bb.0:
	s_load_dwordx4 s[16:19], s[4:5], 0x0
	s_load_dword s33, s[4:5], 0x10
	s_load_dwordx8 s[8:15], s[4:5], 0x18
	s_load_dwordx2 s[20:21], s[4:5], 0x50
	s_load_dwordx4 s[0:3], s[4:5], 0x40
	s_mov_b32 s36, 0
	s_waitcnt lgkmcnt(0)
	s_min_i32 s34, s33, 24
	s_add_i32 s35, s34, -1
	v_cmp_gt_i32_e32 vcc, s34, v0
	s_and_saveexec_b64 s[22:23], vcc
	s_cbranch_execz .LBB228_9
; %bb.1:
	s_load_dword s24, s[4:5], 0x38
	s_mul_i32 s37, s1, s7
	s_mul_hi_u32 s38, s0, s7
	s_mul_i32 s26, s0, s7
	s_waitcnt lgkmcnt(0)
	s_ashr_i32 s25, s24, 31
	s_cmpk_eq_i32 s17, 0x71
	s_cselect_b64 vcc, -1, 0
	s_cmp_lt_u32 s35, 3
	s_cbranch_scc1 .LBB228_4
; %bb.2:
	s_add_i32 s27, s38, s37
	s_and_b32 s36, s34, -4
	s_lshl_b64 s[0:1], s[26:27], 4
	s_lshl_b64 s[28:29], s[14:15], 4
	s_add_u32 s0, s0, s28
	s_addc_u32 s1, s1, s29
	s_add_u32 s0, s12, s0
	v_lshlrev_b32_e32 v2, 4, v0
	s_addc_u32 s1, s13, s1
	v_mov_b32_e32 v3, s1
	v_add_co_u32_e64 v2, s[0:1], s0, v2
	v_addc_co_u32_e64 v3, s[0:1], 0, v3, s[0:1]
	v_add_co_u32_e64 v2, s[0:1], 8, v2
	s_lshl_b64 s[28:29], s[24:25], 6
	s_lshl_b64 s[30:31], s[24:25], 4
	v_lshlrev_b32_e32 v1, 4, v0
	v_addc_co_u32_e64 v3, s[0:1], 0, v3, s[0:1]
	s_mov_b32 s27, 0
	v_mov_b32_e32 v4, s31
	v_mov_b32_e32 v5, s29
.LBB228_3:                              ; =>This Inner Loop Header: Depth=1
	v_add_co_u32_e64 v18, s[0:1], s30, v2
	v_addc_co_u32_e64 v19, s[0:1], v3, v4, s[0:1]
	v_add_co_u32_e64 v20, s[0:1], s30, v18
	global_load_dwordx4 v[6:9], v[2:3], off offset:-8
	v_addc_co_u32_e64 v21, s[0:1], v19, v4, s[0:1]
	global_load_dwordx4 v[10:13], v[18:19], off offset:-8
	global_load_dwordx4 v[14:17], v[20:21], off offset:-8
	v_add_co_u32_e64 v18, s[0:1], s30, v20
	v_addc_co_u32_e64 v19, s[0:1], v21, v4, s[0:1]
	global_load_dwordx4 v[18:21], v[18:19], off offset:-8
	s_add_i32 s27, s27, 4
	v_add_co_u32_e64 v2, s[0:1], s28, v2
	s_cmp_eq_u32 s36, s27
	v_addc_co_u32_e64 v3, s[0:1], v3, v5, s[0:1]
	s_waitcnt vmcnt(3)
	v_xor_b32_e32 v22, 0x80000000, v9
	v_cndmask_b32_e32 v9, v9, v22, vcc
	ds_write_b128 v1, v[6:9]
	s_waitcnt vmcnt(1)
	v_xor_b32_e32 v6, 0x80000000, v17
	v_xor_b32_e32 v22, 0x80000000, v13
	v_cndmask_b32_e32 v17, v17, v6, vcc
	v_cndmask_b32_e32 v13, v13, v22, vcc
	ds_write_b128 v1, v[10:13] offset:384
	s_waitcnt vmcnt(0)
	v_xor_b32_e32 v6, 0x80000000, v21
	v_cndmask_b32_e32 v21, v21, v6, vcc
	ds_write_b128 v1, v[14:17] offset:768
	ds_write_b128 v1, v[18:21] offset:1152
	v_add_u32_e32 v1, 0x600, v1
	s_cbranch_scc0 .LBB228_3
.LBB228_4:
	s_and_b32 s28, s34, 3
	s_cmp_eq_u32 s28, 0
	s_cbranch_scc1 .LBB228_7
; %bb.5:
	s_mul_i32 s0, s36, 0x180
	s_add_i32 s27, s38, s37
	v_lshl_add_u32 v1, v0, 4, s0
	s_lshl_b64 s[0:1], s[26:27], 4
	s_mul_i32 s26, s25, s36
	s_mul_hi_u32 s27, s24, s36
	s_add_i32 s27, s27, s26
	s_mul_i32 s26, s24, s36
	s_lshl_b64 s[26:27], s[26:27], 4
	s_add_u32 s26, s0, s26
	s_addc_u32 s27, s1, s27
	s_lshl_b64 s[0:1], s[14:15], 4
	s_add_u32 s0, s26, s0
	s_addc_u32 s1, s27, s1
	s_add_u32 s0, s12, s0
	v_lshlrev_b32_e32 v2, 4, v0
	s_addc_u32 s1, s13, s1
	v_mov_b32_e32 v3, s1
	v_add_co_u32_e64 v2, s[0:1], s0, v2
	v_addc_co_u32_e64 v3, s[0:1], 0, v3, s[0:1]
	v_add_co_u32_e64 v2, s[0:1], 8, v2
	s_lshl_b64 s[12:13], s[24:25], 4
	v_addc_co_u32_e64 v3, s[0:1], 0, v3, s[0:1]
	v_mov_b32_e32 v4, s13
.LBB228_6:                              ; =>This Inner Loop Header: Depth=1
	global_load_dwordx4 v[6:9], v[2:3], off offset:-8
	v_add_co_u32_e64 v2, s[0:1], s12, v2
	s_add_i32 s28, s28, -1
	v_addc_co_u32_e64 v3, s[0:1], v3, v4, s[0:1]
	s_cmp_lg_u32 s28, 0
	s_waitcnt vmcnt(0)
	v_xor_b32_e32 v5, 0x80000000, v9
	v_cndmask_b32_e32 v9, v9, v5, vcc
	ds_write_b128 v1, v[6:9]
	v_add_u32_e32 v1, 0x180, v1
	s_cbranch_scc1 .LBB228_6
.LBB228_7:
	s_cmpk_eq_i32 s18, 0x84
	s_cbranch_scc0 .LBB228_9
; %bb.8:
	v_mul_u32_u24_e32 v1, 25, v0
	v_mov_b32_e32 v2, 0
	v_lshlrev_b32_e32 v1, 4, v1
	v_mov_b32_e32 v3, 0x3ff00000
	v_mov_b32_e32 v4, v2
	;; [unrolled: 1-line block ×3, first 2 shown]
	ds_write_b128 v1, v[2:5]
.LBB228_9:
	s_or_b64 exec, exec, s[22:23]
	s_load_dword s1, s[4:5], 0x70
	s_load_dwordx2 s[12:13], s[4:5], 0x60
	s_load_dword s0, s[4:5], 0x58
	s_mul_i32 s15, s6, 0xffffffe8
	s_mul_i32 s23, s6, 0x180
	s_mul_hi_i32 s22, s6, 0x180
	s_waitcnt lgkmcnt(0)
	s_mul_i32 s5, s7, s13
	s_mul_hi_u32 s13, s7, s12
	s_mul_i32 s4, s7, s12
	s_add_i32 s5, s13, s5
	s_lshl_b64 s[12:13], s[4:5], 4
	s_add_u32 s7, s2, s12
	s_addc_u32 s14, s3, s13
	s_lshl_b64 s[4:5], s[20:21], 4
	s_add_u32 s7, s7, s4
	s_addc_u32 s14, s14, s5
	s_add_i32 s1, s1, -1
	s_add_i32 s15, s15, s19
	s_cmp_ge_u32 s6, s1
	s_cselect_b32 s1, s15, 24
	s_add_u32 s24, s7, s23
	s_addc_u32 s25, s14, s22
	s_cmp_gt_i32 s33, 0
	v_cmp_gt_i32_e32 vcc, s1, v0
	s_cselect_b64 s[6:7], -1, 0
	s_mov_b32 s26, 0
	s_and_b64 s[6:7], vcc, s[6:7]
	s_and_saveexec_b64 s[14:15], s[6:7]
	s_cbranch_execz .LBB228_16
; %bb.10:
	s_ashr_i32 s1, s0, 31
	s_cmp_lt_u32 s33, 4
	s_cbranch_scc1 .LBB228_13
; %bb.11:
	v_lshlrev_b32_e32 v1, 4, v0
	v_mov_b32_e32 v3, s25
	v_add_co_u32_e32 v2, vcc, s24, v1
	v_mov_b32_e32 v1, 0x2400
	s_lshl_b64 s[18:19], s[0:1], 6
	s_lshl_b64 s[20:21], s[0:1], 4
	v_addc_co_u32_e32 v3, vcc, 0, v3, vcc
	s_and_b32 s26, s33, 0x7ffffffc
	v_lshl_or_b32 v1, v0, 4, v1
	s_mov_b32 s27, 0
	v_mov_b32_e32 v4, s21
	v_mov_b32_e32 v5, s19
.LBB228_12:                             ; =>This Inner Loop Header: Depth=1
	v_add_co_u32_e32 v14, vcc, s20, v2
	v_addc_co_u32_e32 v15, vcc, v3, v4, vcc
	v_add_co_u32_e32 v18, vcc, s20, v14
	global_load_dwordx4 v[6:9], v[2:3], off
	global_load_dwordx4 v[10:13], v[14:15], off
	v_addc_co_u32_e32 v19, vcc, v15, v4, vcc
	global_load_dwordx4 v[14:17], v[18:19], off
	v_add_co_u32_e32 v18, vcc, s20, v18
	v_addc_co_u32_e32 v19, vcc, v19, v4, vcc
	global_load_dwordx4 v[18:21], v[18:19], off
	s_add_i32 s27, s27, 4
	v_add_co_u32_e32 v2, vcc, s18, v2
	s_cmp_lg_u32 s26, s27
	v_addc_co_u32_e32 v3, vcc, v3, v5, vcc
	s_waitcnt vmcnt(3)
	v_mul_f64 v[22:23], s[10:11], v[8:9]
	v_mul_f64 v[24:25], s[8:9], v[8:9]
	v_fma_f64 v[22:23], s[8:9], v[6:7], -v[22:23]
	v_fmac_f64_e32 v[24:25], s[10:11], v[6:7]
	s_waitcnt vmcnt(2)
	v_mul_f64 v[6:7], s[10:11], v[12:13]
	v_mul_f64 v[8:9], s[8:9], v[12:13]
	v_fma_f64 v[6:7], s[8:9], v[10:11], -v[6:7]
	v_fmac_f64_e32 v[8:9], s[10:11], v[10:11]
	s_waitcnt vmcnt(1)
	v_mul_f64 v[12:13], s[10:11], v[16:17]
	v_mul_f64 v[10:11], s[8:9], v[16:17]
	ds_write_b128 v1, v[6:9] offset:384
	v_fma_f64 v[8:9], s[8:9], v[14:15], -v[12:13]
	v_fmac_f64_e32 v[10:11], s[10:11], v[14:15]
	s_waitcnt vmcnt(0)
	v_mul_f64 v[6:7], s[10:11], v[20:21]
	v_mul_f64 v[12:13], s[8:9], v[20:21]
	ds_write_b128 v1, v[8:11] offset:768
	v_fma_f64 v[10:11], s[8:9], v[18:19], -v[6:7]
	v_fmac_f64_e32 v[12:13], s[10:11], v[18:19]
	ds_write_b128 v1, v[22:25]
	ds_write_b128 v1, v[10:13] offset:1152
	v_add_u32_e32 v1, 0x600, v1
	s_cbranch_scc1 .LBB228_12
.LBB228_13:
	s_and_b32 s20, s33, 3
	s_cmp_eq_u32 s20, 0
	s_cbranch_scc1 .LBB228_16
; %bb.14:
	s_mul_i32 s18, s26, 0x180
	v_lshl_add_u32 v1, v0, 4, s18
	s_mul_hi_i32 s19, s0, s26
	s_mul_i32 s18, s0, s26
	s_lshl_b64 s[18:19], s[18:19], 4
	s_add_u32 s18, s12, s18
	s_addc_u32 s19, s13, s19
	s_add_u32 s18, s18, s23
	s_addc_u32 s19, s19, s22
	;; [unrolled: 2-line block ×3, first 2 shown]
	s_add_u32 s18, s2, s18
	v_lshlrev_b32_e32 v2, 4, v0
	s_addc_u32 s19, s3, s19
	v_mov_b32_e32 v3, s19
	v_add_co_u32_e32 v2, vcc, s18, v2
	v_addc_co_u32_e32 v3, vcc, 0, v3, vcc
	v_add_co_u32_e32 v2, vcc, 8, v2
	s_lshl_b64 s[18:19], s[0:1], 4
	v_add_u32_e32 v1, 0x2400, v1
	v_addc_co_u32_e32 v3, vcc, 0, v3, vcc
	v_mov_b32_e32 v4, s19
.LBB228_15:                             ; =>This Inner Loop Header: Depth=1
	global_load_dwordx4 v[6:9], v[2:3], off offset:-8
	s_add_i32 s20, s20, -1
	v_add_co_u32_e32 v2, vcc, s18, v2
	v_addc_co_u32_e32 v3, vcc, v3, v4, vcc
	s_cmp_lg_u32 s20, 0
	s_waitcnt vmcnt(0)
	v_mul_f64 v[12:13], s[10:11], v[8:9]
	v_mul_f64 v[10:11], s[8:9], v[8:9]
	v_fma_f64 v[8:9], s[8:9], v[6:7], -v[12:13]
	v_fmac_f64_e32 v[10:11], s[10:11], v[6:7]
	ds_write_b128 v1, v[8:11]
	v_add_u32_e32 v1, 0x180, v1
	s_cbranch_scc1 .LBB228_15
.LBB228_16:
	s_or_b64 exec, exec, s[14:15]
	s_cmpk_eq_i32 s17, 0x6f
	s_cselect_b64 s[8:9], -1, 0
	s_cmpk_eq_i32 s16, 0x79
	s_cselect_b64 s[14:15], -1, 0
	s_cmpk_lg_i32 s16, 0x79
	s_cselect_b64 s[10:11], -1, 0
	s_and_b64 s[14:15], s[14:15], s[8:9]
	s_andn2_b64 vcc, exec, s[14:15]
	s_mov_b64 s[14:15], -1
	s_waitcnt lgkmcnt(0)
	; wave barrier
	s_waitcnt lgkmcnt(0)
	s_cbranch_vccz .LBB228_124
; %bb.17:
	s_cmpk_lg_i32 s16, 0x7a
	s_cselect_b64 s[16:17], -1, 0
	s_xor_b64 s[8:9], s[8:9], -1
	s_or_b64 s[16:17], s[16:17], s[8:9]
	s_cmp_gt_i32 s33, 3
	s_cselect_b64 s[8:9], -1, 0
	s_and_b64 vcc, exec, s[16:17]
	s_cbranch_vccz .LBB228_91
; %bb.18:
	s_andn2_b64 vcc, exec, s[10:11]
	s_mov_b64 s[10:11], -1
	s_cbranch_vccnz .LBB228_58
; %bb.19:
	s_andn2_b64 vcc, exec, s[8:9]
	s_mov_b32 s15, 0
	s_cbranch_vccnz .LBB228_42
; %bb.20:
	v_mov_b32_e32 v1, 0x2400
	v_lshl_or_b32 v1, v0, 4, v1
	s_mov_b32 s1, 0
	s_mov_b32 s14, 0
.LBB228_21:                             ; =>This Loop Header: Depth=1
                                        ;     Child Loop BB228_23 Depth 2
	s_mul_i32 s15, s14, 24
	v_add_lshl_u32 v14, s15, v0, 4
	s_add_i32 s16, s15, 24
	s_add_i32 s15, s15, 48
	v_add_lshl_u32 v16, s15, v0, 4
	v_add_lshl_u32 v15, s16, v0, 4
	ds_read_b128 v[18:21], v14 offset:9216
	ds_read_b128 v[10:13], v15 offset:9216
	;; [unrolled: 1-line block ×4, first 2 shown]
	s_cmp_eq_u32 s14, 0
	s_cbranch_scc1 .LBB228_24
; %bb.22:                               ;   in Loop: Header=BB228_21 Depth=1
	s_mov_b32 s10, 0
	v_mov_b32_e32 v17, v1
	s_mov_b32 s11, s1
.LBB228_23:                             ;   Parent Loop BB228_21 Depth=1
                                        ; =>  This Inner Loop Header: Depth=2
	v_mov_b32_e32 v58, s11
	ds_read_b128 v[22:25], v17
	ds_read_b128 v[26:29], v17 offset:384
	ds_read_b128 v[30:33], v58
	ds_read_b128 v[34:37], v58 offset:16
	ds_read_b128 v[38:41], v58 offset:32
	;; [unrolled: 1-line block ×7, first 2 shown]
	s_add_i32 s10, s10, 2
	s_addk_i32 s11, 0x300
	s_waitcnt lgkmcnt(7)
	v_mul_f64 v[62:63], v[24:25], v[32:33]
	v_mul_f64 v[32:33], v[22:23], v[32:33]
	s_waitcnt lgkmcnt(6)
	v_mul_f64 v[64:65], v[24:25], v[36:37]
	v_mul_f64 v[36:37], v[22:23], v[36:37]
	;; [unrolled: 3-line block ×8, first 2 shown]
	v_fma_f64 v[62:63], v[22:23], v[30:31], -v[62:63]
	v_fmac_f64_e32 v[32:33], v[24:25], v[30:31]
	v_fma_f64 v[30:31], v[22:23], v[34:35], -v[64:65]
	v_fmac_f64_e32 v[36:37], v[24:25], v[34:35]
	;; [unrolled: 2-line block ×8, first 2 shown]
	v_add_f64 v[18:19], v[18:19], -v[62:63]
	v_add_f64 v[20:21], v[20:21], -v[32:33]
	;; [unrolled: 1-line block ×8, first 2 shown]
	v_add_u32_e32 v17, 0x300, v17
	s_cmp_ge_u32 s10, s14
	v_add_f64 v[18:19], v[18:19], -v[24:25]
	v_add_f64 v[20:21], v[20:21], -v[48:49]
	;; [unrolled: 1-line block ×8, first 2 shown]
	s_cbranch_scc0 .LBB228_23
.LBB228_24:                             ;   in Loop: Header=BB228_21 Depth=1
	s_mul_i32 s17, s14, 0x190
	v_add_u32_e32 v28, 0x2400, v14
	v_mov_b32_e32 v14, s17
	ds_read_b128 v[22:25], v14
	v_add_u32_e32 v27, 0x2400, v15
	v_add_u32_e32 v26, 0x2400, v16
	s_waitcnt lgkmcnt(0)
	v_xor_b32_e32 v15, 0x80000000, v23
	v_cmp_gt_f64_e32 vcc, 0, v[22:23]
	v_xor_b32_e32 v16, 0x80000000, v25
	v_cndmask_b32_e32 v15, v23, v15, vcc
	v_cmp_gt_f64_e32 vcc, 0, v[24:25]
	v_mov_b32_e32 v14, v22
	v_cndmask_b32_e32 v17, v25, v16, vcc
	v_mov_b32_e32 v16, v24
	v_cmp_ngt_f64_e32 vcc, v[14:15], v[16:17]
	s_cbranch_vccz .LBB228_26
; %bb.25:                               ;   in Loop: Header=BB228_21 Depth=1
	v_div_scale_f64 v[14:15], s[10:11], v[24:25], v[24:25], v[22:23]
	v_rcp_f64_e32 v[16:17], v[14:15]
	v_div_scale_f64 v[30:31], vcc, v[22:23], v[24:25], v[22:23]
	v_fma_f64 v[32:33], -v[14:15], v[16:17], 1.0
	v_fmac_f64_e32 v[16:17], v[16:17], v[32:33]
	v_fma_f64 v[32:33], -v[14:15], v[16:17], 1.0
	v_fmac_f64_e32 v[16:17], v[16:17], v[32:33]
	v_mul_f64 v[32:33], v[30:31], v[16:17]
	v_fma_f64 v[14:15], -v[14:15], v[32:33], v[30:31]
	v_div_fmas_f64 v[14:15], v[14:15], v[16:17], v[32:33]
	v_div_fixup_f64 v[16:17], v[14:15], v[24:25], v[22:23]
	v_fma_f64 v[14:15], v[22:23], v[16:17], v[24:25]
	v_div_scale_f64 v[30:31], s[10:11], v[14:15], v[14:15], 1.0
	v_rcp_f64_e32 v[32:33], v[30:31]
	v_fma_f64 v[34:35], -v[30:31], v[32:33], 1.0
	v_fmac_f64_e32 v[32:33], v[32:33], v[34:35]
	v_fma_f64 v[34:35], -v[30:31], v[32:33], 1.0
	v_fmac_f64_e32 v[32:33], v[32:33], v[34:35]
	v_div_scale_f64 v[34:35], vcc, 1.0, v[14:15], 1.0
	v_mul_f64 v[36:37], v[34:35], v[32:33]
	v_fma_f64 v[30:31], -v[30:31], v[36:37], v[34:35]
	s_nop 1
	v_div_fmas_f64 v[30:31], v[30:31], v[32:33], v[36:37]
	v_div_fixup_f64 v[30:31], v[30:31], v[14:15], 1.0
	v_fma_f64 v[14:15], v[18:19], v[16:17], v[20:21]
	v_fma_f64 v[16:17], v[20:21], v[16:17], -v[18:19]
	v_mul_f64 v[14:15], v[14:15], v[30:31]
	v_mul_f64 v[16:17], v[16:17], v[30:31]
	s_cbranch_execz .LBB228_27
	s_branch .LBB228_28
.LBB228_26:                             ;   in Loop: Header=BB228_21 Depth=1
                                        ; implicit-def: $vgpr16_vgpr17
.LBB228_27:                             ;   in Loop: Header=BB228_21 Depth=1
	v_div_scale_f64 v[14:15], s[10:11], v[22:23], v[22:23], v[24:25]
	v_rcp_f64_e32 v[16:17], v[14:15]
	v_div_scale_f64 v[30:31], vcc, v[24:25], v[22:23], v[24:25]
	v_fma_f64 v[32:33], -v[14:15], v[16:17], 1.0
	v_fmac_f64_e32 v[16:17], v[16:17], v[32:33]
	v_fma_f64 v[32:33], -v[14:15], v[16:17], 1.0
	v_fmac_f64_e32 v[16:17], v[16:17], v[32:33]
	v_mul_f64 v[32:33], v[30:31], v[16:17]
	v_fma_f64 v[14:15], -v[14:15], v[32:33], v[30:31]
	v_div_fmas_f64 v[14:15], v[14:15], v[16:17], v[32:33]
	v_div_fixup_f64 v[16:17], v[14:15], v[22:23], v[24:25]
	v_fmac_f64_e32 v[22:23], v[24:25], v[16:17]
	v_div_scale_f64 v[14:15], s[10:11], v[22:23], v[22:23], 1.0
	v_rcp_f64_e32 v[24:25], v[14:15]
	v_fma_f64 v[30:31], -v[14:15], v[24:25], 1.0
	v_fmac_f64_e32 v[24:25], v[24:25], v[30:31]
	v_fma_f64 v[30:31], -v[14:15], v[24:25], 1.0
	v_fmac_f64_e32 v[24:25], v[24:25], v[30:31]
	v_div_scale_f64 v[30:31], vcc, 1.0, v[22:23], 1.0
	v_mul_f64 v[32:33], v[30:31], v[24:25]
	v_fma_f64 v[14:15], -v[14:15], v[32:33], v[30:31]
	s_nop 1
	v_div_fmas_f64 v[14:15], v[14:15], v[24:25], v[32:33]
	v_div_fixup_f64 v[22:23], v[14:15], v[22:23], 1.0
	v_fma_f64 v[14:15], v[20:21], v[16:17], v[18:19]
	v_fma_f64 v[16:17], -v[18:19], v[16:17], v[20:21]
	v_mul_f64 v[14:15], v[14:15], v[22:23]
	v_mul_f64 v[16:17], v[16:17], v[22:23]
.LBB228_28:                             ;   in Loop: Header=BB228_21 Depth=1
	v_mov_b32_e32 v18, s17
	ds_read_b128 v[22:25], v18 offset:16
	ds_read_b128 v[18:21], v18 offset:400
	ds_write_b128 v28, v[14:17]
	s_waitcnt lgkmcnt(2)
	v_mul_f64 v[28:29], v[16:17], v[24:25]
	v_mul_f64 v[24:25], v[14:15], v[24:25]
	v_fma_f64 v[28:29], v[14:15], v[22:23], -v[28:29]
	v_fmac_f64_e32 v[24:25], v[16:17], v[22:23]
	v_add_f64 v[22:23], v[10:11], -v[28:29]
	s_waitcnt lgkmcnt(1)
	v_xor_b32_e32 v10, 0x80000000, v19
	v_cmp_gt_f64_e32 vcc, 0, v[18:19]
	v_add_f64 v[24:25], v[12:13], -v[24:25]
	v_cndmask_b32_e32 v11, v19, v10, vcc
	v_xor_b32_e32 v12, 0x80000000, v21
	v_cmp_gt_f64_e32 vcc, 0, v[20:21]
	v_mov_b32_e32 v10, v18
	v_cndmask_b32_e32 v13, v21, v12, vcc
	v_mov_b32_e32 v12, v20
	v_cmp_ngt_f64_e32 vcc, v[10:11], v[12:13]
	s_cbranch_vccz .LBB228_30
; %bb.29:                               ;   in Loop: Header=BB228_21 Depth=1
	v_div_scale_f64 v[10:11], s[10:11], v[20:21], v[20:21], v[18:19]
	v_rcp_f64_e32 v[12:13], v[10:11]
	v_div_scale_f64 v[28:29], vcc, v[18:19], v[20:21], v[18:19]
	v_fma_f64 v[30:31], -v[10:11], v[12:13], 1.0
	v_fmac_f64_e32 v[12:13], v[12:13], v[30:31]
	v_fma_f64 v[30:31], -v[10:11], v[12:13], 1.0
	v_fmac_f64_e32 v[12:13], v[12:13], v[30:31]
	v_mul_f64 v[30:31], v[28:29], v[12:13]
	v_fma_f64 v[10:11], -v[10:11], v[30:31], v[28:29]
	v_div_fmas_f64 v[10:11], v[10:11], v[12:13], v[30:31]
	v_div_fixup_f64 v[12:13], v[10:11], v[20:21], v[18:19]
	v_fma_f64 v[10:11], v[18:19], v[12:13], v[20:21]
	v_div_scale_f64 v[28:29], s[10:11], v[10:11], v[10:11], 1.0
	v_rcp_f64_e32 v[30:31], v[28:29]
	v_fma_f64 v[32:33], -v[28:29], v[30:31], 1.0
	v_fmac_f64_e32 v[30:31], v[30:31], v[32:33]
	v_fma_f64 v[32:33], -v[28:29], v[30:31], 1.0
	v_fmac_f64_e32 v[30:31], v[30:31], v[32:33]
	v_div_scale_f64 v[32:33], vcc, 1.0, v[10:11], 1.0
	v_mul_f64 v[34:35], v[32:33], v[30:31]
	v_fma_f64 v[28:29], -v[28:29], v[34:35], v[32:33]
	s_nop 1
	v_div_fmas_f64 v[28:29], v[28:29], v[30:31], v[34:35]
	v_div_fixup_f64 v[28:29], v[28:29], v[10:11], 1.0
	v_fma_f64 v[10:11], v[12:13], v[22:23], v[24:25]
	v_fma_f64 v[12:13], v[12:13], v[24:25], -v[22:23]
	v_mul_f64 v[10:11], v[10:11], v[28:29]
	v_mul_f64 v[12:13], v[12:13], v[28:29]
	s_cbranch_execz .LBB228_31
	s_branch .LBB228_32
.LBB228_30:                             ;   in Loop: Header=BB228_21 Depth=1
                                        ; implicit-def: $vgpr12_vgpr13
.LBB228_31:                             ;   in Loop: Header=BB228_21 Depth=1
	v_div_scale_f64 v[10:11], s[10:11], v[18:19], v[18:19], v[20:21]
	v_rcp_f64_e32 v[12:13], v[10:11]
	v_div_scale_f64 v[28:29], vcc, v[20:21], v[18:19], v[20:21]
	v_fma_f64 v[30:31], -v[10:11], v[12:13], 1.0
	v_fmac_f64_e32 v[12:13], v[12:13], v[30:31]
	v_fma_f64 v[30:31], -v[10:11], v[12:13], 1.0
	v_fmac_f64_e32 v[12:13], v[12:13], v[30:31]
	v_mul_f64 v[30:31], v[28:29], v[12:13]
	v_fma_f64 v[10:11], -v[10:11], v[30:31], v[28:29]
	v_div_fmas_f64 v[10:11], v[10:11], v[12:13], v[30:31]
	v_div_fixup_f64 v[12:13], v[10:11], v[18:19], v[20:21]
	v_fmac_f64_e32 v[18:19], v[20:21], v[12:13]
	v_div_scale_f64 v[10:11], s[10:11], v[18:19], v[18:19], 1.0
	v_rcp_f64_e32 v[20:21], v[10:11]
	v_fma_f64 v[28:29], -v[10:11], v[20:21], 1.0
	v_fmac_f64_e32 v[20:21], v[20:21], v[28:29]
	v_fma_f64 v[28:29], -v[10:11], v[20:21], 1.0
	v_fmac_f64_e32 v[20:21], v[20:21], v[28:29]
	v_div_scale_f64 v[28:29], vcc, 1.0, v[18:19], 1.0
	v_mul_f64 v[30:31], v[28:29], v[20:21]
	v_fma_f64 v[10:11], -v[10:11], v[30:31], v[28:29]
	s_nop 1
	v_div_fmas_f64 v[10:11], v[10:11], v[20:21], v[30:31]
	v_div_fixup_f64 v[18:19], v[10:11], v[18:19], 1.0
	v_fma_f64 v[10:11], v[12:13], v[24:25], v[22:23]
	v_fma_f64 v[12:13], -v[12:13], v[22:23], v[24:25]
	v_mul_f64 v[10:11], v[10:11], v[18:19]
	v_mul_f64 v[12:13], v[12:13], v[18:19]
.LBB228_32:                             ;   in Loop: Header=BB228_21 Depth=1
	v_mov_b32_e32 v18, s17
	ds_read_b128 v[22:25], v18 offset:32
	s_add_i32 s16, s16, s14
	s_lshl_b32 s16, s16, 4
	ds_write_b128 v27, v[10:13]
	v_mov_b32_e32 v27, s16
	s_waitcnt lgkmcnt(1)
	v_mul_f64 v[28:29], v[16:17], v[24:25]
	ds_read_b128 v[18:21], v18 offset:800
	v_fma_f64 v[32:33], v[14:15], v[22:23], -v[28:29]
	ds_read_b128 v[28:31], v27 offset:32
	v_mul_f64 v[24:25], v[14:15], v[24:25]
	v_fmac_f64_e32 v[24:25], v[16:17], v[22:23]
	v_add_f64 v[6:7], v[6:7], -v[32:33]
	v_add_f64 v[8:9], v[8:9], -v[24:25]
	s_waitcnt lgkmcnt(0)
	v_mul_f64 v[22:23], v[12:13], v[30:31]
	v_fma_f64 v[22:23], v[10:11], v[28:29], -v[22:23]
	v_mul_f64 v[24:25], v[10:11], v[30:31]
	v_fmac_f64_e32 v[24:25], v[12:13], v[28:29]
	v_add_f64 v[6:7], v[6:7], -v[22:23]
	v_xor_b32_e32 v22, 0x80000000, v19
	v_cmp_gt_f64_e32 vcc, 0, v[18:19]
	v_add_f64 v[8:9], v[8:9], -v[24:25]
	v_cndmask_b32_e32 v23, v19, v22, vcc
	v_xor_b32_e32 v24, 0x80000000, v21
	v_cmp_gt_f64_e32 vcc, 0, v[20:21]
	v_mov_b32_e32 v22, v18
	v_cndmask_b32_e32 v25, v21, v24, vcc
	v_mov_b32_e32 v24, v20
	v_cmp_ngt_f64_e32 vcc, v[22:23], v[24:25]
	s_cbranch_vccz .LBB228_34
; %bb.33:                               ;   in Loop: Header=BB228_21 Depth=1
	v_div_scale_f64 v[22:23], s[10:11], v[20:21], v[20:21], v[18:19]
	v_rcp_f64_e32 v[24:25], v[22:23]
	v_div_scale_f64 v[28:29], vcc, v[18:19], v[20:21], v[18:19]
	v_fma_f64 v[30:31], -v[22:23], v[24:25], 1.0
	v_fmac_f64_e32 v[24:25], v[24:25], v[30:31]
	v_fma_f64 v[30:31], -v[22:23], v[24:25], 1.0
	v_fmac_f64_e32 v[24:25], v[24:25], v[30:31]
	v_mul_f64 v[30:31], v[28:29], v[24:25]
	v_fma_f64 v[22:23], -v[22:23], v[30:31], v[28:29]
	v_div_fmas_f64 v[22:23], v[22:23], v[24:25], v[30:31]
	v_div_fixup_f64 v[24:25], v[22:23], v[20:21], v[18:19]
	v_fma_f64 v[22:23], v[18:19], v[24:25], v[20:21]
	v_div_scale_f64 v[28:29], s[10:11], v[22:23], v[22:23], 1.0
	v_rcp_f64_e32 v[30:31], v[28:29]
	v_fma_f64 v[32:33], -v[28:29], v[30:31], 1.0
	v_fmac_f64_e32 v[30:31], v[30:31], v[32:33]
	v_fma_f64 v[32:33], -v[28:29], v[30:31], 1.0
	v_fmac_f64_e32 v[30:31], v[30:31], v[32:33]
	v_div_scale_f64 v[32:33], vcc, 1.0, v[22:23], 1.0
	v_mul_f64 v[34:35], v[32:33], v[30:31]
	v_fma_f64 v[28:29], -v[28:29], v[34:35], v[32:33]
	s_nop 1
	v_div_fmas_f64 v[28:29], v[28:29], v[30:31], v[34:35]
	v_div_fixup_f64 v[28:29], v[28:29], v[22:23], 1.0
	v_fma_f64 v[22:23], v[24:25], v[6:7], v[8:9]
	v_fma_f64 v[24:25], v[24:25], v[8:9], -v[6:7]
	v_mul_f64 v[22:23], v[22:23], v[28:29]
	v_mul_f64 v[24:25], v[24:25], v[28:29]
	s_cbranch_execz .LBB228_35
	s_branch .LBB228_36
.LBB228_34:                             ;   in Loop: Header=BB228_21 Depth=1
                                        ; implicit-def: $vgpr24_vgpr25
.LBB228_35:                             ;   in Loop: Header=BB228_21 Depth=1
	v_div_scale_f64 v[22:23], s[10:11], v[18:19], v[18:19], v[20:21]
	v_rcp_f64_e32 v[24:25], v[22:23]
	v_div_scale_f64 v[28:29], vcc, v[20:21], v[18:19], v[20:21]
	v_fma_f64 v[30:31], -v[22:23], v[24:25], 1.0
	v_fmac_f64_e32 v[24:25], v[24:25], v[30:31]
	v_fma_f64 v[30:31], -v[22:23], v[24:25], 1.0
	v_fmac_f64_e32 v[24:25], v[24:25], v[30:31]
	v_mul_f64 v[30:31], v[28:29], v[24:25]
	v_fma_f64 v[22:23], -v[22:23], v[30:31], v[28:29]
	v_div_fmas_f64 v[22:23], v[22:23], v[24:25], v[30:31]
	v_div_fixup_f64 v[24:25], v[22:23], v[18:19], v[20:21]
	v_fmac_f64_e32 v[18:19], v[20:21], v[24:25]
	v_div_scale_f64 v[20:21], s[10:11], v[18:19], v[18:19], 1.0
	v_rcp_f64_e32 v[22:23], v[20:21]
	v_fma_f64 v[28:29], -v[20:21], v[22:23], 1.0
	v_fmac_f64_e32 v[22:23], v[22:23], v[28:29]
	v_fma_f64 v[28:29], -v[20:21], v[22:23], 1.0
	v_fmac_f64_e32 v[22:23], v[22:23], v[28:29]
	v_div_scale_f64 v[28:29], vcc, 1.0, v[18:19], 1.0
	v_mul_f64 v[30:31], v[28:29], v[22:23]
	v_fma_f64 v[20:21], -v[20:21], v[30:31], v[28:29]
	s_nop 1
	v_div_fmas_f64 v[20:21], v[20:21], v[22:23], v[30:31]
	v_div_fixup_f64 v[18:19], v[20:21], v[18:19], 1.0
	v_fma_f64 v[20:21], v[24:25], v[8:9], v[6:7]
	v_fma_f64 v[6:7], -v[24:25], v[6:7], v[8:9]
	v_mul_f64 v[22:23], v[20:21], v[18:19]
	v_mul_f64 v[24:25], v[6:7], v[18:19]
.LBB228_36:                             ;   in Loop: Header=BB228_21 Depth=1
	v_mov_b32_e32 v6, s17
	ds_read_b128 v[18:21], v6 offset:48
	s_add_i32 s15, s15, s14
	s_lshl_b32 s10, s15, 4
	ds_read_b128 v[6:9], v6 offset:1200
	ds_write_b128 v26, v[22:25]
	s_waitcnt lgkmcnt(2)
	v_mul_f64 v[28:29], v[16:17], v[20:21]
	v_mul_f64 v[20:21], v[14:15], v[20:21]
	v_fma_f64 v[14:15], v[14:15], v[18:19], -v[28:29]
	v_fmac_f64_e32 v[20:21], v[16:17], v[18:19]
	v_add_f64 v[18:19], v[2:3], -v[14:15]
	v_mov_b32_e32 v2, s16
	v_add_f64 v[20:21], v[4:5], -v[20:21]
	ds_read_b128 v[2:5], v2 offset:48
	v_mov_b32_e32 v14, s10
	ds_read_b128 v[14:17], v14 offset:48
	s_waitcnt lgkmcnt(3)
	v_cmp_gt_f64_e32 vcc, 0, v[6:7]
	s_waitcnt lgkmcnt(1)
	v_mul_f64 v[28:29], v[12:13], v[4:5]
	v_fma_f64 v[28:29], v[10:11], v[2:3], -v[28:29]
	v_mul_f64 v[4:5], v[10:11], v[4:5]
	s_waitcnt lgkmcnt(0)
	v_mul_f64 v[10:11], v[24:25], v[16:17]
	v_fmac_f64_e32 v[4:5], v[12:13], v[2:3]
	v_add_f64 v[2:3], v[18:19], -v[28:29]
	v_fma_f64 v[10:11], v[22:23], v[14:15], -v[10:11]
	v_mul_f64 v[12:13], v[22:23], v[16:17]
	v_add_f64 v[4:5], v[20:21], -v[4:5]
	v_fmac_f64_e32 v[12:13], v[24:25], v[14:15]
	v_add_f64 v[10:11], v[2:3], -v[10:11]
	v_xor_b32_e32 v2, 0x80000000, v7
	v_add_f64 v[12:13], v[4:5], -v[12:13]
	v_cndmask_b32_e32 v3, v7, v2, vcc
	v_xor_b32_e32 v4, 0x80000000, v9
	v_cmp_gt_f64_e32 vcc, 0, v[8:9]
	v_mov_b32_e32 v2, v6
	v_cndmask_b32_e32 v5, v9, v4, vcc
	v_mov_b32_e32 v4, v8
	v_cmp_ngt_f64_e32 vcc, v[2:3], v[4:5]
	s_cbranch_vccz .LBB228_38
; %bb.37:                               ;   in Loop: Header=BB228_21 Depth=1
	v_div_scale_f64 v[2:3], s[10:11], v[8:9], v[8:9], v[6:7]
	v_rcp_f64_e32 v[4:5], v[2:3]
	v_div_scale_f64 v[14:15], vcc, v[6:7], v[8:9], v[6:7]
	v_fma_f64 v[16:17], -v[2:3], v[4:5], 1.0
	v_fmac_f64_e32 v[4:5], v[4:5], v[16:17]
	v_fma_f64 v[16:17], -v[2:3], v[4:5], 1.0
	v_fmac_f64_e32 v[4:5], v[4:5], v[16:17]
	v_mul_f64 v[16:17], v[14:15], v[4:5]
	v_fma_f64 v[2:3], -v[2:3], v[16:17], v[14:15]
	v_div_fmas_f64 v[2:3], v[2:3], v[4:5], v[16:17]
	v_div_fixup_f64 v[4:5], v[2:3], v[8:9], v[6:7]
	v_fma_f64 v[2:3], v[6:7], v[4:5], v[8:9]
	v_div_scale_f64 v[14:15], s[10:11], v[2:3], v[2:3], 1.0
	v_rcp_f64_e32 v[16:17], v[14:15]
	v_fma_f64 v[18:19], -v[14:15], v[16:17], 1.0
	v_fmac_f64_e32 v[16:17], v[16:17], v[18:19]
	v_fma_f64 v[18:19], -v[14:15], v[16:17], 1.0
	v_fmac_f64_e32 v[16:17], v[16:17], v[18:19]
	v_div_scale_f64 v[18:19], vcc, 1.0, v[2:3], 1.0
	v_mul_f64 v[20:21], v[18:19], v[16:17]
	v_fma_f64 v[14:15], -v[14:15], v[20:21], v[18:19]
	s_nop 1
	v_div_fmas_f64 v[14:15], v[14:15], v[16:17], v[20:21]
	v_div_fixup_f64 v[14:15], v[14:15], v[2:3], 1.0
	v_fma_f64 v[2:3], v[4:5], v[10:11], v[12:13]
	v_fma_f64 v[4:5], v[4:5], v[12:13], -v[10:11]
	v_mul_f64 v[2:3], v[2:3], v[14:15]
	v_mul_f64 v[4:5], v[4:5], v[14:15]
	s_cbranch_execz .LBB228_39
	s_branch .LBB228_40
.LBB228_38:                             ;   in Loop: Header=BB228_21 Depth=1
                                        ; implicit-def: $vgpr4_vgpr5
.LBB228_39:                             ;   in Loop: Header=BB228_21 Depth=1
	v_div_scale_f64 v[2:3], s[10:11], v[6:7], v[6:7], v[8:9]
	v_rcp_f64_e32 v[4:5], v[2:3]
	v_div_scale_f64 v[14:15], vcc, v[8:9], v[6:7], v[8:9]
	v_fma_f64 v[16:17], -v[2:3], v[4:5], 1.0
	v_fmac_f64_e32 v[4:5], v[4:5], v[16:17]
	v_fma_f64 v[16:17], -v[2:3], v[4:5], 1.0
	v_fmac_f64_e32 v[4:5], v[4:5], v[16:17]
	v_mul_f64 v[16:17], v[14:15], v[4:5]
	v_fma_f64 v[2:3], -v[2:3], v[16:17], v[14:15]
	v_div_fmas_f64 v[2:3], v[2:3], v[4:5], v[16:17]
	v_div_fixup_f64 v[4:5], v[2:3], v[6:7], v[8:9]
	v_fmac_f64_e32 v[6:7], v[8:9], v[4:5]
	v_div_scale_f64 v[2:3], s[10:11], v[6:7], v[6:7], 1.0
	v_rcp_f64_e32 v[8:9], v[2:3]
	v_fma_f64 v[14:15], -v[2:3], v[8:9], 1.0
	v_fmac_f64_e32 v[8:9], v[8:9], v[14:15]
	v_fma_f64 v[14:15], -v[2:3], v[8:9], 1.0
	v_fmac_f64_e32 v[8:9], v[8:9], v[14:15]
	v_div_scale_f64 v[14:15], vcc, 1.0, v[6:7], 1.0
	v_mul_f64 v[16:17], v[14:15], v[8:9]
	v_fma_f64 v[2:3], -v[2:3], v[16:17], v[14:15]
	s_nop 1
	v_div_fmas_f64 v[2:3], v[2:3], v[8:9], v[16:17]
	v_div_fixup_f64 v[6:7], v[2:3], v[6:7], 1.0
	v_fma_f64 v[2:3], v[4:5], v[12:13], v[10:11]
	v_fma_f64 v[4:5], -v[4:5], v[10:11], v[12:13]
	v_mul_f64 v[2:3], v[2:3], v[6:7]
	v_mul_f64 v[4:5], v[4:5], v[6:7]
.LBB228_40:                             ;   in Loop: Header=BB228_21 Depth=1
	s_add_i32 s15, s14, 4
	s_add_i32 s10, s14, 7
	;; [unrolled: 1-line block ×3, first 2 shown]
	s_cmp_ge_i32 s10, s34
	ds_write_b128 v26, v[2:5] offset:384
	s_cbranch_scc1 .LBB228_42
; %bb.41:                               ;   in Loop: Header=BB228_21 Depth=1
	s_mov_b32 s14, s15
	s_branch .LBB228_21
.LBB228_42:
	s_cmp_ge_i32 s15, s34
	s_cbranch_scc1 .LBB228_57
; %bb.43:
	v_mov_b32_e32 v1, 0x2400
	s_add_i32 s1, s15, -1
	s_lshl_b32 s14, s15, 4
	v_lshl_or_b32 v1, v0, 4, v1
	s_mov_b32 s16, 0
	s_mov_b32 s17, s15
	s_branch .LBB228_45
.LBB228_44:                             ;   in Loop: Header=BB228_45 Depth=1
	s_add_i32 s15, s15, 1
	s_add_i32 s16, s16, 1
	;; [unrolled: 1-line block ×3, first 2 shown]
	v_add_u16_e64 v2, s17, 1
	s_cmp_ge_i32 s15, s34
	v_readfirstlane_b32 s17, v2
	ds_write_b128 v14, v[10:13]
	s_cbranch_scc1 .LBB228_57
.LBB228_45:                             ; =>This Loop Header: Depth=1
                                        ;     Child Loop BB228_48 Depth 2
                                        ;     Child Loop BB228_52 Depth 2
	s_mul_i32 s10, s15, 24
	v_add_lshl_u32 v6, s10, v0, 4
	ds_read_b128 v[2:5], v6 offset:9216
	s_cmp_eq_u32 s15, 0
	s_cbranch_scc1 .LBB228_53
; %bb.46:                               ;   in Loop: Header=BB228_45 Depth=1
	s_add_i32 s10, s1, s16
	s_cmp_lt_u32 s10, 7
	s_cbranch_scc1 .LBB228_50
; %bb.47:                               ;   in Loop: Header=BB228_45 Depth=1
	s_and_b32 s10, s15, -8
	s_mov_b32 s11, 0
	v_mov_b32_e32 v7, v1
	s_mov_b32 s18, s14
.LBB228_48:                             ;   Parent Loop BB228_45 Depth=1
                                        ; =>  This Inner Loop Header: Depth=2
	v_mov_b32_e32 v68, s18
	ds_read_b128 v[8:11], v7
	ds_read_b128 v[12:15], v7 offset:384
	ds_read_b128 v[16:19], v7 offset:768
	;; [unrolled: 1-line block ×7, first 2 shown]
	ds_read_b128 v[40:43], v68
	ds_read_b128 v[44:47], v68 offset:384
	ds_read_b128 v[48:51], v68 offset:768
	ds_read_b128 v[52:55], v68 offset:1152
	ds_read_b128 v[56:59], v68 offset:1536
	ds_read_b128 v[60:63], v68 offset:1920
	ds_read_b128 v[64:67], v68 offset:2304
	ds_read_b128 v[68:71], v68 offset:2688
	s_waitcnt lgkmcnt(7)
	v_mul_f64 v[72:73], v[42:43], v[10:11]
	v_mul_f64 v[10:11], v[40:41], v[10:11]
	s_waitcnt lgkmcnt(6)
	v_mul_f64 v[74:75], v[46:47], v[14:15]
	v_mul_f64 v[14:15], v[44:45], v[14:15]
	v_fma_f64 v[40:41], v[40:41], v[8:9], -v[72:73]
	v_fmac_f64_e32 v[10:11], v[42:43], v[8:9]
	s_waitcnt lgkmcnt(5)
	v_mul_f64 v[76:77], v[50:51], v[18:19]
	v_mul_f64 v[18:19], v[48:49], v[18:19]
	v_fma_f64 v[8:9], v[44:45], v[12:13], -v[74:75]
	v_fmac_f64_e32 v[14:15], v[46:47], v[12:13]
	v_add_f64 v[2:3], v[2:3], -v[40:41]
	v_add_f64 v[4:5], v[4:5], -v[10:11]
	s_waitcnt lgkmcnt(4)
	v_mul_f64 v[78:79], v[54:55], v[22:23]
	v_mul_f64 v[22:23], v[52:53], v[22:23]
	v_fma_f64 v[12:13], v[48:49], v[16:17], -v[76:77]
	v_fmac_f64_e32 v[18:19], v[50:51], v[16:17]
	v_add_f64 v[2:3], v[2:3], -v[8:9]
	v_add_f64 v[4:5], v[4:5], -v[14:15]
	;; [unrolled: 7-line block ×6, first 2 shown]
	s_add_i32 s11, s11, 8
	s_addk_i32 s18, 0xc00
	v_fma_f64 v[32:33], v[68:69], v[36:37], -v[86:87]
	v_fmac_f64_e32 v[38:39], v[70:71], v[36:37]
	v_add_f64 v[2:3], v[2:3], -v[28:29]
	v_add_f64 v[4:5], v[4:5], -v[34:35]
	v_add_u32_e32 v7, 0xc00, v7
	s_cmp_eq_u32 s10, s11
	v_add_f64 v[2:3], v[2:3], -v[32:33]
	v_add_f64 v[4:5], v[4:5], -v[38:39]
	s_cbranch_scc0 .LBB228_48
; %bb.49:                               ;   in Loop: Header=BB228_45 Depth=1
	s_and_b32 s11, s15, 7
	s_cmp_eq_u32 s11, 0
	s_cbranch_scc0 .LBB228_51
	s_branch .LBB228_53
.LBB228_50:                             ;   in Loop: Header=BB228_45 Depth=1
	s_mov_b32 s10, 0
	s_and_b32 s11, s15, 7
	s_cmp_eq_u32 s11, 0
	s_cbranch_scc1 .LBB228_53
.LBB228_51:                             ;   in Loop: Header=BB228_45 Depth=1
	s_and_b32 s11, s17, 7
	s_mulk_i32 s10, 0x180
.LBB228_52:                             ;   Parent Loop BB228_45 Depth=1
                                        ; =>  This Inner Loop Header: Depth=2
	s_add_i32 s18, s14, s10
	v_add_u32_e32 v7, s10, v1
	v_mov_b32_e32 v12, s18
	ds_read_b128 v[8:11], v7
	ds_read_b128 v[12:15], v12
	s_add_i32 s11, s11, -1
	s_addk_i32 s10, 0x180
	s_cmp_lg_u32 s11, 0
	s_waitcnt lgkmcnt(0)
	v_mul_f64 v[16:17], v[14:15], v[10:11]
	v_mul_f64 v[10:11], v[12:13], v[10:11]
	v_fma_f64 v[12:13], v[12:13], v[8:9], -v[16:17]
	v_fmac_f64_e32 v[10:11], v[14:15], v[8:9]
	v_add_f64 v[2:3], v[2:3], -v[12:13]
	v_add_f64 v[4:5], v[4:5], -v[10:11]
	s_cbranch_scc1 .LBB228_52
.LBB228_53:                             ;   in Loop: Header=BB228_45 Depth=1
	s_mul_i32 s10, s15, 0x190
	v_add_u32_e32 v14, 0x2400, v6
	v_mov_b32_e32 v6, s10
	ds_read_b128 v[6:9], v6
	s_waitcnt lgkmcnt(0)
	v_xor_b32_e32 v11, 0x80000000, v7
	v_cmp_gt_f64_e32 vcc, 0, v[6:7]
	v_xor_b32_e32 v12, 0x80000000, v9
	v_cndmask_b32_e32 v11, v7, v11, vcc
	v_cmp_gt_f64_e32 vcc, 0, v[8:9]
	v_mov_b32_e32 v10, v6
	v_cndmask_b32_e32 v13, v9, v12, vcc
	v_mov_b32_e32 v12, v8
	v_cmp_ngt_f64_e32 vcc, v[10:11], v[12:13]
	s_cbranch_vccz .LBB228_55
; %bb.54:                               ;   in Loop: Header=BB228_45 Depth=1
	v_div_scale_f64 v[10:11], s[10:11], v[8:9], v[8:9], v[6:7]
	v_rcp_f64_e32 v[12:13], v[10:11]
	v_div_scale_f64 v[16:17], vcc, v[6:7], v[8:9], v[6:7]
	v_fma_f64 v[18:19], -v[10:11], v[12:13], 1.0
	v_fmac_f64_e32 v[12:13], v[12:13], v[18:19]
	v_fma_f64 v[18:19], -v[10:11], v[12:13], 1.0
	v_fmac_f64_e32 v[12:13], v[12:13], v[18:19]
	v_mul_f64 v[18:19], v[16:17], v[12:13]
	v_fma_f64 v[10:11], -v[10:11], v[18:19], v[16:17]
	v_div_fmas_f64 v[10:11], v[10:11], v[12:13], v[18:19]
	v_div_fixup_f64 v[12:13], v[10:11], v[8:9], v[6:7]
	v_fma_f64 v[10:11], v[6:7], v[12:13], v[8:9]
	v_div_scale_f64 v[16:17], s[10:11], v[10:11], v[10:11], 1.0
	v_rcp_f64_e32 v[18:19], v[16:17]
	v_fma_f64 v[20:21], -v[16:17], v[18:19], 1.0
	v_fmac_f64_e32 v[18:19], v[18:19], v[20:21]
	v_fma_f64 v[20:21], -v[16:17], v[18:19], 1.0
	v_fmac_f64_e32 v[18:19], v[18:19], v[20:21]
	v_div_scale_f64 v[20:21], vcc, 1.0, v[10:11], 1.0
	v_mul_f64 v[22:23], v[20:21], v[18:19]
	v_fma_f64 v[16:17], -v[16:17], v[22:23], v[20:21]
	s_nop 1
	v_div_fmas_f64 v[16:17], v[16:17], v[18:19], v[22:23]
	v_div_fixup_f64 v[16:17], v[16:17], v[10:11], 1.0
	v_fma_f64 v[10:11], v[2:3], v[12:13], v[4:5]
	v_fma_f64 v[12:13], v[4:5], v[12:13], -v[2:3]
	v_mul_f64 v[10:11], v[10:11], v[16:17]
	v_mul_f64 v[12:13], v[12:13], v[16:17]
	s_cbranch_execnz .LBB228_44
	s_branch .LBB228_56
.LBB228_55:                             ;   in Loop: Header=BB228_45 Depth=1
                                        ; implicit-def: $vgpr10_vgpr11
.LBB228_56:                             ;   in Loop: Header=BB228_45 Depth=1
	v_div_scale_f64 v[10:11], s[10:11], v[6:7], v[6:7], v[8:9]
	v_rcp_f64_e32 v[12:13], v[10:11]
	v_div_scale_f64 v[16:17], vcc, v[8:9], v[6:7], v[8:9]
	v_fma_f64 v[18:19], -v[10:11], v[12:13], 1.0
	v_fmac_f64_e32 v[12:13], v[12:13], v[18:19]
	v_fma_f64 v[18:19], -v[10:11], v[12:13], 1.0
	v_fmac_f64_e32 v[12:13], v[12:13], v[18:19]
	v_mul_f64 v[18:19], v[16:17], v[12:13]
	v_fma_f64 v[10:11], -v[10:11], v[18:19], v[16:17]
	v_div_fmas_f64 v[10:11], v[10:11], v[12:13], v[18:19]
	v_div_fixup_f64 v[12:13], v[10:11], v[6:7], v[8:9]
	v_fmac_f64_e32 v[6:7], v[8:9], v[12:13]
	v_div_scale_f64 v[8:9], s[10:11], v[6:7], v[6:7], 1.0
	v_rcp_f64_e32 v[10:11], v[8:9]
	v_fma_f64 v[16:17], -v[8:9], v[10:11], 1.0
	v_fmac_f64_e32 v[10:11], v[10:11], v[16:17]
	v_fma_f64 v[16:17], -v[8:9], v[10:11], 1.0
	v_fmac_f64_e32 v[10:11], v[10:11], v[16:17]
	v_div_scale_f64 v[16:17], vcc, 1.0, v[6:7], 1.0
	v_mul_f64 v[18:19], v[16:17], v[10:11]
	v_fma_f64 v[8:9], -v[8:9], v[18:19], v[16:17]
	s_nop 1
	v_div_fmas_f64 v[8:9], v[8:9], v[10:11], v[18:19]
	v_div_fixup_f64 v[6:7], v[8:9], v[6:7], 1.0
	v_fma_f64 v[8:9], v[4:5], v[12:13], v[2:3]
	v_fma_f64 v[2:3], -v[2:3], v[12:13], v[4:5]
	v_mul_f64 v[10:11], v[8:9], v[6:7]
	v_mul_f64 v[12:13], v[2:3], v[6:7]
	s_branch .LBB228_44
.LBB228_57:
	s_mov_b64 s[10:11], 0
.LBB228_58:
	s_and_b64 vcc, exec, s[10:11]
	s_cbranch_vccz .LBB228_90
; %bb.59:
	s_andn2_b64 vcc, exec, s[8:9]
	s_mov_b32 s15, s35
	s_cbranch_vccnz .LBB228_81
; %bb.60:
	s_mul_i32 s1, s34, 0x180
	v_lshl_add_u32 v1, v0, 4, s1
	s_mul_i32 s1, s34, 0x190
	v_add_u32_e32 v1, 0x2100, v1
	s_addk_i32 s1, 0xfcc0
	s_mov_b32 s14, s35
.LBB228_61:                             ; =>This Loop Header: Depth=1
                                        ;     Child Loop BB228_62 Depth 2
	s_mul_i32 s17, s14, 24
	s_sub_i32 s15, s17, 48
	v_add_lshl_u32 v18, s17, v0, 4
	s_sub_i32 s16, s17, 24
	v_add_lshl_u32 v20, s15, v0, 4
	v_add_lshl_u32 v19, s16, v0, 4
	ds_read_b128 v[14:17], v18 offset:9216
	ds_read_b128 v[10:13], v19 offset:9216
	;; [unrolled: 1-line block ×4, first 2 shown]
	s_cmp_le_i32 s35, s14
	s_mov_b32 s10, s1
	v_mov_b32_e32 v21, v1
	s_mov_b32 s11, s35
	s_cbranch_scc1 .LBB228_63
.LBB228_62:                             ;   Parent Loop BB228_61 Depth=1
                                        ; =>  This Inner Loop Header: Depth=2
	v_mov_b32_e32 v58, s10
	ds_read_b128 v[22:25], v21 offset:384
	ds_read_b128 v[26:29], v21
	ds_read_b128 v[30:33], v58 offset:432
	ds_read_b128 v[34:37], v58 offset:416
	;; [unrolled: 1-line block ×4, first 2 shown]
	ds_read_b128 v[46:49], v58
	ds_read_b128 v[50:53], v58 offset:16
	ds_read_b128 v[54:57], v58 offset:32
	;; [unrolled: 1-line block ×3, first 2 shown]
	s_add_i32 s11, s11, -2
	s_addk_i32 s10, 0xfd00
	s_waitcnt lgkmcnt(7)
	v_mul_f64 v[62:63], v[24:25], v[32:33]
	v_mul_f64 v[32:33], v[22:23], v[32:33]
	s_waitcnt lgkmcnt(6)
	v_mul_f64 v[64:65], v[24:25], v[36:37]
	v_mul_f64 v[36:37], v[22:23], v[36:37]
	;; [unrolled: 3-line block ×5, first 2 shown]
	v_mul_f64 v[72:73], v[28:29], v[56:57]
	v_mul_f64 v[56:57], v[26:27], v[56:57]
	;; [unrolled: 1-line block ×6, first 2 shown]
	v_fma_f64 v[62:63], v[22:23], v[30:31], -v[62:63]
	v_fmac_f64_e32 v[32:33], v[24:25], v[30:31]
	v_fma_f64 v[30:31], v[22:23], v[34:35], -v[64:65]
	v_fmac_f64_e32 v[36:37], v[24:25], v[34:35]
	;; [unrolled: 2-line block ×8, first 2 shown]
	v_add_f64 v[14:15], v[14:15], -v[62:63]
	v_add_f64 v[16:17], v[16:17], -v[32:33]
	;; [unrolled: 1-line block ×8, first 2 shown]
	v_add_u32_e32 v21, 0xfffffd00, v21
	s_cmp_le_i32 s11, s14
	v_add_f64 v[14:15], v[14:15], -v[24:25]
	v_add_f64 v[16:17], v[16:17], -v[60:61]
	;; [unrolled: 1-line block ×8, first 2 shown]
	s_cbranch_scc0 .LBB228_62
.LBB228_63:                             ;   in Loop: Header=BB228_61 Depth=1
	s_mul_i32 s18, s14, 0x190
	v_add_u32_e32 v29, 0x2400, v18
	v_mov_b32_e32 v18, s18
	ds_read_b128 v[22:25], v18
	v_add_u32_e32 v28, 0x2400, v19
	v_add_u32_e32 v27, 0x2400, v20
	;; [unrolled: 1-line block ×3, first 2 shown]
	s_waitcnt lgkmcnt(0)
	v_xor_b32_e32 v19, 0x80000000, v23
	v_cmp_gt_f64_e32 vcc, 0, v[22:23]
	v_xor_b32_e32 v20, 0x80000000, v25
	v_cndmask_b32_e32 v19, v23, v19, vcc
	v_cmp_gt_f64_e32 vcc, 0, v[24:25]
	v_mov_b32_e32 v18, v22
	v_cndmask_b32_e32 v21, v25, v20, vcc
	v_mov_b32_e32 v20, v24
	v_cmp_ngt_f64_e32 vcc, v[18:19], v[20:21]
	s_cbranch_vccz .LBB228_65
; %bb.64:                               ;   in Loop: Header=BB228_61 Depth=1
	v_div_scale_f64 v[18:19], s[10:11], v[24:25], v[24:25], v[22:23]
	v_rcp_f64_e32 v[20:21], v[18:19]
	v_div_scale_f64 v[30:31], vcc, v[22:23], v[24:25], v[22:23]
	v_fma_f64 v[32:33], -v[18:19], v[20:21], 1.0
	v_fmac_f64_e32 v[20:21], v[20:21], v[32:33]
	v_fma_f64 v[32:33], -v[18:19], v[20:21], 1.0
	v_fmac_f64_e32 v[20:21], v[20:21], v[32:33]
	v_mul_f64 v[32:33], v[30:31], v[20:21]
	v_fma_f64 v[18:19], -v[18:19], v[32:33], v[30:31]
	v_div_fmas_f64 v[18:19], v[18:19], v[20:21], v[32:33]
	v_div_fixup_f64 v[20:21], v[18:19], v[24:25], v[22:23]
	v_fma_f64 v[18:19], v[22:23], v[20:21], v[24:25]
	v_div_scale_f64 v[30:31], s[10:11], v[18:19], v[18:19], 1.0
	v_rcp_f64_e32 v[32:33], v[30:31]
	v_fma_f64 v[34:35], -v[30:31], v[32:33], 1.0
	v_fmac_f64_e32 v[32:33], v[32:33], v[34:35]
	v_fma_f64 v[34:35], -v[30:31], v[32:33], 1.0
	v_fmac_f64_e32 v[32:33], v[32:33], v[34:35]
	v_div_scale_f64 v[34:35], vcc, 1.0, v[18:19], 1.0
	v_mul_f64 v[36:37], v[34:35], v[32:33]
	v_fma_f64 v[30:31], -v[30:31], v[36:37], v[34:35]
	s_nop 1
	v_div_fmas_f64 v[30:31], v[30:31], v[32:33], v[36:37]
	v_div_fixup_f64 v[30:31], v[30:31], v[18:19], 1.0
	v_fma_f64 v[18:19], v[14:15], v[20:21], v[16:17]
	v_fma_f64 v[20:21], v[16:17], v[20:21], -v[14:15]
	v_mul_f64 v[18:19], v[18:19], v[30:31]
	v_mul_f64 v[20:21], v[20:21], v[30:31]
	s_cbranch_execz .LBB228_66
	s_branch .LBB228_67
.LBB228_65:                             ;   in Loop: Header=BB228_61 Depth=1
                                        ; implicit-def: $vgpr20_vgpr21
.LBB228_66:                             ;   in Loop: Header=BB228_61 Depth=1
	v_div_scale_f64 v[18:19], s[10:11], v[22:23], v[22:23], v[24:25]
	v_rcp_f64_e32 v[20:21], v[18:19]
	v_div_scale_f64 v[30:31], vcc, v[24:25], v[22:23], v[24:25]
	v_fma_f64 v[32:33], -v[18:19], v[20:21], 1.0
	v_fmac_f64_e32 v[20:21], v[20:21], v[32:33]
	v_fma_f64 v[32:33], -v[18:19], v[20:21], 1.0
	v_fmac_f64_e32 v[20:21], v[20:21], v[32:33]
	v_mul_f64 v[32:33], v[30:31], v[20:21]
	v_fma_f64 v[18:19], -v[18:19], v[32:33], v[30:31]
	v_div_fmas_f64 v[18:19], v[18:19], v[20:21], v[32:33]
	v_div_fixup_f64 v[20:21], v[18:19], v[22:23], v[24:25]
	v_fmac_f64_e32 v[22:23], v[24:25], v[20:21]
	v_div_scale_f64 v[18:19], s[10:11], v[22:23], v[22:23], 1.0
	v_rcp_f64_e32 v[24:25], v[18:19]
	v_fma_f64 v[30:31], -v[18:19], v[24:25], 1.0
	v_fmac_f64_e32 v[24:25], v[24:25], v[30:31]
	v_fma_f64 v[30:31], -v[18:19], v[24:25], 1.0
	v_fmac_f64_e32 v[24:25], v[24:25], v[30:31]
	v_div_scale_f64 v[30:31], vcc, 1.0, v[22:23], 1.0
	v_mul_f64 v[32:33], v[30:31], v[24:25]
	v_fma_f64 v[18:19], -v[18:19], v[32:33], v[30:31]
	s_nop 1
	v_div_fmas_f64 v[18:19], v[18:19], v[24:25], v[32:33]
	v_div_fixup_f64 v[22:23], v[18:19], v[22:23], 1.0
	v_fma_f64 v[18:19], v[16:17], v[20:21], v[14:15]
	v_fma_f64 v[14:15], -v[14:15], v[20:21], v[16:17]
	v_mul_f64 v[18:19], v[18:19], v[22:23]
	v_mul_f64 v[20:21], v[14:15], v[22:23]
.LBB228_67:                             ;   in Loop: Header=BB228_61 Depth=1
	s_add_i32 s10, s14, s17
	s_lshl_b32 s10, s10, 4
	s_add_i32 s10, s10, -16
	v_mov_b32_e32 v14, s10
	ds_read_b128 v[22:25], v14
	s_addk_i32 s18, 0xfe70
	v_mov_b32_e32 v14, s18
	ds_read_b128 v[14:17], v14
	ds_write_b128 v29, v[18:21]
	s_waitcnt lgkmcnt(2)
	v_mul_f64 v[30:31], v[20:21], v[24:25]
	v_fma_f64 v[30:31], v[18:19], v[22:23], -v[30:31]
	v_mul_f64 v[24:25], v[18:19], v[24:25]
	v_fmac_f64_e32 v[24:25], v[20:21], v[22:23]
	v_add_f64 v[22:23], v[10:11], -v[30:31]
	s_waitcnt lgkmcnt(1)
	v_xor_b32_e32 v10, 0x80000000, v15
	v_cmp_gt_f64_e32 vcc, 0, v[14:15]
	v_add_f64 v[24:25], v[12:13], -v[24:25]
	v_cndmask_b32_e32 v11, v15, v10, vcc
	v_xor_b32_e32 v12, 0x80000000, v17
	v_cmp_gt_f64_e32 vcc, 0, v[16:17]
	v_mov_b32_e32 v10, v14
	v_cndmask_b32_e32 v13, v17, v12, vcc
	v_mov_b32_e32 v12, v16
	v_cmp_ngt_f64_e32 vcc, v[10:11], v[12:13]
	s_cbranch_vccz .LBB228_69
; %bb.68:                               ;   in Loop: Header=BB228_61 Depth=1
	v_div_scale_f64 v[10:11], s[10:11], v[16:17], v[16:17], v[14:15]
	v_rcp_f64_e32 v[12:13], v[10:11]
	v_div_scale_f64 v[30:31], vcc, v[14:15], v[16:17], v[14:15]
	v_fma_f64 v[32:33], -v[10:11], v[12:13], 1.0
	v_fmac_f64_e32 v[12:13], v[12:13], v[32:33]
	v_fma_f64 v[32:33], -v[10:11], v[12:13], 1.0
	v_fmac_f64_e32 v[12:13], v[12:13], v[32:33]
	v_mul_f64 v[32:33], v[30:31], v[12:13]
	v_fma_f64 v[10:11], -v[10:11], v[32:33], v[30:31]
	v_div_fmas_f64 v[10:11], v[10:11], v[12:13], v[32:33]
	v_div_fixup_f64 v[12:13], v[10:11], v[16:17], v[14:15]
	v_fma_f64 v[10:11], v[14:15], v[12:13], v[16:17]
	v_div_scale_f64 v[30:31], s[10:11], v[10:11], v[10:11], 1.0
	v_rcp_f64_e32 v[32:33], v[30:31]
	v_fma_f64 v[34:35], -v[30:31], v[32:33], 1.0
	v_fmac_f64_e32 v[32:33], v[32:33], v[34:35]
	v_fma_f64 v[34:35], -v[30:31], v[32:33], 1.0
	v_fmac_f64_e32 v[32:33], v[32:33], v[34:35]
	v_div_scale_f64 v[34:35], vcc, 1.0, v[10:11], 1.0
	v_mul_f64 v[36:37], v[34:35], v[32:33]
	v_fma_f64 v[30:31], -v[30:31], v[36:37], v[34:35]
	s_nop 1
	v_div_fmas_f64 v[30:31], v[30:31], v[32:33], v[36:37]
	v_div_fixup_f64 v[30:31], v[30:31], v[10:11], 1.0
	v_fma_f64 v[10:11], v[12:13], v[22:23], v[24:25]
	v_fma_f64 v[12:13], v[12:13], v[24:25], -v[22:23]
	v_mul_f64 v[10:11], v[10:11], v[30:31]
	v_mul_f64 v[12:13], v[12:13], v[30:31]
	s_cbranch_execz .LBB228_70
	s_branch .LBB228_71
.LBB228_69:                             ;   in Loop: Header=BB228_61 Depth=1
                                        ; implicit-def: $vgpr12_vgpr13
.LBB228_70:                             ;   in Loop: Header=BB228_61 Depth=1
	v_div_scale_f64 v[10:11], s[10:11], v[14:15], v[14:15], v[16:17]
	v_rcp_f64_e32 v[12:13], v[10:11]
	v_div_scale_f64 v[30:31], vcc, v[16:17], v[14:15], v[16:17]
	v_fma_f64 v[32:33], -v[10:11], v[12:13], 1.0
	v_fmac_f64_e32 v[12:13], v[12:13], v[32:33]
	v_fma_f64 v[32:33], -v[10:11], v[12:13], 1.0
	v_fmac_f64_e32 v[12:13], v[12:13], v[32:33]
	v_mul_f64 v[32:33], v[30:31], v[12:13]
	v_fma_f64 v[10:11], -v[10:11], v[32:33], v[30:31]
	v_div_fmas_f64 v[10:11], v[10:11], v[12:13], v[32:33]
	v_div_fixup_f64 v[12:13], v[10:11], v[14:15], v[16:17]
	v_fmac_f64_e32 v[14:15], v[16:17], v[12:13]
	v_div_scale_f64 v[10:11], s[10:11], v[14:15], v[14:15], 1.0
	v_rcp_f64_e32 v[16:17], v[10:11]
	v_fma_f64 v[30:31], -v[10:11], v[16:17], 1.0
	v_fmac_f64_e32 v[16:17], v[16:17], v[30:31]
	v_fma_f64 v[30:31], -v[10:11], v[16:17], 1.0
	v_fmac_f64_e32 v[16:17], v[16:17], v[30:31]
	v_div_scale_f64 v[30:31], vcc, 1.0, v[14:15], 1.0
	v_mul_f64 v[32:33], v[30:31], v[16:17]
	v_fma_f64 v[10:11], -v[10:11], v[32:33], v[30:31]
	s_nop 1
	v_div_fmas_f64 v[10:11], v[10:11], v[16:17], v[32:33]
	v_div_fixup_f64 v[14:15], v[10:11], v[14:15], 1.0
	v_fma_f64 v[10:11], v[12:13], v[24:25], v[22:23]
	v_fma_f64 v[12:13], -v[12:13], v[22:23], v[24:25]
	v_mul_f64 v[10:11], v[10:11], v[14:15]
	v_mul_f64 v[12:13], v[12:13], v[14:15]
.LBB228_71:                             ;   in Loop: Header=BB228_61 Depth=1
	s_add_i32 s10, s14, -2
	s_add_i32 s11, s17, s10
	s_lshl_b32 s11, s11, 4
	v_mov_b32_e32 v14, s11
	s_add_i32 s10, s16, s10
	ds_read_b128 v[14:17], v14
	s_lshl_b32 s10, s10, 4
	v_mov_b32_e32 v22, s10
	ds_read_b128 v[22:25], v22
	ds_write_b128 v28, v[10:13]
	s_waitcnt lgkmcnt(2)
	v_mul_f64 v[28:29], v[20:21], v[16:17]
	v_fma_f64 v[28:29], v[18:19], v[14:15], -v[28:29]
	v_mul_f64 v[16:17], v[18:19], v[16:17]
	v_fmac_f64_e32 v[16:17], v[20:21], v[14:15]
	v_add_f64 v[14:15], v[6:7], -v[28:29]
	s_waitcnt lgkmcnt(1)
	v_mul_f64 v[6:7], v[12:13], v[24:25]
	s_addk_i32 s18, 0xfe70
	v_fma_f64 v[28:29], v[10:11], v[22:23], -v[6:7]
	v_mov_b32_e32 v6, s18
	v_add_f64 v[16:17], v[8:9], -v[16:17]
	ds_read_b128 v[6:9], v6
	v_mul_f64 v[24:25], v[10:11], v[24:25]
	v_fmac_f64_e32 v[24:25], v[12:13], v[22:23]
	v_add_f64 v[22:23], v[14:15], -v[28:29]
	v_add_f64 v[24:25], v[16:17], -v[24:25]
	s_waitcnt lgkmcnt(0)
	v_xor_b32_e32 v14, 0x80000000, v7
	v_cmp_gt_f64_e32 vcc, 0, v[6:7]
	v_cndmask_b32_e32 v15, v7, v14, vcc
	v_xor_b32_e32 v16, 0x80000000, v9
	v_cmp_gt_f64_e32 vcc, 0, v[8:9]
	v_mov_b32_e32 v14, v6
	v_cndmask_b32_e32 v17, v9, v16, vcc
	v_mov_b32_e32 v16, v8
	v_cmp_ngt_f64_e32 vcc, v[14:15], v[16:17]
	s_cbranch_vccz .LBB228_73
; %bb.72:                               ;   in Loop: Header=BB228_61 Depth=1
	v_div_scale_f64 v[14:15], s[10:11], v[8:9], v[8:9], v[6:7]
	v_rcp_f64_e32 v[16:17], v[14:15]
	v_div_scale_f64 v[28:29], vcc, v[6:7], v[8:9], v[6:7]
	v_fma_f64 v[30:31], -v[14:15], v[16:17], 1.0
	v_fmac_f64_e32 v[16:17], v[16:17], v[30:31]
	v_fma_f64 v[30:31], -v[14:15], v[16:17], 1.0
	v_fmac_f64_e32 v[16:17], v[16:17], v[30:31]
	v_mul_f64 v[30:31], v[28:29], v[16:17]
	v_fma_f64 v[14:15], -v[14:15], v[30:31], v[28:29]
	v_div_fmas_f64 v[14:15], v[14:15], v[16:17], v[30:31]
	v_div_fixup_f64 v[16:17], v[14:15], v[8:9], v[6:7]
	v_fma_f64 v[14:15], v[6:7], v[16:17], v[8:9]
	v_div_scale_f64 v[28:29], s[10:11], v[14:15], v[14:15], 1.0
	v_rcp_f64_e32 v[30:31], v[28:29]
	v_fma_f64 v[32:33], -v[28:29], v[30:31], 1.0
	v_fmac_f64_e32 v[30:31], v[30:31], v[32:33]
	v_fma_f64 v[32:33], -v[28:29], v[30:31], 1.0
	v_fmac_f64_e32 v[30:31], v[30:31], v[32:33]
	v_div_scale_f64 v[32:33], vcc, 1.0, v[14:15], 1.0
	v_mul_f64 v[34:35], v[32:33], v[30:31]
	v_fma_f64 v[28:29], -v[28:29], v[34:35], v[32:33]
	s_nop 1
	v_div_fmas_f64 v[28:29], v[28:29], v[30:31], v[34:35]
	v_div_fixup_f64 v[28:29], v[28:29], v[14:15], 1.0
	v_fma_f64 v[14:15], v[16:17], v[22:23], v[24:25]
	v_fma_f64 v[16:17], v[16:17], v[24:25], -v[22:23]
	v_mul_f64 v[14:15], v[14:15], v[28:29]
	v_mul_f64 v[16:17], v[16:17], v[28:29]
	s_cbranch_execz .LBB228_74
	s_branch .LBB228_75
.LBB228_73:                             ;   in Loop: Header=BB228_61 Depth=1
                                        ; implicit-def: $vgpr16_vgpr17
.LBB228_74:                             ;   in Loop: Header=BB228_61 Depth=1
	v_div_scale_f64 v[14:15], s[10:11], v[6:7], v[6:7], v[8:9]
	v_rcp_f64_e32 v[16:17], v[14:15]
	v_div_scale_f64 v[28:29], vcc, v[8:9], v[6:7], v[8:9]
	v_fma_f64 v[30:31], -v[14:15], v[16:17], 1.0
	v_fmac_f64_e32 v[16:17], v[16:17], v[30:31]
	v_fma_f64 v[30:31], -v[14:15], v[16:17], 1.0
	v_fmac_f64_e32 v[16:17], v[16:17], v[30:31]
	v_mul_f64 v[30:31], v[28:29], v[16:17]
	v_fma_f64 v[14:15], -v[14:15], v[30:31], v[28:29]
	v_div_fmas_f64 v[14:15], v[14:15], v[16:17], v[30:31]
	v_div_fixup_f64 v[16:17], v[14:15], v[6:7], v[8:9]
	v_fmac_f64_e32 v[6:7], v[8:9], v[16:17]
	v_div_scale_f64 v[8:9], s[10:11], v[6:7], v[6:7], 1.0
	v_rcp_f64_e32 v[14:15], v[8:9]
	v_fma_f64 v[28:29], -v[8:9], v[14:15], 1.0
	v_fmac_f64_e32 v[14:15], v[14:15], v[28:29]
	v_fma_f64 v[28:29], -v[8:9], v[14:15], 1.0
	v_fmac_f64_e32 v[14:15], v[14:15], v[28:29]
	v_div_scale_f64 v[28:29], vcc, 1.0, v[6:7], 1.0
	v_mul_f64 v[30:31], v[28:29], v[14:15]
	v_fma_f64 v[8:9], -v[8:9], v[30:31], v[28:29]
	s_nop 1
	v_div_fmas_f64 v[8:9], v[8:9], v[14:15], v[30:31]
	v_div_fixup_f64 v[6:7], v[8:9], v[6:7], 1.0
	v_fma_f64 v[8:9], v[16:17], v[24:25], v[22:23]
	v_mul_f64 v[14:15], v[8:9], v[6:7]
	v_fma_f64 v[8:9], -v[16:17], v[22:23], v[24:25]
	v_mul_f64 v[16:17], v[8:9], v[6:7]
.LBB228_75:                             ;   in Loop: Header=BB228_61 Depth=1
	s_add_i32 s10, s14, -3
	s_add_i32 s17, s17, s10
	s_lshl_b32 s11, s17, 4
	s_add_i32 s16, s16, s10
	v_mov_b32_e32 v6, s11
	s_lshl_b32 s11, s16, 4
	ds_read_b128 v[6:9], v6
	v_mov_b32_e32 v22, s11
	ds_read_b128 v[22:25], v22
	s_add_i32 s15, s15, s10
	s_lshl_b32 s10, s15, 4
	s_waitcnt lgkmcnt(1)
	v_mul_f64 v[28:29], v[20:21], v[8:9]
	v_mul_f64 v[8:9], v[18:19], v[8:9]
	v_fma_f64 v[28:29], v[18:19], v[6:7], -v[28:29]
	v_fmac_f64_e32 v[8:9], v[20:21], v[6:7]
	s_waitcnt lgkmcnt(0)
	v_mul_f64 v[6:7], v[12:13], v[24:25]
	v_add_f64 v[2:3], v[2:3], -v[28:29]
	v_fma_f64 v[6:7], v[10:11], v[22:23], -v[6:7]
	v_mul_f64 v[10:11], v[10:11], v[24:25]
	v_fmac_f64_e32 v[10:11], v[12:13], v[22:23]
	v_add_f64 v[12:13], v[2:3], -v[6:7]
	v_mov_b32_e32 v2, s10
	s_add_i32 s10, s18, 0xfffffe70
	v_add_f64 v[4:5], v[4:5], -v[8:9]
	ds_read_b128 v[6:9], v2
	v_mov_b32_e32 v2, s10
	v_add_f64 v[18:19], v[4:5], -v[10:11]
	ds_read_b128 v[2:5], v2
	ds_write_b128 v27, v[14:17]
	s_waitcnt lgkmcnt(2)
	v_mul_f64 v[10:11], v[16:17], v[8:9]
	v_mul_f64 v[8:9], v[14:15], v[8:9]
	v_fma_f64 v[10:11], v[14:15], v[6:7], -v[10:11]
	v_fmac_f64_e32 v[8:9], v[16:17], v[6:7]
	s_waitcnt lgkmcnt(1)
	v_xor_b32_e32 v6, 0x80000000, v3
	v_cmp_gt_f64_e32 vcc, 0, v[2:3]
	v_add_f64 v[10:11], v[12:13], -v[10:11]
	v_add_f64 v[12:13], v[18:19], -v[8:9]
	v_cndmask_b32_e32 v7, v3, v6, vcc
	v_xor_b32_e32 v8, 0x80000000, v5
	v_cmp_gt_f64_e32 vcc, 0, v[4:5]
	v_mov_b32_e32 v6, v2
	v_cndmask_b32_e32 v9, v5, v8, vcc
	v_mov_b32_e32 v8, v4
	v_cmp_ngt_f64_e32 vcc, v[6:7], v[8:9]
	s_cbranch_vccz .LBB228_77
; %bb.76:                               ;   in Loop: Header=BB228_61 Depth=1
	v_div_scale_f64 v[6:7], s[10:11], v[4:5], v[4:5], v[2:3]
	v_rcp_f64_e32 v[8:9], v[6:7]
	v_div_scale_f64 v[14:15], vcc, v[2:3], v[4:5], v[2:3]
	v_fma_f64 v[16:17], -v[6:7], v[8:9], 1.0
	v_fmac_f64_e32 v[8:9], v[8:9], v[16:17]
	v_fma_f64 v[16:17], -v[6:7], v[8:9], 1.0
	v_fmac_f64_e32 v[8:9], v[8:9], v[16:17]
	v_mul_f64 v[16:17], v[14:15], v[8:9]
	v_fma_f64 v[6:7], -v[6:7], v[16:17], v[14:15]
	v_div_fmas_f64 v[6:7], v[6:7], v[8:9], v[16:17]
	v_div_fixup_f64 v[8:9], v[6:7], v[4:5], v[2:3]
	v_fma_f64 v[6:7], v[2:3], v[8:9], v[4:5]
	v_div_scale_f64 v[14:15], s[10:11], v[6:7], v[6:7], 1.0
	v_rcp_f64_e32 v[16:17], v[14:15]
	v_fma_f64 v[18:19], -v[14:15], v[16:17], 1.0
	v_fmac_f64_e32 v[16:17], v[16:17], v[18:19]
	v_fma_f64 v[18:19], -v[14:15], v[16:17], 1.0
	v_fmac_f64_e32 v[16:17], v[16:17], v[18:19]
	v_div_scale_f64 v[18:19], vcc, 1.0, v[6:7], 1.0
	v_mul_f64 v[20:21], v[18:19], v[16:17]
	v_fma_f64 v[14:15], -v[14:15], v[20:21], v[18:19]
	s_nop 1
	v_div_fmas_f64 v[14:15], v[14:15], v[16:17], v[20:21]
	v_div_fixup_f64 v[14:15], v[14:15], v[6:7], 1.0
	v_fma_f64 v[6:7], v[8:9], v[10:11], v[12:13]
	v_fma_f64 v[8:9], v[8:9], v[12:13], -v[10:11]
	v_mul_f64 v[6:7], v[6:7], v[14:15]
	v_mul_f64 v[8:9], v[8:9], v[14:15]
	s_cbranch_execz .LBB228_78
	s_branch .LBB228_79
.LBB228_77:                             ;   in Loop: Header=BB228_61 Depth=1
                                        ; implicit-def: $vgpr8_vgpr9
.LBB228_78:                             ;   in Loop: Header=BB228_61 Depth=1
	v_div_scale_f64 v[6:7], s[10:11], v[2:3], v[2:3], v[4:5]
	v_rcp_f64_e32 v[8:9], v[6:7]
	v_div_scale_f64 v[14:15], vcc, v[4:5], v[2:3], v[4:5]
	v_fma_f64 v[16:17], -v[6:7], v[8:9], 1.0
	v_fmac_f64_e32 v[8:9], v[8:9], v[16:17]
	v_fma_f64 v[16:17], -v[6:7], v[8:9], 1.0
	v_fmac_f64_e32 v[8:9], v[8:9], v[16:17]
	v_mul_f64 v[16:17], v[14:15], v[8:9]
	v_fma_f64 v[6:7], -v[6:7], v[16:17], v[14:15]
	v_div_fmas_f64 v[6:7], v[6:7], v[8:9], v[16:17]
	v_div_fixup_f64 v[8:9], v[6:7], v[2:3], v[4:5]
	v_fmac_f64_e32 v[2:3], v[4:5], v[8:9]
	v_div_scale_f64 v[4:5], s[10:11], v[2:3], v[2:3], 1.0
	v_rcp_f64_e32 v[6:7], v[4:5]
	v_fma_f64 v[14:15], -v[4:5], v[6:7], 1.0
	v_fmac_f64_e32 v[6:7], v[6:7], v[14:15]
	v_fma_f64 v[14:15], -v[4:5], v[6:7], 1.0
	v_fmac_f64_e32 v[6:7], v[6:7], v[14:15]
	v_div_scale_f64 v[14:15], vcc, 1.0, v[2:3], 1.0
	v_mul_f64 v[16:17], v[14:15], v[6:7]
	v_fma_f64 v[4:5], -v[4:5], v[16:17], v[14:15]
	s_nop 1
	v_div_fmas_f64 v[4:5], v[4:5], v[6:7], v[16:17]
	v_div_fixup_f64 v[2:3], v[4:5], v[2:3], 1.0
	v_fma_f64 v[4:5], v[8:9], v[12:13], v[10:11]
	v_mul_f64 v[6:7], v[4:5], v[2:3]
	v_fma_f64 v[4:5], -v[8:9], v[10:11], v[12:13]
	v_mul_f64 v[8:9], v[4:5], v[2:3]
.LBB228_79:                             ;   in Loop: Header=BB228_61 Depth=1
	s_add_i32 s15, s14, -4
	s_sub_i32 s1, s1, 64
	s_cmp_lt_i32 s14, 7
	ds_write_b128 v26, v[6:9]
	s_cbranch_scc1 .LBB228_81
; %bb.80:                               ;   in Loop: Header=BB228_61 Depth=1
	s_mov_b32 s14, s15
	s_branch .LBB228_61
.LBB228_81:
	s_cmp_lt_i32 s15, 0
	s_cbranch_scc1 .LBB228_90
; %bb.82:
	s_mul_i32 s10, s34, 0x180
	s_lshl_b32 s1, s15, 4
	s_add_i32 s1, s10, s1
	v_lshl_add_u32 v1, v0, 4, s10
	s_addk_i32 s1, 0xfe80
	v_add_u32_e32 v1, 0x2280, v1
	s_branch .LBB228_84
.LBB228_83:                             ;   in Loop: Header=BB228_84 Depth=1
	s_add_i32 s10, s15, -1
	s_add_i32 s1, s1, -16
	s_cmp_lt_i32 s15, 1
	s_mov_b32 s15, s10
	ds_write_b128 v14, v[10:13]
	s_cbranch_scc1 .LBB228_90
.LBB228_84:                             ; =>This Loop Header: Depth=1
                                        ;     Child Loop BB228_85 Depth 2
	s_mul_i32 s10, s15, 24
	v_add_lshl_u32 v6, s10, v0, 4
	ds_read_b128 v[2:5], v6 offset:9216
	s_cmp_le_i32 s35, s15
	v_mov_b32_e32 v7, v1
	s_mov_b32 s10, s1
	s_mov_b32 s11, s35
	s_cbranch_scc1 .LBB228_86
.LBB228_85:                             ;   Parent Loop BB228_84 Depth=1
                                        ; =>  This Inner Loop Header: Depth=2
	v_mov_b32_e32 v12, s10
	ds_read_b128 v[8:11], v7
	ds_read_b128 v[12:15], v12
	s_add_i32 s11, s11, -1
	s_addk_i32 s10, 0xfe80
	v_add_u32_e32 v7, 0xfffffe80, v7
	s_cmp_le_i32 s11, s15
	s_waitcnt lgkmcnt(0)
	v_mul_f64 v[16:17], v[14:15], v[10:11]
	v_mul_f64 v[10:11], v[12:13], v[10:11]
	v_fma_f64 v[12:13], v[12:13], v[8:9], -v[16:17]
	v_fmac_f64_e32 v[10:11], v[14:15], v[8:9]
	v_add_f64 v[2:3], v[2:3], -v[12:13]
	v_add_f64 v[4:5], v[4:5], -v[10:11]
	s_cbranch_scc0 .LBB228_85
.LBB228_86:                             ;   in Loop: Header=BB228_84 Depth=1
	s_mul_i32 s10, s15, 0x190
	v_add_u32_e32 v14, 0x2400, v6
	v_mov_b32_e32 v6, s10
	ds_read_b128 v[6:9], v6
	s_waitcnt lgkmcnt(0)
	v_xor_b32_e32 v11, 0x80000000, v7
	v_cmp_gt_f64_e32 vcc, 0, v[6:7]
	v_xor_b32_e32 v12, 0x80000000, v9
	v_cndmask_b32_e32 v11, v7, v11, vcc
	v_cmp_gt_f64_e32 vcc, 0, v[8:9]
	v_mov_b32_e32 v10, v6
	v_cndmask_b32_e32 v13, v9, v12, vcc
	v_mov_b32_e32 v12, v8
	v_cmp_ngt_f64_e32 vcc, v[10:11], v[12:13]
	s_cbranch_vccz .LBB228_88
; %bb.87:                               ;   in Loop: Header=BB228_84 Depth=1
	v_div_scale_f64 v[10:11], s[10:11], v[8:9], v[8:9], v[6:7]
	v_rcp_f64_e32 v[12:13], v[10:11]
	v_div_scale_f64 v[16:17], vcc, v[6:7], v[8:9], v[6:7]
	v_fma_f64 v[18:19], -v[10:11], v[12:13], 1.0
	v_fmac_f64_e32 v[12:13], v[12:13], v[18:19]
	v_fma_f64 v[18:19], -v[10:11], v[12:13], 1.0
	v_fmac_f64_e32 v[12:13], v[12:13], v[18:19]
	v_mul_f64 v[18:19], v[16:17], v[12:13]
	v_fma_f64 v[10:11], -v[10:11], v[18:19], v[16:17]
	v_div_fmas_f64 v[10:11], v[10:11], v[12:13], v[18:19]
	v_div_fixup_f64 v[12:13], v[10:11], v[8:9], v[6:7]
	v_fma_f64 v[10:11], v[6:7], v[12:13], v[8:9]
	v_div_scale_f64 v[16:17], s[10:11], v[10:11], v[10:11], 1.0
	v_rcp_f64_e32 v[18:19], v[16:17]
	v_fma_f64 v[20:21], -v[16:17], v[18:19], 1.0
	v_fmac_f64_e32 v[18:19], v[18:19], v[20:21]
	v_fma_f64 v[20:21], -v[16:17], v[18:19], 1.0
	v_fmac_f64_e32 v[18:19], v[18:19], v[20:21]
	v_div_scale_f64 v[20:21], vcc, 1.0, v[10:11], 1.0
	v_mul_f64 v[22:23], v[20:21], v[18:19]
	v_fma_f64 v[16:17], -v[16:17], v[22:23], v[20:21]
	s_nop 1
	v_div_fmas_f64 v[16:17], v[16:17], v[18:19], v[22:23]
	v_div_fixup_f64 v[16:17], v[16:17], v[10:11], 1.0
	v_fma_f64 v[10:11], v[2:3], v[12:13], v[4:5]
	v_fma_f64 v[12:13], v[4:5], v[12:13], -v[2:3]
	v_mul_f64 v[10:11], v[10:11], v[16:17]
	v_mul_f64 v[12:13], v[12:13], v[16:17]
	s_cbranch_execnz .LBB228_83
	s_branch .LBB228_89
.LBB228_88:                             ;   in Loop: Header=BB228_84 Depth=1
                                        ; implicit-def: $vgpr10_vgpr11
.LBB228_89:                             ;   in Loop: Header=BB228_84 Depth=1
	v_div_scale_f64 v[10:11], s[10:11], v[6:7], v[6:7], v[8:9]
	v_rcp_f64_e32 v[12:13], v[10:11]
	v_div_scale_f64 v[16:17], vcc, v[8:9], v[6:7], v[8:9]
	v_fma_f64 v[18:19], -v[10:11], v[12:13], 1.0
	v_fmac_f64_e32 v[12:13], v[12:13], v[18:19]
	v_fma_f64 v[18:19], -v[10:11], v[12:13], 1.0
	v_fmac_f64_e32 v[12:13], v[12:13], v[18:19]
	v_mul_f64 v[18:19], v[16:17], v[12:13]
	v_fma_f64 v[10:11], -v[10:11], v[18:19], v[16:17]
	v_div_fmas_f64 v[10:11], v[10:11], v[12:13], v[18:19]
	v_div_fixup_f64 v[12:13], v[10:11], v[6:7], v[8:9]
	v_fmac_f64_e32 v[6:7], v[8:9], v[12:13]
	v_div_scale_f64 v[8:9], s[10:11], v[6:7], v[6:7], 1.0
	v_rcp_f64_e32 v[10:11], v[8:9]
	v_fma_f64 v[16:17], -v[8:9], v[10:11], 1.0
	v_fmac_f64_e32 v[10:11], v[10:11], v[16:17]
	v_fma_f64 v[16:17], -v[8:9], v[10:11], 1.0
	v_fmac_f64_e32 v[10:11], v[10:11], v[16:17]
	v_div_scale_f64 v[16:17], vcc, 1.0, v[6:7], 1.0
	v_mul_f64 v[18:19], v[16:17], v[10:11]
	v_fma_f64 v[8:9], -v[8:9], v[18:19], v[16:17]
	s_nop 1
	v_div_fmas_f64 v[8:9], v[8:9], v[10:11], v[18:19]
	v_div_fixup_f64 v[6:7], v[8:9], v[6:7], 1.0
	v_fma_f64 v[8:9], v[4:5], v[12:13], v[2:3]
	v_fma_f64 v[2:3], -v[2:3], v[12:13], v[4:5]
	v_mul_f64 v[10:11], v[8:9], v[6:7]
	v_mul_f64 v[12:13], v[2:3], v[6:7]
	s_branch .LBB228_83
.LBB228_90:
	s_mov_b64 s[14:15], 0
.LBB228_91:
	s_andn2_b64 vcc, exec, s[14:15]
	s_cbranch_vccnz .LBB228_123
; %bb.92:
	s_andn2_b64 vcc, exec, s[8:9]
	s_mul_i32 s1, s34, 0x180
	s_mov_b32 s14, s35
	s_cbranch_vccnz .LBB228_114
; %bb.93:
	v_lshl_add_u32 v1, v0, 4, s1
	s_mul_i32 s8, s34, 0x190
	v_add_u32_e32 v1, 0x2100, v1
	s_add_i32 s10, s8, 0xfffff9e0
	s_mov_b32 s11, s35
.LBB228_94:                             ; =>This Loop Header: Depth=1
                                        ;     Child Loop BB228_95 Depth 2
	s_mul_i32 s14, s11, 24
	s_sub_i32 s15, s14, 48
	v_add_lshl_u32 v18, s14, v0, 4
	s_sub_i32 s16, s14, 24
	v_add_lshl_u32 v20, s15, v0, 4
	s_addk_i32 s14, 0xffb8
	v_add_lshl_u32 v19, s16, v0, 4
	ds_read_b128 v[14:17], v18 offset:9216
	ds_read_b128 v[10:13], v19 offset:9216
	v_add_lshl_u32 v21, s14, v0, 4
	ds_read_b128 v[6:9], v20 offset:9216
	ds_read_b128 v[2:5], v21 offset:9216
	s_cmp_le_i32 s35, s11
	s_mov_b32 s8, s10
	v_mov_b32_e32 v22, v1
	s_mov_b32 s9, s35
	s_cbranch_scc1 .LBB228_96
.LBB228_95:                             ;   Parent Loop BB228_94 Depth=1
                                        ; =>  This Inner Loop Header: Depth=2
	v_mov_b32_e32 v23, s8
	ds_read_b128 v[24:27], v22 offset:384
	ds_read_b128 v[28:31], v22
	ds_read_b128 v[32:35], v23
	ds_read_b128 v[36:39], v23 offset:16
	ds_read_b128 v[40:43], v23 offset:1168
	;; [unrolled: 1-line block ×7, first 2 shown]
	s_add_i32 s9, s9, -2
	s_sub_i32 s8, s8, 32
	s_waitcnt lgkmcnt(5)
	v_mul_f64 v[64:65], v[26:27], v[42:43]
	v_mul_f64 v[42:43], v[24:25], v[42:43]
	s_waitcnt lgkmcnt(3)
	v_mul_f64 v[66:67], v[26:27], v[50:51]
	v_mul_f64 v[50:51], v[24:25], v[50:51]
	s_waitcnt lgkmcnt(1)
	v_mul_f64 v[68:69], v[26:27], v[58:59]
	v_mul_f64 v[58:59], v[24:25], v[58:59]
	v_mul_f64 v[70:71], v[26:27], v[38:39]
	v_mul_f64 v[38:39], v[24:25], v[38:39]
	;; [unrolled: 1-line block ×6, first 2 shown]
	s_waitcnt lgkmcnt(0)
	v_mul_f64 v[76:77], v[30:31], v[62:63]
	v_mul_f64 v[62:63], v[28:29], v[62:63]
	;; [unrolled: 1-line block ×4, first 2 shown]
	v_fma_f64 v[64:65], v[24:25], v[40:41], -v[64:65]
	v_fmac_f64_e32 v[42:43], v[26:27], v[40:41]
	v_fma_f64 v[40:41], v[24:25], v[48:49], -v[66:67]
	v_fmac_f64_e32 v[50:51], v[26:27], v[48:49]
	;; [unrolled: 2-line block ×8, first 2 shown]
	v_add_f64 v[14:15], v[14:15], -v[64:65]
	v_add_f64 v[16:17], v[16:17], -v[42:43]
	;; [unrolled: 1-line block ×8, first 2 shown]
	v_add_u32_e32 v22, 0xfffffd00, v22
	s_cmp_le_i32 s9, s11
	v_add_f64 v[14:15], v[14:15], -v[26:27]
	v_add_f64 v[16:17], v[16:17], -v[46:47]
	;; [unrolled: 1-line block ×8, first 2 shown]
	s_cbranch_scc0 .LBB228_95
.LBB228_96:                             ;   in Loop: Header=BB228_94 Depth=1
	s_mul_i32 s17, s11, 0x190
	v_add_u32_e32 v29, 0x2400, v18
	v_mov_b32_e32 v18, s17
	ds_read_b128 v[22:25], v18
	v_add_u32_e32 v28, 0x2400, v19
	v_add_u32_e32 v27, 0x2400, v20
	;; [unrolled: 1-line block ×3, first 2 shown]
	s_waitcnt lgkmcnt(0)
	v_xor_b32_e32 v19, 0x80000000, v23
	v_cmp_gt_f64_e32 vcc, 0, v[22:23]
	v_xor_b32_e32 v20, 0x80000000, v25
	v_cndmask_b32_e32 v19, v23, v19, vcc
	v_cmp_gt_f64_e32 vcc, 0, v[24:25]
	v_mov_b32_e32 v18, v22
	v_cndmask_b32_e32 v21, v25, v20, vcc
	v_mov_b32_e32 v20, v24
	v_cmp_ngt_f64_e32 vcc, v[18:19], v[20:21]
	s_cbranch_vccz .LBB228_98
; %bb.97:                               ;   in Loop: Header=BB228_94 Depth=1
	v_div_scale_f64 v[18:19], s[8:9], v[24:25], v[24:25], v[22:23]
	v_rcp_f64_e32 v[20:21], v[18:19]
	v_div_scale_f64 v[30:31], vcc, v[22:23], v[24:25], v[22:23]
	v_fma_f64 v[32:33], -v[18:19], v[20:21], 1.0
	v_fmac_f64_e32 v[20:21], v[20:21], v[32:33]
	v_fma_f64 v[32:33], -v[18:19], v[20:21], 1.0
	v_fmac_f64_e32 v[20:21], v[20:21], v[32:33]
	v_mul_f64 v[32:33], v[30:31], v[20:21]
	v_fma_f64 v[18:19], -v[18:19], v[32:33], v[30:31]
	v_div_fmas_f64 v[18:19], v[18:19], v[20:21], v[32:33]
	v_div_fixup_f64 v[20:21], v[18:19], v[24:25], v[22:23]
	v_fma_f64 v[18:19], v[22:23], v[20:21], v[24:25]
	v_div_scale_f64 v[30:31], s[8:9], v[18:19], v[18:19], 1.0
	v_rcp_f64_e32 v[32:33], v[30:31]
	v_fma_f64 v[34:35], -v[30:31], v[32:33], 1.0
	v_fmac_f64_e32 v[32:33], v[32:33], v[34:35]
	v_fma_f64 v[34:35], -v[30:31], v[32:33], 1.0
	v_fmac_f64_e32 v[32:33], v[32:33], v[34:35]
	v_div_scale_f64 v[34:35], vcc, 1.0, v[18:19], 1.0
	v_mul_f64 v[36:37], v[34:35], v[32:33]
	v_fma_f64 v[30:31], -v[30:31], v[36:37], v[34:35]
	s_nop 1
	v_div_fmas_f64 v[30:31], v[30:31], v[32:33], v[36:37]
	v_div_fixup_f64 v[30:31], v[30:31], v[18:19], 1.0
	v_fma_f64 v[18:19], v[14:15], v[20:21], v[16:17]
	v_fma_f64 v[20:21], v[16:17], v[20:21], -v[14:15]
	v_mul_f64 v[18:19], v[18:19], v[30:31]
	v_mul_f64 v[20:21], v[20:21], v[30:31]
	s_cbranch_execz .LBB228_99
	s_branch .LBB228_100
.LBB228_98:                             ;   in Loop: Header=BB228_94 Depth=1
                                        ; implicit-def: $vgpr20_vgpr21
.LBB228_99:                             ;   in Loop: Header=BB228_94 Depth=1
	v_div_scale_f64 v[18:19], s[8:9], v[22:23], v[22:23], v[24:25]
	v_rcp_f64_e32 v[20:21], v[18:19]
	v_div_scale_f64 v[30:31], vcc, v[24:25], v[22:23], v[24:25]
	v_fma_f64 v[32:33], -v[18:19], v[20:21], 1.0
	v_fmac_f64_e32 v[20:21], v[20:21], v[32:33]
	v_fma_f64 v[32:33], -v[18:19], v[20:21], 1.0
	v_fmac_f64_e32 v[20:21], v[20:21], v[32:33]
	v_mul_f64 v[32:33], v[30:31], v[20:21]
	v_fma_f64 v[18:19], -v[18:19], v[32:33], v[30:31]
	v_div_fmas_f64 v[18:19], v[18:19], v[20:21], v[32:33]
	v_div_fixup_f64 v[20:21], v[18:19], v[22:23], v[24:25]
	v_fmac_f64_e32 v[22:23], v[24:25], v[20:21]
	v_div_scale_f64 v[18:19], s[8:9], v[22:23], v[22:23], 1.0
	v_rcp_f64_e32 v[24:25], v[18:19]
	v_fma_f64 v[30:31], -v[18:19], v[24:25], 1.0
	v_fmac_f64_e32 v[24:25], v[24:25], v[30:31]
	v_fma_f64 v[30:31], -v[18:19], v[24:25], 1.0
	v_fmac_f64_e32 v[24:25], v[24:25], v[30:31]
	v_div_scale_f64 v[30:31], vcc, 1.0, v[22:23], 1.0
	v_mul_f64 v[32:33], v[30:31], v[24:25]
	v_fma_f64 v[18:19], -v[18:19], v[32:33], v[30:31]
	s_nop 1
	v_div_fmas_f64 v[18:19], v[18:19], v[24:25], v[32:33]
	v_div_fixup_f64 v[22:23], v[18:19], v[22:23], 1.0
	v_fma_f64 v[18:19], v[16:17], v[20:21], v[14:15]
	v_fma_f64 v[14:15], -v[14:15], v[20:21], v[16:17]
	v_mul_f64 v[18:19], v[18:19], v[22:23]
	v_mul_f64 v[20:21], v[14:15], v[22:23]
.LBB228_100:                            ;   in Loop: Header=BB228_94 Depth=1
	s_add_i32 s16, s16, s11
	s_lshl_b32 s8, s16, 4
	v_mov_b32_e32 v14, s8
	ds_read_b128 v[22:25], v14
	s_addk_i32 s17, 0xfe70
	v_mov_b32_e32 v14, s17
	ds_read_b128 v[14:17], v14
	ds_write_b128 v29, v[18:21]
	s_waitcnt lgkmcnt(2)
	v_mul_f64 v[30:31], v[20:21], v[24:25]
	v_fma_f64 v[30:31], v[18:19], v[22:23], -v[30:31]
	v_mul_f64 v[24:25], v[18:19], v[24:25]
	v_fmac_f64_e32 v[24:25], v[20:21], v[22:23]
	v_add_f64 v[22:23], v[10:11], -v[30:31]
	s_waitcnt lgkmcnt(1)
	v_xor_b32_e32 v10, 0x80000000, v15
	v_cmp_gt_f64_e32 vcc, 0, v[14:15]
	v_add_f64 v[24:25], v[12:13], -v[24:25]
	v_cndmask_b32_e32 v11, v15, v10, vcc
	v_xor_b32_e32 v12, 0x80000000, v17
	v_cmp_gt_f64_e32 vcc, 0, v[16:17]
	v_mov_b32_e32 v10, v14
	v_cndmask_b32_e32 v13, v17, v12, vcc
	v_mov_b32_e32 v12, v16
	v_cmp_ngt_f64_e32 vcc, v[10:11], v[12:13]
	s_cbranch_vccz .LBB228_102
; %bb.101:                              ;   in Loop: Header=BB228_94 Depth=1
	v_div_scale_f64 v[10:11], s[8:9], v[16:17], v[16:17], v[14:15]
	v_rcp_f64_e32 v[12:13], v[10:11]
	v_div_scale_f64 v[30:31], vcc, v[14:15], v[16:17], v[14:15]
	v_fma_f64 v[32:33], -v[10:11], v[12:13], 1.0
	v_fmac_f64_e32 v[12:13], v[12:13], v[32:33]
	v_fma_f64 v[32:33], -v[10:11], v[12:13], 1.0
	v_fmac_f64_e32 v[12:13], v[12:13], v[32:33]
	v_mul_f64 v[32:33], v[30:31], v[12:13]
	v_fma_f64 v[10:11], -v[10:11], v[32:33], v[30:31]
	v_div_fmas_f64 v[10:11], v[10:11], v[12:13], v[32:33]
	v_div_fixup_f64 v[12:13], v[10:11], v[16:17], v[14:15]
	v_fma_f64 v[10:11], v[14:15], v[12:13], v[16:17]
	v_div_scale_f64 v[30:31], s[8:9], v[10:11], v[10:11], 1.0
	v_rcp_f64_e32 v[32:33], v[30:31]
	v_fma_f64 v[34:35], -v[30:31], v[32:33], 1.0
	v_fmac_f64_e32 v[32:33], v[32:33], v[34:35]
	v_fma_f64 v[34:35], -v[30:31], v[32:33], 1.0
	v_fmac_f64_e32 v[32:33], v[32:33], v[34:35]
	v_div_scale_f64 v[34:35], vcc, 1.0, v[10:11], 1.0
	v_mul_f64 v[36:37], v[34:35], v[32:33]
	v_fma_f64 v[30:31], -v[30:31], v[36:37], v[34:35]
	s_nop 1
	v_div_fmas_f64 v[30:31], v[30:31], v[32:33], v[36:37]
	v_div_fixup_f64 v[30:31], v[30:31], v[10:11], 1.0
	v_fma_f64 v[10:11], v[12:13], v[22:23], v[24:25]
	v_fma_f64 v[12:13], v[12:13], v[24:25], -v[22:23]
	v_mul_f64 v[10:11], v[10:11], v[30:31]
	v_mul_f64 v[12:13], v[12:13], v[30:31]
	s_cbranch_execz .LBB228_103
	s_branch .LBB228_104
.LBB228_102:                            ;   in Loop: Header=BB228_94 Depth=1
                                        ; implicit-def: $vgpr12_vgpr13
.LBB228_103:                            ;   in Loop: Header=BB228_94 Depth=1
	v_div_scale_f64 v[10:11], s[8:9], v[14:15], v[14:15], v[16:17]
	v_rcp_f64_e32 v[12:13], v[10:11]
	v_div_scale_f64 v[30:31], vcc, v[16:17], v[14:15], v[16:17]
	v_fma_f64 v[32:33], -v[10:11], v[12:13], 1.0
	v_fmac_f64_e32 v[12:13], v[12:13], v[32:33]
	v_fma_f64 v[32:33], -v[10:11], v[12:13], 1.0
	v_fmac_f64_e32 v[12:13], v[12:13], v[32:33]
	v_mul_f64 v[32:33], v[30:31], v[12:13]
	v_fma_f64 v[10:11], -v[10:11], v[32:33], v[30:31]
	v_div_fmas_f64 v[10:11], v[10:11], v[12:13], v[32:33]
	v_div_fixup_f64 v[12:13], v[10:11], v[14:15], v[16:17]
	v_fmac_f64_e32 v[14:15], v[16:17], v[12:13]
	v_div_scale_f64 v[10:11], s[8:9], v[14:15], v[14:15], 1.0
	v_rcp_f64_e32 v[16:17], v[10:11]
	v_fma_f64 v[30:31], -v[10:11], v[16:17], 1.0
	v_fmac_f64_e32 v[16:17], v[16:17], v[30:31]
	v_fma_f64 v[30:31], -v[10:11], v[16:17], 1.0
	v_fmac_f64_e32 v[16:17], v[16:17], v[30:31]
	v_div_scale_f64 v[30:31], vcc, 1.0, v[14:15], 1.0
	v_mul_f64 v[32:33], v[30:31], v[16:17]
	v_fma_f64 v[10:11], -v[10:11], v[32:33], v[30:31]
	s_nop 1
	v_div_fmas_f64 v[10:11], v[10:11], v[16:17], v[32:33]
	v_div_fixup_f64 v[14:15], v[10:11], v[14:15], 1.0
	v_fma_f64 v[10:11], v[12:13], v[24:25], v[22:23]
	v_fma_f64 v[12:13], -v[12:13], v[22:23], v[24:25]
	v_mul_f64 v[10:11], v[10:11], v[14:15]
	v_mul_f64 v[12:13], v[12:13], v[14:15]
.LBB228_104:                            ;   in Loop: Header=BB228_94 Depth=1
	s_add_i32 s8, s15, s11
	s_add_i32 s16, s11, -1
	s_lshl_b32 s8, s8, 4
	v_mov_b32_e32 v14, s8
	s_add_i32 s15, s15, s16
	ds_read_b128 v[14:17], v14
	s_lshl_b32 s8, s15, 4
	v_mov_b32_e32 v22, s8
	ds_read_b128 v[22:25], v22
	ds_write_b128 v28, v[10:13]
	s_waitcnt lgkmcnt(2)
	v_mul_f64 v[28:29], v[20:21], v[16:17]
	v_fma_f64 v[28:29], v[18:19], v[14:15], -v[28:29]
	v_mul_f64 v[16:17], v[18:19], v[16:17]
	v_fmac_f64_e32 v[16:17], v[20:21], v[14:15]
	v_add_f64 v[14:15], v[6:7], -v[28:29]
	s_waitcnt lgkmcnt(1)
	v_mul_f64 v[6:7], v[12:13], v[24:25]
	s_add_i32 s15, s17, 0xfffffe70
	v_fma_f64 v[28:29], v[10:11], v[22:23], -v[6:7]
	v_mov_b32_e32 v6, s15
	v_add_f64 v[16:17], v[8:9], -v[16:17]
	ds_read_b128 v[6:9], v6
	v_mul_f64 v[24:25], v[10:11], v[24:25]
	v_fmac_f64_e32 v[24:25], v[12:13], v[22:23]
	v_add_f64 v[22:23], v[14:15], -v[28:29]
	v_add_f64 v[24:25], v[16:17], -v[24:25]
	s_waitcnt lgkmcnt(0)
	v_xor_b32_e32 v14, 0x80000000, v7
	v_cmp_gt_f64_e32 vcc, 0, v[6:7]
	v_cndmask_b32_e32 v15, v7, v14, vcc
	v_xor_b32_e32 v16, 0x80000000, v9
	v_cmp_gt_f64_e32 vcc, 0, v[8:9]
	v_mov_b32_e32 v14, v6
	v_cndmask_b32_e32 v17, v9, v16, vcc
	v_mov_b32_e32 v16, v8
	v_cmp_ngt_f64_e32 vcc, v[14:15], v[16:17]
	s_cbranch_vccz .LBB228_106
; %bb.105:                              ;   in Loop: Header=BB228_94 Depth=1
	v_div_scale_f64 v[14:15], s[8:9], v[8:9], v[8:9], v[6:7]
	v_rcp_f64_e32 v[16:17], v[14:15]
	v_div_scale_f64 v[28:29], vcc, v[6:7], v[8:9], v[6:7]
	v_fma_f64 v[30:31], -v[14:15], v[16:17], 1.0
	v_fmac_f64_e32 v[16:17], v[16:17], v[30:31]
	v_fma_f64 v[30:31], -v[14:15], v[16:17], 1.0
	v_fmac_f64_e32 v[16:17], v[16:17], v[30:31]
	v_mul_f64 v[30:31], v[28:29], v[16:17]
	v_fma_f64 v[14:15], -v[14:15], v[30:31], v[28:29]
	v_div_fmas_f64 v[14:15], v[14:15], v[16:17], v[30:31]
	v_div_fixup_f64 v[16:17], v[14:15], v[8:9], v[6:7]
	v_fma_f64 v[14:15], v[6:7], v[16:17], v[8:9]
	v_div_scale_f64 v[28:29], s[8:9], v[14:15], v[14:15], 1.0
	v_rcp_f64_e32 v[30:31], v[28:29]
	v_fma_f64 v[32:33], -v[28:29], v[30:31], 1.0
	v_fmac_f64_e32 v[30:31], v[30:31], v[32:33]
	v_fma_f64 v[32:33], -v[28:29], v[30:31], 1.0
	v_fmac_f64_e32 v[30:31], v[30:31], v[32:33]
	v_div_scale_f64 v[32:33], vcc, 1.0, v[14:15], 1.0
	v_mul_f64 v[34:35], v[32:33], v[30:31]
	v_fma_f64 v[28:29], -v[28:29], v[34:35], v[32:33]
	s_nop 1
	v_div_fmas_f64 v[28:29], v[28:29], v[30:31], v[34:35]
	v_div_fixup_f64 v[28:29], v[28:29], v[14:15], 1.0
	v_fma_f64 v[14:15], v[16:17], v[22:23], v[24:25]
	v_fma_f64 v[16:17], v[16:17], v[24:25], -v[22:23]
	v_mul_f64 v[14:15], v[14:15], v[28:29]
	v_mul_f64 v[16:17], v[16:17], v[28:29]
	s_cbranch_execz .LBB228_107
	s_branch .LBB228_108
.LBB228_106:                            ;   in Loop: Header=BB228_94 Depth=1
                                        ; implicit-def: $vgpr16_vgpr17
.LBB228_107:                            ;   in Loop: Header=BB228_94 Depth=1
	v_div_scale_f64 v[14:15], s[8:9], v[6:7], v[6:7], v[8:9]
	v_rcp_f64_e32 v[16:17], v[14:15]
	v_div_scale_f64 v[28:29], vcc, v[8:9], v[6:7], v[8:9]
	v_fma_f64 v[30:31], -v[14:15], v[16:17], 1.0
	v_fmac_f64_e32 v[16:17], v[16:17], v[30:31]
	v_fma_f64 v[30:31], -v[14:15], v[16:17], 1.0
	v_fmac_f64_e32 v[16:17], v[16:17], v[30:31]
	v_mul_f64 v[30:31], v[28:29], v[16:17]
	v_fma_f64 v[14:15], -v[14:15], v[30:31], v[28:29]
	v_div_fmas_f64 v[14:15], v[14:15], v[16:17], v[30:31]
	v_div_fixup_f64 v[16:17], v[14:15], v[6:7], v[8:9]
	v_fmac_f64_e32 v[6:7], v[8:9], v[16:17]
	v_div_scale_f64 v[8:9], s[8:9], v[6:7], v[6:7], 1.0
	v_rcp_f64_e32 v[14:15], v[8:9]
	v_fma_f64 v[28:29], -v[8:9], v[14:15], 1.0
	v_fmac_f64_e32 v[14:15], v[14:15], v[28:29]
	v_fma_f64 v[28:29], -v[8:9], v[14:15], 1.0
	v_fmac_f64_e32 v[14:15], v[14:15], v[28:29]
	v_div_scale_f64 v[28:29], vcc, 1.0, v[6:7], 1.0
	v_mul_f64 v[30:31], v[28:29], v[14:15]
	v_fma_f64 v[8:9], -v[8:9], v[30:31], v[28:29]
	s_nop 1
	v_div_fmas_f64 v[8:9], v[8:9], v[14:15], v[30:31]
	v_div_fixup_f64 v[6:7], v[8:9], v[6:7], 1.0
	v_fma_f64 v[8:9], v[16:17], v[24:25], v[22:23]
	v_mul_f64 v[14:15], v[8:9], v[6:7]
	v_fma_f64 v[8:9], -v[16:17], v[22:23], v[24:25]
	v_mul_f64 v[16:17], v[8:9], v[6:7]
.LBB228_108:                            ;   in Loop: Header=BB228_94 Depth=1
	s_add_i32 s8, s14, s11
	s_lshl_b32 s8, s8, 4
	s_add_i32 s14, s14, s16
	v_mov_b32_e32 v6, s8
	s_lshl_b32 s9, s14, 4
	ds_read_b128 v[6:9], v6
	v_mov_b32_e32 v22, s9
	ds_read_b128 v[22:25], v22
	s_sub_i32 s8, s8, 32
	ds_write_b128 v27, v[14:17]
	s_waitcnt lgkmcnt(2)
	v_mul_f64 v[28:29], v[20:21], v[8:9]
	v_mul_f64 v[8:9], v[18:19], v[8:9]
	v_fma_f64 v[28:29], v[18:19], v[6:7], -v[28:29]
	v_fmac_f64_e32 v[8:9], v[20:21], v[6:7]
	s_waitcnt lgkmcnt(1)
	v_mul_f64 v[6:7], v[12:13], v[24:25]
	v_add_f64 v[2:3], v[2:3], -v[28:29]
	v_fma_f64 v[6:7], v[10:11], v[22:23], -v[6:7]
	v_mul_f64 v[10:11], v[10:11], v[24:25]
	v_fmac_f64_e32 v[10:11], v[12:13], v[22:23]
	v_add_f64 v[12:13], v[2:3], -v[6:7]
	v_mov_b32_e32 v2, s8
	s_add_i32 s8, s15, 0xfffffe70
	v_add_f64 v[4:5], v[4:5], -v[8:9]
	ds_read_b128 v[6:9], v2
	v_mov_b32_e32 v2, s8
	v_add_f64 v[18:19], v[4:5], -v[10:11]
	ds_read_b128 v[2:5], v2
	s_waitcnt lgkmcnt(1)
	v_mul_f64 v[10:11], v[16:17], v[8:9]
	v_mul_f64 v[8:9], v[14:15], v[8:9]
	v_fma_f64 v[10:11], v[14:15], v[6:7], -v[10:11]
	v_fmac_f64_e32 v[8:9], v[16:17], v[6:7]
	s_waitcnt lgkmcnt(0)
	v_xor_b32_e32 v6, 0x80000000, v3
	v_cmp_gt_f64_e32 vcc, 0, v[2:3]
	v_add_f64 v[10:11], v[12:13], -v[10:11]
	v_add_f64 v[12:13], v[18:19], -v[8:9]
	v_cndmask_b32_e32 v7, v3, v6, vcc
	v_xor_b32_e32 v8, 0x80000000, v5
	v_cmp_gt_f64_e32 vcc, 0, v[4:5]
	v_mov_b32_e32 v6, v2
	v_cndmask_b32_e32 v9, v5, v8, vcc
	v_mov_b32_e32 v8, v4
	v_cmp_ngt_f64_e32 vcc, v[6:7], v[8:9]
	s_cbranch_vccz .LBB228_110
; %bb.109:                              ;   in Loop: Header=BB228_94 Depth=1
	v_div_scale_f64 v[6:7], s[8:9], v[4:5], v[4:5], v[2:3]
	v_rcp_f64_e32 v[8:9], v[6:7]
	v_div_scale_f64 v[14:15], vcc, v[2:3], v[4:5], v[2:3]
	v_fma_f64 v[16:17], -v[6:7], v[8:9], 1.0
	v_fmac_f64_e32 v[8:9], v[8:9], v[16:17]
	v_fma_f64 v[16:17], -v[6:7], v[8:9], 1.0
	v_fmac_f64_e32 v[8:9], v[8:9], v[16:17]
	v_mul_f64 v[16:17], v[14:15], v[8:9]
	v_fma_f64 v[6:7], -v[6:7], v[16:17], v[14:15]
	v_div_fmas_f64 v[6:7], v[6:7], v[8:9], v[16:17]
	v_div_fixup_f64 v[8:9], v[6:7], v[4:5], v[2:3]
	v_fma_f64 v[6:7], v[2:3], v[8:9], v[4:5]
	v_div_scale_f64 v[14:15], s[8:9], v[6:7], v[6:7], 1.0
	v_rcp_f64_e32 v[16:17], v[14:15]
	v_fma_f64 v[18:19], -v[14:15], v[16:17], 1.0
	v_fmac_f64_e32 v[16:17], v[16:17], v[18:19]
	v_fma_f64 v[18:19], -v[14:15], v[16:17], 1.0
	v_fmac_f64_e32 v[16:17], v[16:17], v[18:19]
	v_div_scale_f64 v[18:19], vcc, 1.0, v[6:7], 1.0
	v_mul_f64 v[20:21], v[18:19], v[16:17]
	v_fma_f64 v[14:15], -v[14:15], v[20:21], v[18:19]
	s_nop 1
	v_div_fmas_f64 v[14:15], v[14:15], v[16:17], v[20:21]
	v_div_fixup_f64 v[14:15], v[14:15], v[6:7], 1.0
	v_fma_f64 v[6:7], v[8:9], v[10:11], v[12:13]
	v_fma_f64 v[8:9], v[8:9], v[12:13], -v[10:11]
	v_mul_f64 v[6:7], v[6:7], v[14:15]
	v_mul_f64 v[8:9], v[8:9], v[14:15]
	s_cbranch_execz .LBB228_111
	s_branch .LBB228_112
.LBB228_110:                            ;   in Loop: Header=BB228_94 Depth=1
                                        ; implicit-def: $vgpr8_vgpr9
.LBB228_111:                            ;   in Loop: Header=BB228_94 Depth=1
	v_div_scale_f64 v[6:7], s[8:9], v[2:3], v[2:3], v[4:5]
	v_rcp_f64_e32 v[8:9], v[6:7]
	v_div_scale_f64 v[14:15], vcc, v[4:5], v[2:3], v[4:5]
	v_fma_f64 v[16:17], -v[6:7], v[8:9], 1.0
	v_fmac_f64_e32 v[8:9], v[8:9], v[16:17]
	v_fma_f64 v[16:17], -v[6:7], v[8:9], 1.0
	v_fmac_f64_e32 v[8:9], v[8:9], v[16:17]
	v_mul_f64 v[16:17], v[14:15], v[8:9]
	v_fma_f64 v[6:7], -v[6:7], v[16:17], v[14:15]
	v_div_fmas_f64 v[6:7], v[6:7], v[8:9], v[16:17]
	v_div_fixup_f64 v[8:9], v[6:7], v[2:3], v[4:5]
	v_fmac_f64_e32 v[2:3], v[4:5], v[8:9]
	v_div_scale_f64 v[4:5], s[8:9], v[2:3], v[2:3], 1.0
	v_rcp_f64_e32 v[6:7], v[4:5]
	v_fma_f64 v[14:15], -v[4:5], v[6:7], 1.0
	v_fmac_f64_e32 v[6:7], v[6:7], v[14:15]
	v_fma_f64 v[14:15], -v[4:5], v[6:7], 1.0
	v_fmac_f64_e32 v[6:7], v[6:7], v[14:15]
	v_div_scale_f64 v[14:15], vcc, 1.0, v[2:3], 1.0
	v_mul_f64 v[16:17], v[14:15], v[6:7]
	v_fma_f64 v[4:5], -v[4:5], v[16:17], v[14:15]
	s_nop 1
	v_div_fmas_f64 v[4:5], v[4:5], v[6:7], v[16:17]
	v_div_fixup_f64 v[2:3], v[4:5], v[2:3], 1.0
	v_fma_f64 v[4:5], v[8:9], v[12:13], v[10:11]
	v_mul_f64 v[6:7], v[4:5], v[2:3]
	v_fma_f64 v[4:5], -v[8:9], v[10:11], v[12:13]
	v_mul_f64 v[8:9], v[4:5], v[2:3]
.LBB228_112:                            ;   in Loop: Header=BB228_94 Depth=1
	s_add_i32 s14, s11, -4
	s_addk_i32 s10, 0xfa00
	s_cmp_lt_i32 s11, 7
	ds_write_b128 v26, v[6:9]
	s_cbranch_scc1 .LBB228_114
; %bb.113:                              ;   in Loop: Header=BB228_94 Depth=1
	s_mov_b32 s11, s14
	s_branch .LBB228_94
.LBB228_114:
	s_cmp_lt_i32 s14, 0
	s_cbranch_scc1 .LBB228_123
; %bb.115:
	s_mul_i32 s8, s14, 0x180
	s_lshl_b32 s9, s34, 4
	s_add_i32 s8, s8, s9
	v_lshl_add_u32 v1, v0, 4, s1
	s_add_i32 s10, s8, -16
	v_add_u32_e32 v1, 0x2280, v1
	s_branch .LBB228_117
.LBB228_116:                            ;   in Loop: Header=BB228_117 Depth=1
	s_add_i32 s1, s14, -1
	s_addk_i32 s10, 0xfe80
	s_cmp_lt_i32 s14, 1
	s_mov_b32 s14, s1
	ds_write_b128 v14, v[10:13]
	s_cbranch_scc1 .LBB228_123
.LBB228_117:                            ; =>This Loop Header: Depth=1
                                        ;     Child Loop BB228_118 Depth 2
	s_mul_i32 s1, s14, 24
	v_add_lshl_u32 v6, s1, v0, 4
	ds_read_b128 v[2:5], v6 offset:9216
	s_cmp_le_i32 s35, s14
	v_mov_b32_e32 v7, v1
	s_mov_b32 s1, s10
	s_mov_b32 s8, s35
	s_cbranch_scc1 .LBB228_119
.LBB228_118:                            ;   Parent Loop BB228_117 Depth=1
                                        ; =>  This Inner Loop Header: Depth=2
	v_mov_b32_e32 v12, s1
	ds_read_b128 v[8:11], v7
	ds_read_b128 v[12:15], v12
	s_add_i32 s8, s8, -1
	s_add_i32 s1, s1, -16
	v_add_u32_e32 v7, 0xfffffe80, v7
	s_cmp_le_i32 s8, s14
	s_waitcnt lgkmcnt(0)
	v_mul_f64 v[16:17], v[14:15], v[10:11]
	v_mul_f64 v[10:11], v[12:13], v[10:11]
	v_fma_f64 v[12:13], v[12:13], v[8:9], -v[16:17]
	v_fmac_f64_e32 v[10:11], v[14:15], v[8:9]
	v_add_f64 v[2:3], v[2:3], -v[12:13]
	v_add_f64 v[4:5], v[4:5], -v[10:11]
	s_cbranch_scc0 .LBB228_118
.LBB228_119:                            ;   in Loop: Header=BB228_117 Depth=1
	s_mul_i32 s1, s14, 0x190
	v_add_u32_e32 v14, 0x2400, v6
	v_mov_b32_e32 v6, s1
	ds_read_b128 v[6:9], v6
	s_waitcnt lgkmcnt(0)
	v_xor_b32_e32 v11, 0x80000000, v7
	v_cmp_gt_f64_e32 vcc, 0, v[6:7]
	v_xor_b32_e32 v12, 0x80000000, v9
	v_cndmask_b32_e32 v11, v7, v11, vcc
	v_cmp_gt_f64_e32 vcc, 0, v[8:9]
	v_mov_b32_e32 v10, v6
	v_cndmask_b32_e32 v13, v9, v12, vcc
	v_mov_b32_e32 v12, v8
	v_cmp_ngt_f64_e32 vcc, v[10:11], v[12:13]
	s_cbranch_vccz .LBB228_121
; %bb.120:                              ;   in Loop: Header=BB228_117 Depth=1
	v_div_scale_f64 v[10:11], s[8:9], v[8:9], v[8:9], v[6:7]
	v_rcp_f64_e32 v[12:13], v[10:11]
	v_div_scale_f64 v[16:17], vcc, v[6:7], v[8:9], v[6:7]
	v_fma_f64 v[18:19], -v[10:11], v[12:13], 1.0
	v_fmac_f64_e32 v[12:13], v[12:13], v[18:19]
	v_fma_f64 v[18:19], -v[10:11], v[12:13], 1.0
	v_fmac_f64_e32 v[12:13], v[12:13], v[18:19]
	v_mul_f64 v[18:19], v[16:17], v[12:13]
	v_fma_f64 v[10:11], -v[10:11], v[18:19], v[16:17]
	v_div_fmas_f64 v[10:11], v[10:11], v[12:13], v[18:19]
	v_div_fixup_f64 v[12:13], v[10:11], v[8:9], v[6:7]
	v_fma_f64 v[10:11], v[6:7], v[12:13], v[8:9]
	v_div_scale_f64 v[16:17], s[8:9], v[10:11], v[10:11], 1.0
	v_rcp_f64_e32 v[18:19], v[16:17]
	v_fma_f64 v[20:21], -v[16:17], v[18:19], 1.0
	v_fmac_f64_e32 v[18:19], v[18:19], v[20:21]
	v_fma_f64 v[20:21], -v[16:17], v[18:19], 1.0
	v_fmac_f64_e32 v[18:19], v[18:19], v[20:21]
	v_div_scale_f64 v[20:21], vcc, 1.0, v[10:11], 1.0
	v_mul_f64 v[22:23], v[20:21], v[18:19]
	v_fma_f64 v[16:17], -v[16:17], v[22:23], v[20:21]
	s_nop 1
	v_div_fmas_f64 v[16:17], v[16:17], v[18:19], v[22:23]
	v_div_fixup_f64 v[16:17], v[16:17], v[10:11], 1.0
	v_fma_f64 v[10:11], v[2:3], v[12:13], v[4:5]
	v_fma_f64 v[12:13], v[4:5], v[12:13], -v[2:3]
	v_mul_f64 v[10:11], v[10:11], v[16:17]
	v_mul_f64 v[12:13], v[12:13], v[16:17]
	s_cbranch_execnz .LBB228_116
	s_branch .LBB228_122
.LBB228_121:                            ;   in Loop: Header=BB228_117 Depth=1
                                        ; implicit-def: $vgpr10_vgpr11
.LBB228_122:                            ;   in Loop: Header=BB228_117 Depth=1
	v_div_scale_f64 v[10:11], s[8:9], v[6:7], v[6:7], v[8:9]
	v_rcp_f64_e32 v[12:13], v[10:11]
	v_div_scale_f64 v[16:17], vcc, v[8:9], v[6:7], v[8:9]
	v_fma_f64 v[18:19], -v[10:11], v[12:13], 1.0
	v_fmac_f64_e32 v[12:13], v[12:13], v[18:19]
	v_fma_f64 v[18:19], -v[10:11], v[12:13], 1.0
	v_fmac_f64_e32 v[12:13], v[12:13], v[18:19]
	v_mul_f64 v[18:19], v[16:17], v[12:13]
	v_fma_f64 v[10:11], -v[10:11], v[18:19], v[16:17]
	v_div_fmas_f64 v[10:11], v[10:11], v[12:13], v[18:19]
	v_div_fixup_f64 v[12:13], v[10:11], v[6:7], v[8:9]
	v_fmac_f64_e32 v[6:7], v[8:9], v[12:13]
	v_div_scale_f64 v[8:9], s[8:9], v[6:7], v[6:7], 1.0
	v_rcp_f64_e32 v[10:11], v[8:9]
	v_fma_f64 v[16:17], -v[8:9], v[10:11], 1.0
	v_fmac_f64_e32 v[10:11], v[10:11], v[16:17]
	v_fma_f64 v[16:17], -v[8:9], v[10:11], 1.0
	v_fmac_f64_e32 v[10:11], v[10:11], v[16:17]
	v_div_scale_f64 v[16:17], vcc, 1.0, v[6:7], 1.0
	v_mul_f64 v[18:19], v[16:17], v[10:11]
	v_fma_f64 v[8:9], -v[8:9], v[18:19], v[16:17]
	s_nop 1
	v_div_fmas_f64 v[8:9], v[8:9], v[10:11], v[18:19]
	v_div_fixup_f64 v[6:7], v[8:9], v[6:7], 1.0
	v_fma_f64 v[8:9], v[4:5], v[12:13], v[2:3]
	v_fma_f64 v[2:3], -v[2:3], v[12:13], v[4:5]
	v_mul_f64 v[10:11], v[8:9], v[6:7]
	v_mul_f64 v[12:13], v[2:3], v[6:7]
	s_branch .LBB228_116
.LBB228_123:
	s_mov_b64 s[14:15], 0
.LBB228_124:
	s_andn2_b64 vcc, exec, s[14:15]
	s_cbranch_vccnz .LBB228_163
; %bb.125:
	s_cmp_lt_i32 s33, 4
	s_mov_b32 s11, 0
	s_cbranch_scc1 .LBB228_148
; %bb.126:
	v_mov_b32_e32 v1, 0x2400
	v_lshl_or_b32 v1, v0, 4, v1
	s_mov_b32 s1, 0
	s_mov_b32 s10, 0
.LBB228_127:                            ; =>This Loop Header: Depth=1
                                        ;     Child Loop BB228_129 Depth 2
	s_mul_i32 s11, s10, 24
	s_add_i32 s14, s11, 48
	v_add_lshl_u32 v18, s11, v0, 4
	s_add_i32 s16, s11, 24
	v_add_lshl_u32 v20, s14, v0, 4
	s_addk_i32 s11, 0x48
	v_add_lshl_u32 v19, s16, v0, 4
	ds_read_b128 v[14:17], v18 offset:9216
	ds_read_b128 v[10:13], v19 offset:9216
	v_add_lshl_u32 v21, s11, v0, 4
	ds_read_b128 v[6:9], v20 offset:9216
	ds_read_b128 v[2:5], v21 offset:9216
	s_cmp_eq_u32 s10, 0
	s_cbranch_scc1 .LBB228_130
; %bb.128:                              ;   in Loop: Header=BB228_127 Depth=1
	s_mov_b32 s8, 0
	v_mov_b32_e32 v22, v1
	s_mov_b32 s9, s1
.LBB228_129:                            ;   Parent Loop BB228_127 Depth=1
                                        ; =>  This Inner Loop Header: Depth=2
	v_mov_b32_e32 v23, s9
	ds_read_b128 v[24:27], v22
	ds_read_b128 v[28:31], v22 offset:384
	ds_read_b128 v[32:35], v23
	ds_read_b128 v[36:39], v23 offset:16
	ds_read_b128 v[40:43], v23 offset:384
	;; [unrolled: 1-line block ×7, first 2 shown]
	s_add_i32 s8, s8, 2
	s_add_i32 s9, s9, 32
	s_waitcnt lgkmcnt(7)
	v_mul_f64 v[64:65], v[26:27], v[34:35]
	v_mul_f64 v[34:35], v[24:25], v[34:35]
	s_waitcnt lgkmcnt(5)
	v_mul_f64 v[66:67], v[26:27], v[42:43]
	v_mul_f64 v[42:43], v[24:25], v[42:43]
	;; [unrolled: 3-line block ×4, first 2 shown]
	v_mul_f64 v[72:73], v[30:31], v[38:39]
	v_mul_f64 v[38:39], v[28:29], v[38:39]
	;; [unrolled: 1-line block ×6, first 2 shown]
	s_waitcnt lgkmcnt(0)
	v_mul_f64 v[78:79], v[30:31], v[62:63]
	v_mul_f64 v[62:63], v[28:29], v[62:63]
	v_fma_f64 v[64:65], v[24:25], v[32:33], -v[64:65]
	v_fmac_f64_e32 v[34:35], v[26:27], v[32:33]
	v_fma_f64 v[32:33], v[24:25], v[40:41], -v[66:67]
	v_fmac_f64_e32 v[42:43], v[26:27], v[40:41]
	;; [unrolled: 2-line block ×8, first 2 shown]
	v_add_f64 v[14:15], v[14:15], -v[64:65]
	v_add_f64 v[16:17], v[16:17], -v[34:35]
	;; [unrolled: 1-line block ×8, first 2 shown]
	v_add_u32_e32 v22, 0x300, v22
	s_cmp_ge_u32 s8, s10
	v_add_f64 v[14:15], v[14:15], -v[26:27]
	v_add_f64 v[16:17], v[16:17], -v[38:39]
	;; [unrolled: 1-line block ×8, first 2 shown]
	s_cbranch_scc0 .LBB228_129
.LBB228_130:                            ;   in Loop: Header=BB228_127 Depth=1
	s_mul_i32 s15, s10, 0x190
	v_add_u32_e32 v29, 0x2400, v18
	v_mov_b32_e32 v18, s15
	ds_read_b128 v[22:25], v18
	v_add_u32_e32 v28, 0x2400, v19
	v_add_u32_e32 v27, 0x2400, v20
	v_add_u32_e32 v26, 0x2400, v21
	s_waitcnt lgkmcnt(0)
	v_xor_b32_e32 v19, 0x80000000, v23
	v_cmp_gt_f64_e32 vcc, 0, v[22:23]
	v_xor_b32_e32 v20, 0x80000000, v25
	v_cndmask_b32_e32 v19, v23, v19, vcc
	v_cmp_gt_f64_e32 vcc, 0, v[24:25]
	v_mov_b32_e32 v18, v22
	v_cndmask_b32_e32 v21, v25, v20, vcc
	v_mov_b32_e32 v20, v24
	v_cmp_ngt_f64_e32 vcc, v[18:19], v[20:21]
	s_cbranch_vccz .LBB228_132
; %bb.131:                              ;   in Loop: Header=BB228_127 Depth=1
	v_div_scale_f64 v[18:19], s[8:9], v[24:25], v[24:25], v[22:23]
	v_rcp_f64_e32 v[20:21], v[18:19]
	v_div_scale_f64 v[30:31], vcc, v[22:23], v[24:25], v[22:23]
	v_fma_f64 v[32:33], -v[18:19], v[20:21], 1.0
	v_fmac_f64_e32 v[20:21], v[20:21], v[32:33]
	v_fma_f64 v[32:33], -v[18:19], v[20:21], 1.0
	v_fmac_f64_e32 v[20:21], v[20:21], v[32:33]
	v_mul_f64 v[32:33], v[30:31], v[20:21]
	v_fma_f64 v[18:19], -v[18:19], v[32:33], v[30:31]
	v_div_fmas_f64 v[18:19], v[18:19], v[20:21], v[32:33]
	v_div_fixup_f64 v[20:21], v[18:19], v[24:25], v[22:23]
	v_fma_f64 v[18:19], v[22:23], v[20:21], v[24:25]
	v_div_scale_f64 v[30:31], s[8:9], v[18:19], v[18:19], 1.0
	v_rcp_f64_e32 v[32:33], v[30:31]
	v_fma_f64 v[34:35], -v[30:31], v[32:33], 1.0
	v_fmac_f64_e32 v[32:33], v[32:33], v[34:35]
	v_fma_f64 v[34:35], -v[30:31], v[32:33], 1.0
	v_fmac_f64_e32 v[32:33], v[32:33], v[34:35]
	v_div_scale_f64 v[34:35], vcc, 1.0, v[18:19], 1.0
	v_mul_f64 v[36:37], v[34:35], v[32:33]
	v_fma_f64 v[30:31], -v[30:31], v[36:37], v[34:35]
	s_nop 1
	v_div_fmas_f64 v[30:31], v[30:31], v[32:33], v[36:37]
	v_div_fixup_f64 v[30:31], v[30:31], v[18:19], 1.0
	v_fma_f64 v[18:19], v[14:15], v[20:21], v[16:17]
	v_fma_f64 v[20:21], v[16:17], v[20:21], -v[14:15]
	v_mul_f64 v[18:19], v[18:19], v[30:31]
	v_mul_f64 v[20:21], v[20:21], v[30:31]
	s_cbranch_execz .LBB228_133
	s_branch .LBB228_134
.LBB228_132:                            ;   in Loop: Header=BB228_127 Depth=1
                                        ; implicit-def: $vgpr20_vgpr21
.LBB228_133:                            ;   in Loop: Header=BB228_127 Depth=1
	v_div_scale_f64 v[18:19], s[8:9], v[22:23], v[22:23], v[24:25]
	v_rcp_f64_e32 v[20:21], v[18:19]
	v_div_scale_f64 v[30:31], vcc, v[24:25], v[22:23], v[24:25]
	v_fma_f64 v[32:33], -v[18:19], v[20:21], 1.0
	v_fmac_f64_e32 v[20:21], v[20:21], v[32:33]
	v_fma_f64 v[32:33], -v[18:19], v[20:21], 1.0
	v_fmac_f64_e32 v[20:21], v[20:21], v[32:33]
	v_mul_f64 v[32:33], v[30:31], v[20:21]
	v_fma_f64 v[18:19], -v[18:19], v[32:33], v[30:31]
	v_div_fmas_f64 v[18:19], v[18:19], v[20:21], v[32:33]
	v_div_fixup_f64 v[20:21], v[18:19], v[22:23], v[24:25]
	v_fmac_f64_e32 v[22:23], v[24:25], v[20:21]
	v_div_scale_f64 v[18:19], s[8:9], v[22:23], v[22:23], 1.0
	v_rcp_f64_e32 v[24:25], v[18:19]
	v_fma_f64 v[30:31], -v[18:19], v[24:25], 1.0
	v_fmac_f64_e32 v[24:25], v[24:25], v[30:31]
	v_fma_f64 v[30:31], -v[18:19], v[24:25], 1.0
	v_fmac_f64_e32 v[24:25], v[24:25], v[30:31]
	v_div_scale_f64 v[30:31], vcc, 1.0, v[22:23], 1.0
	v_mul_f64 v[32:33], v[30:31], v[24:25]
	v_fma_f64 v[18:19], -v[18:19], v[32:33], v[30:31]
	s_nop 1
	v_div_fmas_f64 v[18:19], v[18:19], v[24:25], v[32:33]
	v_div_fixup_f64 v[22:23], v[18:19], v[22:23], 1.0
	v_fma_f64 v[18:19], v[16:17], v[20:21], v[14:15]
	v_fma_f64 v[14:15], -v[14:15], v[20:21], v[16:17]
	v_mul_f64 v[18:19], v[18:19], v[22:23]
	v_mul_f64 v[20:21], v[14:15], v[22:23]
.LBB228_134:                            ;   in Loop: Header=BB228_127 Depth=1
	s_add_i32 s16, s16, s10
	s_lshl_b32 s8, s16, 4
	v_mov_b32_e32 v14, s8
	ds_read_b128 v[22:25], v14
	v_mov_b32_e32 v14, s15
	ds_read_b128 v[14:17], v14 offset:400
	ds_write_b128 v29, v[18:21]
	s_waitcnt lgkmcnt(2)
	v_mul_f64 v[30:31], v[20:21], v[24:25]
	v_mul_f64 v[24:25], v[18:19], v[24:25]
	v_fma_f64 v[30:31], v[18:19], v[22:23], -v[30:31]
	v_fmac_f64_e32 v[24:25], v[20:21], v[22:23]
	v_add_f64 v[22:23], v[10:11], -v[30:31]
	s_waitcnt lgkmcnt(1)
	v_xor_b32_e32 v10, 0x80000000, v15
	v_cmp_gt_f64_e32 vcc, 0, v[14:15]
	v_add_f64 v[24:25], v[12:13], -v[24:25]
	v_cndmask_b32_e32 v11, v15, v10, vcc
	v_xor_b32_e32 v12, 0x80000000, v17
	v_cmp_gt_f64_e32 vcc, 0, v[16:17]
	v_mov_b32_e32 v10, v14
	v_cndmask_b32_e32 v13, v17, v12, vcc
	v_mov_b32_e32 v12, v16
	v_cmp_ngt_f64_e32 vcc, v[10:11], v[12:13]
	s_cbranch_vccz .LBB228_136
; %bb.135:                              ;   in Loop: Header=BB228_127 Depth=1
	v_div_scale_f64 v[10:11], s[8:9], v[16:17], v[16:17], v[14:15]
	v_rcp_f64_e32 v[12:13], v[10:11]
	v_div_scale_f64 v[30:31], vcc, v[14:15], v[16:17], v[14:15]
	v_fma_f64 v[32:33], -v[10:11], v[12:13], 1.0
	v_fmac_f64_e32 v[12:13], v[12:13], v[32:33]
	v_fma_f64 v[32:33], -v[10:11], v[12:13], 1.0
	v_fmac_f64_e32 v[12:13], v[12:13], v[32:33]
	v_mul_f64 v[32:33], v[30:31], v[12:13]
	v_fma_f64 v[10:11], -v[10:11], v[32:33], v[30:31]
	v_div_fmas_f64 v[10:11], v[10:11], v[12:13], v[32:33]
	v_div_fixup_f64 v[12:13], v[10:11], v[16:17], v[14:15]
	v_fma_f64 v[10:11], v[14:15], v[12:13], v[16:17]
	v_div_scale_f64 v[30:31], s[8:9], v[10:11], v[10:11], 1.0
	v_rcp_f64_e32 v[32:33], v[30:31]
	v_fma_f64 v[34:35], -v[30:31], v[32:33], 1.0
	v_fmac_f64_e32 v[32:33], v[32:33], v[34:35]
	v_fma_f64 v[34:35], -v[30:31], v[32:33], 1.0
	v_fmac_f64_e32 v[32:33], v[32:33], v[34:35]
	v_div_scale_f64 v[34:35], vcc, 1.0, v[10:11], 1.0
	v_mul_f64 v[36:37], v[34:35], v[32:33]
	v_fma_f64 v[30:31], -v[30:31], v[36:37], v[34:35]
	s_nop 1
	v_div_fmas_f64 v[30:31], v[30:31], v[32:33], v[36:37]
	v_div_fixup_f64 v[30:31], v[30:31], v[10:11], 1.0
	v_fma_f64 v[10:11], v[12:13], v[22:23], v[24:25]
	v_fma_f64 v[12:13], v[12:13], v[24:25], -v[22:23]
	v_mul_f64 v[10:11], v[10:11], v[30:31]
	v_mul_f64 v[12:13], v[12:13], v[30:31]
	s_cbranch_execz .LBB228_137
	s_branch .LBB228_138
.LBB228_136:                            ;   in Loop: Header=BB228_127 Depth=1
                                        ; implicit-def: $vgpr12_vgpr13
.LBB228_137:                            ;   in Loop: Header=BB228_127 Depth=1
	v_div_scale_f64 v[10:11], s[8:9], v[14:15], v[14:15], v[16:17]
	v_rcp_f64_e32 v[12:13], v[10:11]
	v_div_scale_f64 v[30:31], vcc, v[16:17], v[14:15], v[16:17]
	v_fma_f64 v[32:33], -v[10:11], v[12:13], 1.0
	v_fmac_f64_e32 v[12:13], v[12:13], v[32:33]
	v_fma_f64 v[32:33], -v[10:11], v[12:13], 1.0
	v_fmac_f64_e32 v[12:13], v[12:13], v[32:33]
	v_mul_f64 v[32:33], v[30:31], v[12:13]
	v_fma_f64 v[10:11], -v[10:11], v[32:33], v[30:31]
	v_div_fmas_f64 v[10:11], v[10:11], v[12:13], v[32:33]
	v_div_fixup_f64 v[12:13], v[10:11], v[14:15], v[16:17]
	v_fmac_f64_e32 v[14:15], v[16:17], v[12:13]
	v_div_scale_f64 v[10:11], s[8:9], v[14:15], v[14:15], 1.0
	v_rcp_f64_e32 v[16:17], v[10:11]
	v_fma_f64 v[30:31], -v[10:11], v[16:17], 1.0
	v_fmac_f64_e32 v[16:17], v[16:17], v[30:31]
	v_fma_f64 v[30:31], -v[10:11], v[16:17], 1.0
	v_fmac_f64_e32 v[16:17], v[16:17], v[30:31]
	v_div_scale_f64 v[30:31], vcc, 1.0, v[14:15], 1.0
	v_mul_f64 v[32:33], v[30:31], v[16:17]
	v_fma_f64 v[10:11], -v[10:11], v[32:33], v[30:31]
	s_nop 1
	v_div_fmas_f64 v[10:11], v[10:11], v[16:17], v[32:33]
	v_div_fixup_f64 v[14:15], v[10:11], v[14:15], 1.0
	v_fma_f64 v[10:11], v[12:13], v[24:25], v[22:23]
	v_fma_f64 v[12:13], -v[12:13], v[22:23], v[24:25]
	v_mul_f64 v[10:11], v[10:11], v[14:15]
	v_mul_f64 v[12:13], v[12:13], v[14:15]
.LBB228_138:                            ;   in Loop: Header=BB228_127 Depth=1
	s_add_i32 s14, s14, s10
	s_lshl_b32 s8, s14, 4
	v_mov_b32_e32 v22, s8
	ds_read_b128 v[14:17], v22
	ds_read_b128 v[22:25], v22 offset:16
	ds_write_b128 v28, v[10:13]
	s_waitcnt lgkmcnt(2)
	v_mul_f64 v[28:29], v[20:21], v[16:17]
	v_mul_f64 v[16:17], v[18:19], v[16:17]
	v_fma_f64 v[28:29], v[18:19], v[14:15], -v[28:29]
	v_fmac_f64_e32 v[16:17], v[20:21], v[14:15]
	v_add_f64 v[14:15], v[6:7], -v[28:29]
	s_waitcnt lgkmcnt(1)
	v_mul_f64 v[6:7], v[12:13], v[24:25]
	v_fma_f64 v[28:29], v[10:11], v[22:23], -v[6:7]
	v_mov_b32_e32 v6, s15
	v_add_f64 v[16:17], v[8:9], -v[16:17]
	ds_read_b128 v[6:9], v6 offset:800
	v_mul_f64 v[24:25], v[10:11], v[24:25]
	v_fmac_f64_e32 v[24:25], v[12:13], v[22:23]
	v_add_f64 v[22:23], v[14:15], -v[28:29]
	v_add_f64 v[24:25], v[16:17], -v[24:25]
	s_waitcnt lgkmcnt(0)
	v_xor_b32_e32 v14, 0x80000000, v7
	v_cmp_gt_f64_e32 vcc, 0, v[6:7]
	v_cndmask_b32_e32 v15, v7, v14, vcc
	v_xor_b32_e32 v16, 0x80000000, v9
	v_cmp_gt_f64_e32 vcc, 0, v[8:9]
	v_mov_b32_e32 v14, v6
	v_cndmask_b32_e32 v17, v9, v16, vcc
	v_mov_b32_e32 v16, v8
	v_cmp_ngt_f64_e32 vcc, v[14:15], v[16:17]
	s_cbranch_vccz .LBB228_140
; %bb.139:                              ;   in Loop: Header=BB228_127 Depth=1
	v_div_scale_f64 v[14:15], s[8:9], v[8:9], v[8:9], v[6:7]
	v_rcp_f64_e32 v[16:17], v[14:15]
	v_div_scale_f64 v[28:29], vcc, v[6:7], v[8:9], v[6:7]
	v_fma_f64 v[30:31], -v[14:15], v[16:17], 1.0
	v_fmac_f64_e32 v[16:17], v[16:17], v[30:31]
	v_fma_f64 v[30:31], -v[14:15], v[16:17], 1.0
	v_fmac_f64_e32 v[16:17], v[16:17], v[30:31]
	v_mul_f64 v[30:31], v[28:29], v[16:17]
	v_fma_f64 v[14:15], -v[14:15], v[30:31], v[28:29]
	v_div_fmas_f64 v[14:15], v[14:15], v[16:17], v[30:31]
	v_div_fixup_f64 v[16:17], v[14:15], v[8:9], v[6:7]
	v_fma_f64 v[14:15], v[6:7], v[16:17], v[8:9]
	v_div_scale_f64 v[28:29], s[8:9], v[14:15], v[14:15], 1.0
	v_rcp_f64_e32 v[30:31], v[28:29]
	v_fma_f64 v[32:33], -v[28:29], v[30:31], 1.0
	v_fmac_f64_e32 v[30:31], v[30:31], v[32:33]
	v_fma_f64 v[32:33], -v[28:29], v[30:31], 1.0
	v_fmac_f64_e32 v[30:31], v[30:31], v[32:33]
	v_div_scale_f64 v[32:33], vcc, 1.0, v[14:15], 1.0
	v_mul_f64 v[34:35], v[32:33], v[30:31]
	v_fma_f64 v[28:29], -v[28:29], v[34:35], v[32:33]
	s_nop 1
	v_div_fmas_f64 v[28:29], v[28:29], v[30:31], v[34:35]
	v_div_fixup_f64 v[28:29], v[28:29], v[14:15], 1.0
	v_fma_f64 v[14:15], v[16:17], v[22:23], v[24:25]
	v_fma_f64 v[16:17], v[16:17], v[24:25], -v[22:23]
	v_mul_f64 v[14:15], v[14:15], v[28:29]
	v_mul_f64 v[16:17], v[16:17], v[28:29]
	s_cbranch_execz .LBB228_141
	s_branch .LBB228_142
.LBB228_140:                            ;   in Loop: Header=BB228_127 Depth=1
                                        ; implicit-def: $vgpr16_vgpr17
.LBB228_141:                            ;   in Loop: Header=BB228_127 Depth=1
	v_div_scale_f64 v[14:15], s[8:9], v[6:7], v[6:7], v[8:9]
	v_rcp_f64_e32 v[16:17], v[14:15]
	v_div_scale_f64 v[28:29], vcc, v[8:9], v[6:7], v[8:9]
	v_fma_f64 v[30:31], -v[14:15], v[16:17], 1.0
	v_fmac_f64_e32 v[16:17], v[16:17], v[30:31]
	v_fma_f64 v[30:31], -v[14:15], v[16:17], 1.0
	v_fmac_f64_e32 v[16:17], v[16:17], v[30:31]
	v_mul_f64 v[30:31], v[28:29], v[16:17]
	v_fma_f64 v[14:15], -v[14:15], v[30:31], v[28:29]
	v_div_fmas_f64 v[14:15], v[14:15], v[16:17], v[30:31]
	v_div_fixup_f64 v[16:17], v[14:15], v[6:7], v[8:9]
	v_fmac_f64_e32 v[6:7], v[8:9], v[16:17]
	v_div_scale_f64 v[8:9], s[8:9], v[6:7], v[6:7], 1.0
	v_rcp_f64_e32 v[14:15], v[8:9]
	v_fma_f64 v[28:29], -v[8:9], v[14:15], 1.0
	v_fmac_f64_e32 v[14:15], v[14:15], v[28:29]
	v_fma_f64 v[28:29], -v[8:9], v[14:15], 1.0
	v_fmac_f64_e32 v[14:15], v[14:15], v[28:29]
	v_div_scale_f64 v[28:29], vcc, 1.0, v[6:7], 1.0
	v_mul_f64 v[30:31], v[28:29], v[14:15]
	v_fma_f64 v[8:9], -v[8:9], v[30:31], v[28:29]
	s_nop 1
	v_div_fmas_f64 v[8:9], v[8:9], v[14:15], v[30:31]
	v_div_fixup_f64 v[6:7], v[8:9], v[6:7], 1.0
	v_fma_f64 v[8:9], v[16:17], v[24:25], v[22:23]
	v_mul_f64 v[14:15], v[8:9], v[6:7]
	v_fma_f64 v[8:9], -v[16:17], v[22:23], v[24:25]
	v_mul_f64 v[16:17], v[8:9], v[6:7]
.LBB228_142:                            ;   in Loop: Header=BB228_127 Depth=1
	s_add_i32 s11, s11, s10
	s_lshl_b32 s8, s11, 4
	v_mov_b32_e32 v30, s8
	ds_read_b128 v[6:9], v30
	ds_read_b128 v[22:25], v30 offset:16
	ds_write_b128 v27, v[14:17]
	s_waitcnt lgkmcnt(2)
	v_mul_f64 v[28:29], v[20:21], v[8:9]
	v_mul_f64 v[8:9], v[18:19], v[8:9]
	v_fma_f64 v[18:19], v[18:19], v[6:7], -v[28:29]
	v_fmac_f64_e32 v[8:9], v[20:21], v[6:7]
	s_waitcnt lgkmcnt(1)
	v_mul_f64 v[6:7], v[12:13], v[24:25]
	v_add_f64 v[2:3], v[2:3], -v[18:19]
	v_fma_f64 v[18:19], v[10:11], v[22:23], -v[6:7]
	v_mul_f64 v[10:11], v[10:11], v[24:25]
	v_add_f64 v[4:5], v[4:5], -v[8:9]
	v_fmac_f64_e32 v[10:11], v[12:13], v[22:23]
	ds_read_b128 v[6:9], v30 offset:32
	v_add_f64 v[12:13], v[2:3], -v[18:19]
	v_mov_b32_e32 v2, s15
	v_add_f64 v[18:19], v[4:5], -v[10:11]
	ds_read_b128 v[2:5], v2 offset:1200
	s_waitcnt lgkmcnt(1)
	v_mul_f64 v[10:11], v[16:17], v[8:9]
	v_mul_f64 v[8:9], v[14:15], v[8:9]
	v_fma_f64 v[10:11], v[14:15], v[6:7], -v[10:11]
	v_fmac_f64_e32 v[8:9], v[16:17], v[6:7]
	s_waitcnt lgkmcnt(0)
	v_xor_b32_e32 v6, 0x80000000, v3
	v_cmp_gt_f64_e32 vcc, 0, v[2:3]
	v_add_f64 v[10:11], v[12:13], -v[10:11]
	v_add_f64 v[12:13], v[18:19], -v[8:9]
	v_cndmask_b32_e32 v7, v3, v6, vcc
	v_xor_b32_e32 v8, 0x80000000, v5
	v_cmp_gt_f64_e32 vcc, 0, v[4:5]
	v_mov_b32_e32 v6, v2
	v_cndmask_b32_e32 v9, v5, v8, vcc
	v_mov_b32_e32 v8, v4
	v_cmp_ngt_f64_e32 vcc, v[6:7], v[8:9]
	s_cbranch_vccz .LBB228_144
; %bb.143:                              ;   in Loop: Header=BB228_127 Depth=1
	v_div_scale_f64 v[6:7], s[8:9], v[4:5], v[4:5], v[2:3]
	v_rcp_f64_e32 v[8:9], v[6:7]
	v_div_scale_f64 v[14:15], vcc, v[2:3], v[4:5], v[2:3]
	v_fma_f64 v[16:17], -v[6:7], v[8:9], 1.0
	v_fmac_f64_e32 v[8:9], v[8:9], v[16:17]
	v_fma_f64 v[16:17], -v[6:7], v[8:9], 1.0
	v_fmac_f64_e32 v[8:9], v[8:9], v[16:17]
	v_mul_f64 v[16:17], v[14:15], v[8:9]
	v_fma_f64 v[6:7], -v[6:7], v[16:17], v[14:15]
	v_div_fmas_f64 v[6:7], v[6:7], v[8:9], v[16:17]
	v_div_fixup_f64 v[8:9], v[6:7], v[4:5], v[2:3]
	v_fma_f64 v[6:7], v[2:3], v[8:9], v[4:5]
	v_div_scale_f64 v[14:15], s[8:9], v[6:7], v[6:7], 1.0
	v_rcp_f64_e32 v[16:17], v[14:15]
	v_fma_f64 v[18:19], -v[14:15], v[16:17], 1.0
	v_fmac_f64_e32 v[16:17], v[16:17], v[18:19]
	v_fma_f64 v[18:19], -v[14:15], v[16:17], 1.0
	v_fmac_f64_e32 v[16:17], v[16:17], v[18:19]
	v_div_scale_f64 v[18:19], vcc, 1.0, v[6:7], 1.0
	v_mul_f64 v[20:21], v[18:19], v[16:17]
	v_fma_f64 v[14:15], -v[14:15], v[20:21], v[18:19]
	s_nop 1
	v_div_fmas_f64 v[14:15], v[14:15], v[16:17], v[20:21]
	v_div_fixup_f64 v[14:15], v[14:15], v[6:7], 1.0
	v_fma_f64 v[6:7], v[8:9], v[10:11], v[12:13]
	v_fma_f64 v[8:9], v[8:9], v[12:13], -v[10:11]
	v_mul_f64 v[6:7], v[6:7], v[14:15]
	v_mul_f64 v[8:9], v[8:9], v[14:15]
	s_cbranch_execz .LBB228_145
	s_branch .LBB228_146
.LBB228_144:                            ;   in Loop: Header=BB228_127 Depth=1
                                        ; implicit-def: $vgpr8_vgpr9
.LBB228_145:                            ;   in Loop: Header=BB228_127 Depth=1
	v_div_scale_f64 v[6:7], s[8:9], v[2:3], v[2:3], v[4:5]
	v_rcp_f64_e32 v[8:9], v[6:7]
	v_div_scale_f64 v[14:15], vcc, v[4:5], v[2:3], v[4:5]
	v_fma_f64 v[16:17], -v[6:7], v[8:9], 1.0
	v_fmac_f64_e32 v[8:9], v[8:9], v[16:17]
	v_fma_f64 v[16:17], -v[6:7], v[8:9], 1.0
	v_fmac_f64_e32 v[8:9], v[8:9], v[16:17]
	v_mul_f64 v[16:17], v[14:15], v[8:9]
	v_fma_f64 v[6:7], -v[6:7], v[16:17], v[14:15]
	v_div_fmas_f64 v[6:7], v[6:7], v[8:9], v[16:17]
	v_div_fixup_f64 v[8:9], v[6:7], v[2:3], v[4:5]
	v_fmac_f64_e32 v[2:3], v[4:5], v[8:9]
	v_div_scale_f64 v[4:5], s[8:9], v[2:3], v[2:3], 1.0
	v_rcp_f64_e32 v[6:7], v[4:5]
	v_fma_f64 v[14:15], -v[4:5], v[6:7], 1.0
	v_fmac_f64_e32 v[6:7], v[6:7], v[14:15]
	v_fma_f64 v[14:15], -v[4:5], v[6:7], 1.0
	v_fmac_f64_e32 v[6:7], v[6:7], v[14:15]
	v_div_scale_f64 v[14:15], vcc, 1.0, v[2:3], 1.0
	v_mul_f64 v[16:17], v[14:15], v[6:7]
	v_fma_f64 v[4:5], -v[4:5], v[16:17], v[14:15]
	s_nop 1
	v_div_fmas_f64 v[4:5], v[4:5], v[6:7], v[16:17]
	v_div_fixup_f64 v[2:3], v[4:5], v[2:3], 1.0
	v_fma_f64 v[4:5], v[8:9], v[12:13], v[10:11]
	v_mul_f64 v[6:7], v[4:5], v[2:3]
	v_fma_f64 v[4:5], -v[8:9], v[10:11], v[12:13]
	v_mul_f64 v[8:9], v[4:5], v[2:3]
.LBB228_146:                            ;   in Loop: Header=BB228_127 Depth=1
	s_add_i32 s11, s10, 4
	s_add_i32 s8, s10, 7
	s_addk_i32 s1, 0x600
	s_cmp_ge_i32 s8, s34
	ds_write_b128 v26, v[6:9]
	s_cbranch_scc1 .LBB228_148
; %bb.147:                              ;   in Loop: Header=BB228_127 Depth=1
	s_mov_b32 s10, s11
	s_branch .LBB228_127
.LBB228_148:
	s_cmp_ge_i32 s11, s34
	s_cbranch_scc1 .LBB228_163
; %bb.149:
	v_mov_b32_e32 v1, 0x2400
	s_add_i32 s1, s11, -1
	s_mul_i32 s10, s11, 0x180
	v_lshl_or_b32 v1, v0, 4, v1
	s_mov_b32 s14, 0
	s_mov_b32 s15, s11
	s_branch .LBB228_151
.LBB228_150:                            ;   in Loop: Header=BB228_151 Depth=1
	s_add_i32 s11, s11, 1
	s_add_i32 s14, s14, 1
	s_addk_i32 s10, 0x180
	v_add_u16_e64 v2, s15, 1
	s_cmp_ge_i32 s11, s34
	v_readfirstlane_b32 s15, v2
	ds_write_b128 v14, v[10:13]
	s_cbranch_scc1 .LBB228_163
.LBB228_151:                            ; =>This Loop Header: Depth=1
                                        ;     Child Loop BB228_154 Depth 2
                                        ;     Child Loop BB228_158 Depth 2
	s_mul_i32 s8, s11, 24
	v_add_lshl_u32 v6, s8, v0, 4
	ds_read_b128 v[2:5], v6 offset:9216
	s_cmp_eq_u32 s11, 0
	s_cbranch_scc1 .LBB228_159
; %bb.152:                              ;   in Loop: Header=BB228_151 Depth=1
	s_add_i32 s8, s1, s14
	s_cmp_lt_u32 s8, 7
	s_cbranch_scc1 .LBB228_156
; %bb.153:                              ;   in Loop: Header=BB228_151 Depth=1
	s_and_b32 s8, s11, -8
	s_mov_b32 s9, 0
	v_mov_b32_e32 v7, v1
	s_mov_b32 s16, s10
.LBB228_154:                            ;   Parent Loop BB228_151 Depth=1
                                        ; =>  This Inner Loop Header: Depth=2
	v_mov_b32_e32 v68, s16
	ds_read_b128 v[8:11], v7
	ds_read_b128 v[12:15], v7 offset:384
	ds_read_b128 v[16:19], v7 offset:768
	;; [unrolled: 1-line block ×7, first 2 shown]
	ds_read_b128 v[40:43], v68
	ds_read_b128 v[44:47], v68 offset:16
	ds_read_b128 v[48:51], v68 offset:32
	;; [unrolled: 1-line block ×7, first 2 shown]
	s_waitcnt lgkmcnt(7)
	v_mul_f64 v[72:73], v[42:43], v[10:11]
	v_mul_f64 v[10:11], v[40:41], v[10:11]
	s_waitcnt lgkmcnt(6)
	v_mul_f64 v[74:75], v[46:47], v[14:15]
	v_mul_f64 v[14:15], v[44:45], v[14:15]
	v_fma_f64 v[40:41], v[40:41], v[8:9], -v[72:73]
	v_fmac_f64_e32 v[10:11], v[42:43], v[8:9]
	s_waitcnt lgkmcnt(5)
	v_mul_f64 v[76:77], v[50:51], v[18:19]
	v_mul_f64 v[18:19], v[48:49], v[18:19]
	v_fma_f64 v[8:9], v[44:45], v[12:13], -v[74:75]
	v_fmac_f64_e32 v[14:15], v[46:47], v[12:13]
	v_add_f64 v[2:3], v[2:3], -v[40:41]
	v_add_f64 v[4:5], v[4:5], -v[10:11]
	s_waitcnt lgkmcnt(4)
	v_mul_f64 v[78:79], v[54:55], v[22:23]
	v_mul_f64 v[22:23], v[52:53], v[22:23]
	v_fma_f64 v[12:13], v[48:49], v[16:17], -v[76:77]
	v_fmac_f64_e32 v[18:19], v[50:51], v[16:17]
	v_add_f64 v[2:3], v[2:3], -v[8:9]
	v_add_f64 v[4:5], v[4:5], -v[14:15]
	;; [unrolled: 7-line block ×6, first 2 shown]
	s_add_i32 s9, s9, 8
	s_addk_i32 s16, 0x80
	v_fma_f64 v[32:33], v[68:69], v[36:37], -v[86:87]
	v_fmac_f64_e32 v[38:39], v[70:71], v[36:37]
	v_add_f64 v[2:3], v[2:3], -v[28:29]
	v_add_f64 v[4:5], v[4:5], -v[34:35]
	v_add_u32_e32 v7, 0xc00, v7
	s_cmp_eq_u32 s8, s9
	v_add_f64 v[2:3], v[2:3], -v[32:33]
	v_add_f64 v[4:5], v[4:5], -v[38:39]
	s_cbranch_scc0 .LBB228_154
; %bb.155:                              ;   in Loop: Header=BB228_151 Depth=1
	s_and_b32 s9, s11, 7
	s_cmp_eq_u32 s9, 0
	s_cbranch_scc0 .LBB228_157
	s_branch .LBB228_159
.LBB228_156:                            ;   in Loop: Header=BB228_151 Depth=1
	s_mov_b32 s8, 0
	s_and_b32 s9, s11, 7
	s_cmp_eq_u32 s9, 0
	s_cbranch_scc1 .LBB228_159
.LBB228_157:                            ;   in Loop: Header=BB228_151 Depth=1
	s_lshl_b32 s16, s8, 4
	s_mulk_i32 s8, 0x180
	s_and_b32 s9, s15, 7
	v_add_u32_e32 v7, s8, v1
.LBB228_158:                            ;   Parent Loop BB228_151 Depth=1
                                        ; =>  This Inner Loop Header: Depth=2
	s_add_i32 s8, s10, s16
	v_mov_b32_e32 v12, s8
	ds_read_b128 v[8:11], v7
	ds_read_b128 v[12:15], v12
	s_add_i32 s16, s16, 16
	s_add_i32 s9, s9, -1
	v_add_u32_e32 v7, 0x180, v7
	s_cmp_lg_u32 s9, 0
	s_waitcnt lgkmcnt(0)
	v_mul_f64 v[16:17], v[14:15], v[10:11]
	v_mul_f64 v[10:11], v[12:13], v[10:11]
	v_fma_f64 v[12:13], v[12:13], v[8:9], -v[16:17]
	v_fmac_f64_e32 v[10:11], v[14:15], v[8:9]
	v_add_f64 v[2:3], v[2:3], -v[12:13]
	v_add_f64 v[4:5], v[4:5], -v[10:11]
	s_cbranch_scc1 .LBB228_158
.LBB228_159:                            ;   in Loop: Header=BB228_151 Depth=1
	s_mul_i32 s8, s11, 0x190
	v_add_u32_e32 v14, 0x2400, v6
	v_mov_b32_e32 v6, s8
	ds_read_b128 v[6:9], v6
	s_waitcnt lgkmcnt(0)
	v_xor_b32_e32 v11, 0x80000000, v7
	v_cmp_gt_f64_e32 vcc, 0, v[6:7]
	v_xor_b32_e32 v12, 0x80000000, v9
	v_cndmask_b32_e32 v11, v7, v11, vcc
	v_cmp_gt_f64_e32 vcc, 0, v[8:9]
	v_mov_b32_e32 v10, v6
	v_cndmask_b32_e32 v13, v9, v12, vcc
	v_mov_b32_e32 v12, v8
	v_cmp_ngt_f64_e32 vcc, v[10:11], v[12:13]
	s_cbranch_vccz .LBB228_161
; %bb.160:                              ;   in Loop: Header=BB228_151 Depth=1
	v_div_scale_f64 v[10:11], s[8:9], v[8:9], v[8:9], v[6:7]
	v_rcp_f64_e32 v[12:13], v[10:11]
	v_div_scale_f64 v[16:17], vcc, v[6:7], v[8:9], v[6:7]
	v_fma_f64 v[18:19], -v[10:11], v[12:13], 1.0
	v_fmac_f64_e32 v[12:13], v[12:13], v[18:19]
	v_fma_f64 v[18:19], -v[10:11], v[12:13], 1.0
	v_fmac_f64_e32 v[12:13], v[12:13], v[18:19]
	v_mul_f64 v[18:19], v[16:17], v[12:13]
	v_fma_f64 v[10:11], -v[10:11], v[18:19], v[16:17]
	v_div_fmas_f64 v[10:11], v[10:11], v[12:13], v[18:19]
	v_div_fixup_f64 v[12:13], v[10:11], v[8:9], v[6:7]
	v_fma_f64 v[10:11], v[6:7], v[12:13], v[8:9]
	v_div_scale_f64 v[16:17], s[8:9], v[10:11], v[10:11], 1.0
	v_rcp_f64_e32 v[18:19], v[16:17]
	v_fma_f64 v[20:21], -v[16:17], v[18:19], 1.0
	v_fmac_f64_e32 v[18:19], v[18:19], v[20:21]
	v_fma_f64 v[20:21], -v[16:17], v[18:19], 1.0
	v_fmac_f64_e32 v[18:19], v[18:19], v[20:21]
	v_div_scale_f64 v[20:21], vcc, 1.0, v[10:11], 1.0
	v_mul_f64 v[22:23], v[20:21], v[18:19]
	v_fma_f64 v[16:17], -v[16:17], v[22:23], v[20:21]
	s_nop 1
	v_div_fmas_f64 v[16:17], v[16:17], v[18:19], v[22:23]
	v_div_fixup_f64 v[16:17], v[16:17], v[10:11], 1.0
	v_fma_f64 v[10:11], v[2:3], v[12:13], v[4:5]
	v_fma_f64 v[12:13], v[4:5], v[12:13], -v[2:3]
	v_mul_f64 v[10:11], v[10:11], v[16:17]
	v_mul_f64 v[12:13], v[12:13], v[16:17]
	s_cbranch_execnz .LBB228_150
	s_branch .LBB228_162
.LBB228_161:                            ;   in Loop: Header=BB228_151 Depth=1
                                        ; implicit-def: $vgpr10_vgpr11
.LBB228_162:                            ;   in Loop: Header=BB228_151 Depth=1
	v_div_scale_f64 v[10:11], s[8:9], v[6:7], v[6:7], v[8:9]
	v_rcp_f64_e32 v[12:13], v[10:11]
	v_div_scale_f64 v[16:17], vcc, v[8:9], v[6:7], v[8:9]
	v_fma_f64 v[18:19], -v[10:11], v[12:13], 1.0
	v_fmac_f64_e32 v[12:13], v[12:13], v[18:19]
	v_fma_f64 v[18:19], -v[10:11], v[12:13], 1.0
	v_fmac_f64_e32 v[12:13], v[12:13], v[18:19]
	v_mul_f64 v[18:19], v[16:17], v[12:13]
	v_fma_f64 v[10:11], -v[10:11], v[18:19], v[16:17]
	v_div_fmas_f64 v[10:11], v[10:11], v[12:13], v[18:19]
	v_div_fixup_f64 v[12:13], v[10:11], v[6:7], v[8:9]
	v_fmac_f64_e32 v[6:7], v[8:9], v[12:13]
	v_div_scale_f64 v[8:9], s[8:9], v[6:7], v[6:7], 1.0
	v_rcp_f64_e32 v[10:11], v[8:9]
	v_fma_f64 v[16:17], -v[8:9], v[10:11], 1.0
	v_fmac_f64_e32 v[10:11], v[10:11], v[16:17]
	v_fma_f64 v[16:17], -v[8:9], v[10:11], 1.0
	v_fmac_f64_e32 v[10:11], v[10:11], v[16:17]
	v_div_scale_f64 v[16:17], vcc, 1.0, v[6:7], 1.0
	v_mul_f64 v[18:19], v[16:17], v[10:11]
	v_fma_f64 v[8:9], -v[8:9], v[18:19], v[16:17]
	s_nop 1
	v_div_fmas_f64 v[8:9], v[8:9], v[10:11], v[18:19]
	v_div_fixup_f64 v[6:7], v[8:9], v[6:7], 1.0
	v_fma_f64 v[8:9], v[4:5], v[12:13], v[2:3]
	v_fma_f64 v[2:3], -v[2:3], v[12:13], v[4:5]
	v_mul_f64 v[10:11], v[8:9], v[6:7]
	v_mul_f64 v[12:13], v[2:3], v[6:7]
	s_branch .LBB228_150
.LBB228_163:
	s_and_saveexec_b64 s[8:9], s[6:7]
	s_cbranch_execz .LBB228_170
; %bb.164:
	s_ashr_i32 s1, s0, 31
	s_mov_b32 s14, 0
	s_cmp_lt_u32 s33, 4
	v_lshlrev_b32_e32 v1, 4, v0
	s_cbranch_scc1 .LBB228_167
; %bb.165:
	v_mov_b32_e32 v3, s25
	v_add_co_u32_e32 v2, vcc, s24, v1
	s_mul_hi_i32 s17, s0, 48
	s_lshl_b64 s[6:7], s[0:1], 6
	s_lshl_b64 s[8:9], s[0:1], 5
	;; [unrolled: 1-line block ×3, first 2 shown]
	v_mov_b32_e32 v4, 0x2400
	v_addc_co_u32_e32 v3, vcc, 0, v3, vcc
	s_and_b32 s14, s33, 0x7ffffffc
	s_mul_i32 s15, s0, 48
	v_lshl_or_b32 v4, v0, 4, v4
	s_mov_b32 s16, 0
	v_mov_b32_e32 v5, s11
	v_mov_b32_e32 v6, s9
	v_mov_b32_e32 v7, s17
	v_mov_b32_e32 v8, s7
.LBB228_166:                            ; =>This Inner Loop Header: Depth=1
	v_add_co_u32_e32 v26, vcc, s10, v2
	v_addc_co_u32_e32 v27, vcc, v3, v5, vcc
	ds_read2_b64 v[10:13], v4 offset1:1
	ds_read2_b64 v[14:17], v4 offset0:48 offset1:49
	ds_read2_b64 v[18:21], v4 offset0:96 offset1:97
	;; [unrolled: 1-line block ×3, first 2 shown]
	v_add_co_u32_e32 v28, vcc, s8, v2
	v_addc_co_u32_e32 v29, vcc, v3, v6, vcc
	v_add_co_u32_e32 v30, vcc, s15, v2
	v_addc_co_u32_e32 v31, vcc, v3, v7, vcc
	s_add_i32 s16, s16, 4
	s_waitcnt lgkmcnt(3)
	global_store_dwordx4 v[2:3], v[10:13], off
	s_waitcnt lgkmcnt(2)
	global_store_dwordx4 v[26:27], v[14:17], off
	;; [unrolled: 2-line block ×4, first 2 shown]
	v_add_co_u32_e32 v2, vcc, s6, v2
	v_add_u32_e32 v4, 0x600, v4
	s_cmp_lg_u32 s14, s16
	v_addc_co_u32_e32 v3, vcc, v3, v8, vcc
	s_cbranch_scc1 .LBB228_166
.LBB228_167:
	s_and_b32 s6, s33, 3
	s_cmp_eq_u32 s6, 0
	s_cbranch_scc1 .LBB228_170
; %bb.168:
	s_mul_hi_i32 s9, s0, s14
	s_mul_i32 s8, s0, s14
	s_lshl_b64 s[8:9], s[8:9], 4
	s_add_u32 s7, s12, s8
	s_addc_u32 s8, s13, s9
	s_add_u32 s7, s7, s23
	s_addc_u32 s8, s8, s22
	;; [unrolled: 2-line block ×4, first 2 shown]
	v_add_co_u32_e32 v2, vcc, s2, v1
	s_mul_i32 s2, s14, 0x180
	v_mov_b32_e32 v3, s3
	s_lshl_b64 s[0:1], s[0:1], 4
	v_lshl_add_u32 v0, v0, 4, s2
	v_addc_co_u32_e32 v3, vcc, 0, v3, vcc
	v_add_u32_e32 v0, 0x2400, v0
	v_mov_b32_e32 v1, s1
.LBB228_169:                            ; =>This Inner Loop Header: Depth=1
	ds_read2_b64 v[4:7], v0 offset1:1
	s_add_i32 s6, s6, -1
	v_add_u32_e32 v0, 0x180, v0
	s_cmp_lg_u32 s6, 0
	s_waitcnt lgkmcnt(0)
	global_store_dwordx4 v[2:3], v[4:7], off
	v_add_co_u32_e32 v2, vcc, s0, v2
	v_addc_co_u32_e32 v3, vcc, v3, v1, vcc
	s_cbranch_scc1 .LBB228_169
.LBB228_170:
	s_endpgm
	.section	.rodata,"a",@progbits
	.p2align	6, 0x0
	.amdhsa_kernel _ZL31rocblas_trsm_small_right_deviceI19rocblas_complex_numIdES1_PKS1_PS1_Li24EEv13rocblas_fill_18rocblas_operation_17rocblas_diagonal_iiT0_T1_lilT2_lili
		.amdhsa_group_segment_fixed_size 18432
		.amdhsa_private_segment_fixed_size 0
		.amdhsa_kernarg_size 368
		.amdhsa_user_sgpr_count 6
		.amdhsa_user_sgpr_private_segment_buffer 1
		.amdhsa_user_sgpr_dispatch_ptr 0
		.amdhsa_user_sgpr_queue_ptr 0
		.amdhsa_user_sgpr_kernarg_segment_ptr 1
		.amdhsa_user_sgpr_dispatch_id 0
		.amdhsa_user_sgpr_flat_scratch_init 0
		.amdhsa_user_sgpr_kernarg_preload_length 0
		.amdhsa_user_sgpr_kernarg_preload_offset 0
		.amdhsa_user_sgpr_private_segment_size 0
		.amdhsa_uses_dynamic_stack 0
		.amdhsa_system_sgpr_private_segment_wavefront_offset 0
		.amdhsa_system_sgpr_workgroup_id_x 1
		.amdhsa_system_sgpr_workgroup_id_y 0
		.amdhsa_system_sgpr_workgroup_id_z 1
		.amdhsa_system_sgpr_workgroup_info 0
		.amdhsa_system_vgpr_workitem_id 0
		.amdhsa_next_free_vgpr 88
		.amdhsa_next_free_sgpr 39
		.amdhsa_accum_offset 88
		.amdhsa_reserve_vcc 1
		.amdhsa_reserve_flat_scratch 0
		.amdhsa_float_round_mode_32 0
		.amdhsa_float_round_mode_16_64 0
		.amdhsa_float_denorm_mode_32 3
		.amdhsa_float_denorm_mode_16_64 3
		.amdhsa_dx10_clamp 1
		.amdhsa_ieee_mode 1
		.amdhsa_fp16_overflow 0
		.amdhsa_tg_split 0
		.amdhsa_exception_fp_ieee_invalid_op 0
		.amdhsa_exception_fp_denorm_src 0
		.amdhsa_exception_fp_ieee_div_zero 0
		.amdhsa_exception_fp_ieee_overflow 0
		.amdhsa_exception_fp_ieee_underflow 0
		.amdhsa_exception_fp_ieee_inexact 0
		.amdhsa_exception_int_div_zero 0
	.end_amdhsa_kernel
	.section	.text._ZL31rocblas_trsm_small_right_deviceI19rocblas_complex_numIdES1_PKS1_PS1_Li24EEv13rocblas_fill_18rocblas_operation_17rocblas_diagonal_iiT0_T1_lilT2_lili,"axG",@progbits,_ZL31rocblas_trsm_small_right_deviceI19rocblas_complex_numIdES1_PKS1_PS1_Li24EEv13rocblas_fill_18rocblas_operation_17rocblas_diagonal_iiT0_T1_lilT2_lili,comdat
.Lfunc_end228:
	.size	_ZL31rocblas_trsm_small_right_deviceI19rocblas_complex_numIdES1_PKS1_PS1_Li24EEv13rocblas_fill_18rocblas_operation_17rocblas_diagonal_iiT0_T1_lilT2_lili, .Lfunc_end228-_ZL31rocblas_trsm_small_right_deviceI19rocblas_complex_numIdES1_PKS1_PS1_Li24EEv13rocblas_fill_18rocblas_operation_17rocblas_diagonal_iiT0_T1_lilT2_lili
                                        ; -- End function
	.section	.AMDGPU.csdata,"",@progbits
; Kernel info:
; codeLenInByte = 17632
; NumSgprs: 43
; NumVgprs: 88
; NumAgprs: 0
; TotalNumVgprs: 88
; ScratchSize: 0
; MemoryBound: 0
; FloatMode: 240
; IeeeMode: 1
; LDSByteSize: 18432 bytes/workgroup (compile time only)
; SGPRBlocks: 5
; VGPRBlocks: 10
; NumSGPRsForWavesPerEU: 43
; NumVGPRsForWavesPerEU: 88
; AccumOffset: 88
; Occupancy: 1
; WaveLimiterHint : 0
; COMPUTE_PGM_RSRC2:SCRATCH_EN: 0
; COMPUTE_PGM_RSRC2:USER_SGPR: 6
; COMPUTE_PGM_RSRC2:TRAP_HANDLER: 0
; COMPUTE_PGM_RSRC2:TGID_X_EN: 1
; COMPUTE_PGM_RSRC2:TGID_Y_EN: 0
; COMPUTE_PGM_RSRC2:TGID_Z_EN: 1
; COMPUTE_PGM_RSRC2:TIDIG_COMP_CNT: 0
; COMPUTE_PGM_RSRC3_GFX90A:ACCUM_OFFSET: 21
; COMPUTE_PGM_RSRC3_GFX90A:TG_SPLIT: 0
	.section	.text._ZL38rocblas_trsm_small_left_device_sharedBILi28ELi28ELb0E19rocblas_complex_numIdES1_PKS1_PS1_Ev13rocblas_fill_18rocblas_operation_17rocblas_diagonal_iiT3_T4_lilT5_lili,"axG",@progbits,_ZL38rocblas_trsm_small_left_device_sharedBILi28ELi28ELb0E19rocblas_complex_numIdES1_PKS1_PS1_Ev13rocblas_fill_18rocblas_operation_17rocblas_diagonal_iiT3_T4_lilT5_lili,comdat
	.globl	_ZL38rocblas_trsm_small_left_device_sharedBILi28ELi28ELb0E19rocblas_complex_numIdES1_PKS1_PS1_Ev13rocblas_fill_18rocblas_operation_17rocblas_diagonal_iiT3_T4_lilT5_lili ; -- Begin function _ZL38rocblas_trsm_small_left_device_sharedBILi28ELi28ELb0E19rocblas_complex_numIdES1_PKS1_PS1_Ev13rocblas_fill_18rocblas_operation_17rocblas_diagonal_iiT3_T4_lilT5_lili
	.p2align	8
	.type	_ZL38rocblas_trsm_small_left_device_sharedBILi28ELi28ELb0E19rocblas_complex_numIdES1_PKS1_PS1_Ev13rocblas_fill_18rocblas_operation_17rocblas_diagonal_iiT3_T4_lilT5_lili,@function
_ZL38rocblas_trsm_small_left_device_sharedBILi28ELi28ELb0E19rocblas_complex_numIdES1_PKS1_PS1_Ev13rocblas_fill_18rocblas_operation_17rocblas_diagonal_iiT3_T4_lilT5_lili: ; @_ZL38rocblas_trsm_small_left_device_sharedBILi28ELi28ELb0E19rocblas_complex_numIdES1_PKS1_PS1_Ev13rocblas_fill_18rocblas_operation_17rocblas_diagonal_iiT3_T4_lilT5_lili
; %bb.0:
	s_add_u32 s0, s0, s10
	s_load_dwordx4 s[24:27], s[4:5], 0x4
	s_load_dwordx8 s[12:19], s[4:5], 0x18
	s_load_dwordx4 s[20:23], s[4:5], 0x40
	s_load_dwordx2 s[10:11], s[4:5], 0x50
	s_load_dword s39, s[4:5], 0x70
	s_addc_u32 s1, s1, 0
	s_waitcnt lgkmcnt(0)
	s_min_i32 s33, s26, 28
	s_mov_b32 s40, 0
	s_add_i32 s38, s33, -1
	v_cmp_gt_i32_e32 vcc, s33, v0
	s_and_saveexec_b64 s[28:29], vcc
	s_cbranch_execz .LBB229_15
; %bb.1:
	s_load_dword s30, s[4:5], 0x38
	s_mul_i32 s41, s21, s9
	s_mul_hi_u32 s42, s20, s9
	s_mul_i32 s20, s20, s9
	s_waitcnt lgkmcnt(0)
	s_ashr_i32 s31, s30, 31
	s_cmpk_eq_i32 s24, 0x71
	s_cselect_b64 vcc, -1, 0
	s_cmp_lt_u32 s38, 3
	s_cbranch_scc1 .LBB229_4
; %bb.2:
	s_add_i32 s21, s42, s41
	s_and_b32 s40, s33, -4
	s_lshl_b64 s[6:7], s[20:21], 4
	s_lshl_b64 s[34:35], s[18:19], 4
	s_add_u32 s6, s6, s34
	s_addc_u32 s7, s7, s35
	s_add_u32 s6, s16, s6
	v_lshlrev_b32_e32 v2, 4, v0
	s_addc_u32 s7, s17, s7
	v_mov_b32_e32 v3, s7
	v_add_co_u32_e64 v2, s[6:7], s6, v2
	v_addc_co_u32_e64 v3, s[6:7], 0, v3, s[6:7]
	v_add_co_u32_e64 v2, s[6:7], 8, v2
	s_lshl_b64 s[34:35], s[30:31], 6
	s_lshl_b64 s[36:37], s[30:31], 4
	v_lshlrev_b32_e32 v1, 4, v0
	v_addc_co_u32_e64 v3, s[6:7], 0, v3, s[6:7]
	s_mov_b32 s21, 0
	v_mov_b32_e32 v4, s37
	v_mov_b32_e32 v5, s35
.LBB229_3:                              ; =>This Inner Loop Header: Depth=1
	v_add_co_u32_e64 v18, s[6:7], s36, v2
	v_addc_co_u32_e64 v19, s[6:7], v3, v4, s[6:7]
	v_add_co_u32_e64 v20, s[6:7], s36, v18
	global_load_dwordx4 v[6:9], v[2:3], off offset:-8
	v_addc_co_u32_e64 v21, s[6:7], v19, v4, s[6:7]
	global_load_dwordx4 v[10:13], v[18:19], off offset:-8
	global_load_dwordx4 v[14:17], v[20:21], off offset:-8
	v_add_co_u32_e64 v18, s[6:7], s36, v20
	v_addc_co_u32_e64 v19, s[6:7], v21, v4, s[6:7]
	global_load_dwordx4 v[18:21], v[18:19], off offset:-8
	s_add_i32 s21, s21, 4
	v_add_co_u32_e64 v2, s[6:7], s34, v2
	s_cmp_eq_u32 s40, s21
	v_addc_co_u32_e64 v3, s[6:7], v3, v5, s[6:7]
	s_waitcnt vmcnt(3)
	v_xor_b32_e32 v22, 0x80000000, v9
	v_cndmask_b32_e32 v9, v9, v22, vcc
	ds_write_b128 v1, v[6:9]
	s_waitcnt vmcnt(1)
	v_xor_b32_e32 v6, 0x80000000, v17
	v_xor_b32_e32 v22, 0x80000000, v13
	v_cndmask_b32_e32 v17, v17, v6, vcc
	v_cndmask_b32_e32 v13, v13, v22, vcc
	ds_write_b128 v1, v[10:13] offset:448
	s_waitcnt vmcnt(0)
	v_xor_b32_e32 v6, 0x80000000, v21
	v_cndmask_b32_e32 v21, v21, v6, vcc
	ds_write_b128 v1, v[14:17] offset:896
	ds_write_b128 v1, v[18:21] offset:1344
	v_add_u32_e32 v1, 0x700, v1
	s_cbranch_scc0 .LBB229_3
.LBB229_4:
	s_and_b32 s34, s33, 3
	s_cmp_eq_u32 s34, 0
	s_cbranch_scc1 .LBB229_7
; %bb.5:
	s_mul_i32 s6, s40, 0x1c0
	s_add_i32 s21, s42, s41
	v_lshl_add_u32 v1, v0, 4, s6
	s_lshl_b64 s[6:7], s[20:21], 4
	s_mul_i32 s20, s31, s40
	s_mul_hi_u32 s21, s30, s40
	s_add_i32 s21, s21, s20
	s_mul_i32 s20, s30, s40
	s_lshl_b64 s[20:21], s[20:21], 4
	s_add_u32 s20, s6, s20
	s_addc_u32 s21, s7, s21
	s_lshl_b64 s[6:7], s[18:19], 4
	s_add_u32 s6, s20, s6
	s_addc_u32 s7, s21, s7
	s_add_u32 s6, s16, s6
	v_lshlrev_b32_e32 v2, 4, v0
	s_addc_u32 s7, s17, s7
	v_mov_b32_e32 v3, s7
	v_add_co_u32_e64 v2, s[6:7], s6, v2
	v_addc_co_u32_e64 v3, s[6:7], 0, v3, s[6:7]
	v_add_co_u32_e64 v2, s[6:7], 8, v2
	s_lshl_b64 s[16:17], s[30:31], 4
	v_addc_co_u32_e64 v3, s[6:7], 0, v3, s[6:7]
	v_mov_b32_e32 v4, s17
.LBB229_6:                              ; =>This Inner Loop Header: Depth=1
	global_load_dwordx4 v[6:9], v[2:3], off offset:-8
	v_add_co_u32_e64 v2, s[6:7], s16, v2
	s_add_i32 s34, s34, -1
	v_addc_co_u32_e64 v3, s[6:7], v3, v4, s[6:7]
	s_cmp_lg_u32 s34, 0
	s_waitcnt vmcnt(0)
	v_xor_b32_e32 v5, 0x80000000, v9
	v_cndmask_b32_e32 v9, v9, v5, vcc
	ds_write_b128 v1, v[6:9]
	v_add_u32_e32 v1, 0x1c0, v1
	s_cbranch_scc1 .LBB229_6
.LBB229_7:
	v_mul_u32_u24_e32 v1, 29, v0
	s_cmpk_lg_i32 s25, 0x84
	v_lshlrev_b32_e32 v1, 4, v1
	s_cbranch_scc0 .LBB229_13
; %bb.8:
	ds_read_b128 v[2:5], v1
	s_waitcnt lgkmcnt(0)
	v_xor_b32_e32 v7, 0x80000000, v3
	v_cmp_gt_f64_e32 vcc, 0, v[2:3]
	v_xor_b32_e32 v8, 0x80000000, v5
	v_cndmask_b32_e32 v7, v3, v7, vcc
	v_cmp_gt_f64_e32 vcc, 0, v[4:5]
	v_mov_b32_e32 v6, v2
	v_cndmask_b32_e32 v9, v5, v8, vcc
	v_mov_b32_e32 v8, v4
	v_cmp_ngt_f64_e32 vcc, v[6:7], v[8:9]
                                        ; implicit-def: $vgpr8_vgpr9
	s_and_saveexec_b64 s[6:7], vcc
	s_xor_b64 s[6:7], exec, s[6:7]
	s_cbranch_execz .LBB229_10
; %bb.9:
	v_div_scale_f64 v[6:7], s[16:17], v[4:5], v[4:5], v[2:3]
	v_rcp_f64_e32 v[8:9], v[6:7]
	v_div_scale_f64 v[10:11], vcc, v[2:3], v[4:5], v[2:3]
	v_fma_f64 v[12:13], -v[6:7], v[8:9], 1.0
	v_fmac_f64_e32 v[8:9], v[8:9], v[12:13]
	v_fma_f64 v[12:13], -v[6:7], v[8:9], 1.0
	v_fmac_f64_e32 v[8:9], v[8:9], v[12:13]
	v_mul_f64 v[12:13], v[10:11], v[8:9]
	v_fma_f64 v[6:7], -v[6:7], v[12:13], v[10:11]
	v_div_fmas_f64 v[6:7], v[6:7], v[8:9], v[12:13]
	v_div_fixup_f64 v[8:9], v[6:7], v[4:5], v[2:3]
	v_fmac_f64_e32 v[4:5], v[2:3], v[8:9]
	v_div_scale_f64 v[2:3], s[16:17], v[4:5], v[4:5], 1.0
	v_rcp_f64_e32 v[6:7], v[2:3]
	v_fma_f64 v[10:11], -v[2:3], v[6:7], 1.0
	v_fmac_f64_e32 v[6:7], v[6:7], v[10:11]
	v_fma_f64 v[10:11], -v[2:3], v[6:7], 1.0
	v_fmac_f64_e32 v[6:7], v[6:7], v[10:11]
	v_div_scale_f64 v[10:11], vcc, 1.0, v[4:5], 1.0
	v_mul_f64 v[12:13], v[10:11], v[6:7]
	v_fma_f64 v[2:3], -v[2:3], v[12:13], v[10:11]
	s_nop 1
	v_div_fmas_f64 v[2:3], v[2:3], v[6:7], v[12:13]
	v_div_fixup_f64 v[2:3], v[2:3], v[4:5], 1.0
	v_add_f64 v[4:5], v[8:9], 0
	v_mul_f64 v[6:7], v[4:5], v[2:3]
	v_fma_f64 v[4:5], v[8:9], 0, -1.0
	v_mul_f64 v[8:9], v[4:5], v[2:3]
                                        ; implicit-def: $vgpr2_vgpr3
.LBB229_10:
	s_andn2_saveexec_b64 s[6:7], s[6:7]
	s_cbranch_execz .LBB229_12
; %bb.11:
	v_div_scale_f64 v[6:7], s[16:17], v[2:3], v[2:3], v[4:5]
	v_rcp_f64_e32 v[8:9], v[6:7]
	v_div_scale_f64 v[10:11], vcc, v[4:5], v[2:3], v[4:5]
	v_fma_f64 v[12:13], -v[6:7], v[8:9], 1.0
	v_fmac_f64_e32 v[8:9], v[8:9], v[12:13]
	v_fma_f64 v[12:13], -v[6:7], v[8:9], 1.0
	v_fmac_f64_e32 v[8:9], v[8:9], v[12:13]
	v_mul_f64 v[12:13], v[10:11], v[8:9]
	v_fma_f64 v[6:7], -v[6:7], v[12:13], v[10:11]
	v_div_fmas_f64 v[6:7], v[6:7], v[8:9], v[12:13]
	v_div_fixup_f64 v[8:9], v[6:7], v[2:3], v[4:5]
	v_fmac_f64_e32 v[2:3], v[4:5], v[8:9]
	v_div_scale_f64 v[4:5], s[16:17], v[2:3], v[2:3], 1.0
	v_rcp_f64_e32 v[6:7], v[4:5]
	v_fma_f64 v[10:11], -v[4:5], v[6:7], 1.0
	v_fmac_f64_e32 v[6:7], v[6:7], v[10:11]
	v_fma_f64 v[10:11], -v[4:5], v[6:7], 1.0
	v_fmac_f64_e32 v[6:7], v[6:7], v[10:11]
	v_div_scale_f64 v[10:11], vcc, 1.0, v[2:3], 1.0
	v_mul_f64 v[12:13], v[10:11], v[6:7]
	v_fma_f64 v[4:5], -v[4:5], v[12:13], v[10:11]
	s_nop 1
	v_div_fmas_f64 v[4:5], v[4:5], v[6:7], v[12:13]
	v_div_fixup_f64 v[2:3], v[4:5], v[2:3], 1.0
	v_fma_f64 v[4:5], v[8:9], 0, 1.0
	v_mul_f64 v[6:7], v[4:5], v[2:3]
	v_add_f64 v[4:5], -v[8:9], 0
	v_mul_f64 v[8:9], v[4:5], v[2:3]
.LBB229_12:
	s_or_b64 exec, exec, s[6:7]
	s_branch .LBB229_14
.LBB229_13:
	v_mov_b32_e32 v6, 0
	v_mov_b32_e32 v7, 0x3ff00000
	v_pk_mov_b32 v[8:9], 0, 0
.LBB229_14:
	ds_write_b128 v1, v[6:9]
.LBB229_15:
	s_or_b64 exec, exec, s[28:29]
	s_load_dword s25, s[4:5], 0x58
	s_load_dwordx2 s[6:7], s[4:5], 0x60
	s_waitcnt lgkmcnt(0)
	s_ashr_i32 s28, s25, 31
	s_mul_i32 s5, s9, s7
	s_mul_hi_u32 s7, s9, s6
	s_mul_i32 s4, s9, s6
	s_add_i32 s5, s7, s5
	s_lshl_b64 s[4:5], s[4:5], 4
	s_add_u32 s9, s22, s4
	s_addc_u32 s16, s23, s5
	s_lshl_b64 s[6:7], s[10:11], 4
	s_add_u32 s17, s9, s6
	s_mul_i32 s9, s8, 0xffffffe4
	s_addc_u32 s16, s16, s7
	s_add_i32 s39, s39, -1
	s_add_i32 s9, s9, s27
	s_cmp_ge_u32 s8, s39
	s_mul_i32 s8, s8, 28
	s_mul_hi_i32 s11, s25, s8
	s_mul_i32 s10, s25, s8
	s_cselect_b32 s18, s9, 28
	s_ashr_i32 s9, s8, 31
	s_lshl_b64 s[10:11], s[10:11], 4
	s_add_u32 s27, s17, s10
	s_addc_u32 s29, s16, s11
	s_cmp_gt_i32 s26, 0
	v_cmp_gt_i32_e32 vcc, s18, v0
	s_cselect_b64 s[10:11], -1, 0
	s_mov_b32 s18, 0
	s_and_b64 s[10:11], vcc, s[10:11]
	s_and_saveexec_b64 s[16:17], s[10:11]
	s_cbranch_execz .LBB229_22
; %bb.16:
	s_cmp_lt_i32 s26, 8
	s_cbranch_scc1 .LBB229_19
; %bb.17:
	v_mad_i64_i32 v[2:3], s[18:19], s25, v0, 0
	v_lshlrev_b64 v[2:3], 4, v[2:3]
	v_mov_b32_e32 v4, s29
	v_add_co_u32_e32 v1, vcc, s27, v2
	v_addc_co_u32_e32 v2, vcc, v4, v3, vcc
	v_mov_b32_e32 v3, 0x3100
	s_lshl_b32 s18, s33, 4
	v_lshl_add_u32 v3, v0, 4, v3
	s_and_b32 s19, s18, 0x180
	s_mov_b32 s18, 0
	s_mov_b64 s[20:21], 0
.LBB229_18:                             ; =>This Inner Loop Header: Depth=1
	v_mov_b32_e32 v4, s21
	v_add_co_u32_e32 v36, vcc, s20, v1
	v_addc_co_u32_e32 v37, vcc, v2, v4, vcc
	global_load_dwordx4 v[4:7], v[36:37], off
	global_load_dwordx4 v[8:11], v[36:37], off offset:16
	global_load_dwordx4 v[12:15], v[36:37], off offset:32
	;; [unrolled: 1-line block ×7, first 2 shown]
	s_add_i32 s18, s18, 8
	s_add_u32 s20, s20, 0x80
	s_addc_u32 s21, s21, 0
	s_cmp_lg_u32 s19, s20
	s_waitcnt vmcnt(7)
	v_mul_f64 v[38:39], s[14:15], v[6:7]
	v_mul_f64 v[36:37], s[12:13], v[6:7]
	s_waitcnt vmcnt(6)
	v_mul_f64 v[40:41], s[14:15], v[10:11]
	v_mul_f64 v[6:7], s[12:13], v[10:11]
	;; [unrolled: 3-line block ×8, first 2 shown]
	v_fma_f64 v[34:35], s[12:13], v[4:5], -v[38:39]
	v_fmac_f64_e32 v[36:37], s[14:15], v[4:5]
	v_fma_f64 v[4:5], s[12:13], v[8:9], -v[40:41]
	v_fmac_f64_e32 v[6:7], s[14:15], v[8:9]
	v_fma_f64 v[8:9], s[12:13], v[12:13], -v[42:43]
	v_fmac_f64_e32 v[10:11], s[14:15], v[12:13]
	v_fma_f64 v[12:13], s[12:13], v[16:17], -v[44:45]
	v_fmac_f64_e32 v[14:15], s[14:15], v[16:17]
	v_fma_f64 v[16:17], s[12:13], v[20:21], -v[46:47]
	v_fmac_f64_e32 v[18:19], s[14:15], v[20:21]
	v_fma_f64 v[20:21], s[12:13], v[24:25], -v[48:49]
	v_fmac_f64_e32 v[22:23], s[14:15], v[24:25]
	v_fma_f64 v[24:25], s[12:13], v[28:29], -v[50:51]
	v_fmac_f64_e32 v[26:27], s[14:15], v[28:29]
	v_fma_f64 v[28:29], s[12:13], v[32:33], -v[52:53]
	v_fmac_f64_e32 v[30:31], s[14:15], v[32:33]
	ds_write_b128 v3, v[34:37]
	ds_write_b128 v3, v[4:7] offset:448
	ds_write_b128 v3, v[8:11] offset:896
	;; [unrolled: 1-line block ×7, first 2 shown]
	v_add_u32_e32 v3, 0xe00, v3
	s_cbranch_scc1 .LBB229_18
.LBB229_19:
	s_and_b32 s20, s33, 7
	s_cmp_eq_u32 s20, 0
	s_mov_b32 s19, 0
	s_cbranch_scc1 .LBB229_22
; %bb.20:
	s_mul_i32 s21, s18, 0x1c0
	s_lshl_b64 s[30:31], s[8:9], 4
	s_lshl_b64 s[18:19], s[18:19], 4
	s_add_u32 s18, s22, s18
	s_addc_u32 s19, s23, s19
	s_add_u32 s18, s18, s6
	s_addc_u32 s19, s19, s7
	v_lshlrev_b32_e32 v2, 4, v0
	s_add_u32 s18, s18, s4
	v_mov_b32_e32 v3, s31
	v_add_co_u32_e32 v4, vcc, s30, v2
	s_addc_u32 s19, s19, s5
	v_addc_co_u32_e32 v5, vcc, 0, v3, vcc
	v_pk_mov_b32 v[2:3], s[18:19], s[18:19] op_sel:[0,1]
	v_mad_u64_u32 v[2:3], s[18:19], v4, s25, v[2:3]
	v_mul_lo_u32 v4, v4, s28
	v_mul_lo_u32 v5, v5, s25
	v_lshl_add_u32 v1, v0, 4, s21
	v_add3_u32 v3, v5, v3, v4
	v_add_co_u32_e32 v2, vcc, 8, v2
	v_add_u32_e32 v1, 0x3100, v1
	v_addc_co_u32_e32 v3, vcc, 0, v3, vcc
.LBB229_21:                             ; =>This Inner Loop Header: Depth=1
	global_load_dwordx4 v[4:7], v[2:3], off offset:-8
	v_add_co_u32_e32 v2, vcc, 16, v2
	s_add_i32 s20, s20, -1
	v_addc_co_u32_e32 v3, vcc, 0, v3, vcc
	s_cmp_lg_u32 s20, 0
	s_waitcnt vmcnt(0)
	v_mul_f64 v[10:11], s[14:15], v[6:7]
	v_mul_f64 v[8:9], s[12:13], v[6:7]
	v_fma_f64 v[6:7], s[12:13], v[4:5], -v[10:11]
	v_fmac_f64_e32 v[8:9], s[14:15], v[4:5]
	ds_write_b128 v1, v[6:9]
	v_add_u32_e32 v1, 0x1c0, v1
	s_cbranch_scc1 .LBB229_21
.LBB229_22:
	s_or_b64 exec, exec, s[16:17]
	s_cmpk_eq_i32 s24, 0x6f
	s_mov_b64 s[12:13], -1
	s_waitcnt lgkmcnt(0)
	; wave barrier
	s_waitcnt lgkmcnt(0)
	s_cbranch_scc1 .LBB229_44
; %bb.23:
	v_mov_b32_e32 v1, 0x3100
	s_mov_b32 s13, 0
	v_lshl_add_u32 v1, v0, 4, v1
	v_mov_b32_e32 v6, 0
	s_mov_b32 s12, s13
	s_mov_b32 s16, s13
	s_branch .LBB229_25
.LBB229_24:                             ;   in Loop: Header=BB229_25 Depth=1
	s_cmp_ge_i32 s16, s33
	s_cselect_b64 s[14:15], -1, 0
	s_add_i32 s12, s12, 1
	s_cmp_eq_u32 s12, 3
	s_cselect_b64 s[18:19], -1, 0
	s_or_b64 s[14:15], s[14:15], s[18:19]
	s_andn2_b64 vcc, exec, s[14:15]
	s_cbranch_vccz .LBB229_43
.LBB229_25:                             ; =>This Loop Header: Depth=1
                                        ;     Child Loop BB229_28 Depth 2
                                        ;       Child Loop BB229_29 Depth 3
                                        ;       Child Loop BB229_32 Depth 3
                                        ;         Child Loop BB229_33 Depth 4
                                        ;       Child Loop BB229_37 Depth 3
                                        ;         Child Loop BB229_39 Depth 4
	s_lshl_b64 s[14:15], s[12:13], 2
	s_getpc_b64 s[18:19]
	s_add_u32 s18, s18, __const._ZL38rocblas_trsm_small_left_device_sharedBILi28ELi28ELb0E19rocblas_complex_numIdES1_PKS1_PS1_Ev13rocblas_fill_18rocblas_operation_17rocblas_diagonal_iiT3_T4_lilT5_lili.step_sizes@rel32@lo+4
	s_addc_u32 s19, s19, __const._ZL38rocblas_trsm_small_left_device_sharedBILi28ELi28ELb0E19rocblas_complex_numIdES1_PKS1_PS1_Ev13rocblas_fill_18rocblas_operation_17rocblas_diagonal_iiT3_T4_lilT5_lili.step_sizes@rel32@hi+12
	s_add_u32 s14, s14, s18
	s_addc_u32 s15, s15, s19
	s_load_dword s17, s[14:15], 0x0
	s_waitcnt lgkmcnt(0)
	s_add_i32 s18, s17, -1
	s_add_i32 s14, s18, s16
	s_cmp_ge_i32 s14, s33
	s_cbranch_scc1 .LBB229_24
; %bb.26:                               ;   in Loop: Header=BB229_25 Depth=1
	s_mul_i32 s20, s16, 0x1c0
	s_max_i32 s19, s17, 1
	v_add_u32_e32 v7, s20, v1
	s_mul_i32 s21, s17, 0x1c0
	s_mul_i32 s24, s16, 0x1d0
	;; [unrolled: 1-line block ×3, first 2 shown]
	s_branch .LBB229_28
.LBB229_27:                             ;   in Loop: Header=BB229_28 Depth=2
	s_add_i32 s16, s16, s17
	s_add_i32 s14, s18, s16
	;; [unrolled: 1-line block ×4, first 2 shown]
	s_cmp_ge_i32 s14, s33
	v_add_u32_e32 v7, s21, v7
	s_cbranch_scc1 .LBB229_24
.LBB229_28:                             ;   Parent Loop BB229_25 Depth=1
                                        ; =>  This Loop Header: Depth=2
                                        ;       Child Loop BB229_29 Depth 3
                                        ;       Child Loop BB229_32 Depth 3
                                        ;         Child Loop BB229_33 Depth 4
                                        ;       Child Loop BB229_37 Depth 3
                                        ;         Child Loop BB229_39 Depth 4
	v_mov_b32_e32 v2, 0
	v_mov_b32_e32 v3, v7
	s_mov_b32 s14, s19
.LBB229_29:                             ;   Parent Loop BB229_25 Depth=1
                                        ;     Parent Loop BB229_28 Depth=2
                                        ; =>    This Inner Loop Header: Depth=3
	ds_read_b128 v[8:11], v3
	s_add_i32 s14, s14, -1
	v_add_u32_e32 v3, 0x1c0, v3
	s_cmp_eq_u32 s14, 0
	s_waitcnt lgkmcnt(0)
	buffer_store_dword v11, v2, s[0:3], 0 offen offset:12
	buffer_store_dword v10, v2, s[0:3], 0 offen offset:8
	;; [unrolled: 1-line block ×3, first 2 shown]
	buffer_store_dword v8, v2, s[0:3], 0 offen
	v_add_u32_e32 v2, 16, v2
	s_cbranch_scc0 .LBB229_29
; %bb.30:                               ;   in Loop: Header=BB229_28 Depth=2
	s_cmp_lt_i32 s16, 1
	s_cbranch_scc1 .LBB229_35
; %bb.31:                               ;   in Loop: Header=BB229_28 Depth=2
	s_mov_b32 s14, 0
	s_mov_b32 s15, s20
.LBB229_32:                             ;   Parent Loop BB229_25 Depth=1
                                        ;     Parent Loop BB229_28 Depth=2
                                        ; =>    This Loop Header: Depth=3
                                        ;         Child Loop BB229_33 Depth 4
	s_mul_i32 s31, s14, 28
	v_add_lshl_u32 v2, s31, v0, 4
	ds_read_b128 v[2:5], v2 offset:12544
	v_mov_b32_e32 v8, 0
	s_mov_b32 s31, s15
	s_mov_b32 s34, s19
.LBB229_33:                             ;   Parent Loop BB229_25 Depth=1
                                        ;     Parent Loop BB229_28 Depth=2
                                        ;       Parent Loop BB229_32 Depth=3
                                        ; =>      This Inner Loop Header: Depth=4
	buffer_load_dword v14, v8, s[0:3], 0 offen
	buffer_load_dword v15, v8, s[0:3], 0 offen offset:4
	buffer_load_dword v16, v8, s[0:3], 0 offen offset:8
	;; [unrolled: 1-line block ×3, first 2 shown]
	v_mov_b32_e32 v9, s31
	ds_read_b128 v[10:13], v9
	s_add_i32 s34, s34, -1
	s_addk_i32 s31, 0x1c0
	s_cmp_eq_u32 s34, 0
	s_waitcnt lgkmcnt(0)
	v_mul_f64 v[18:19], v[4:5], v[12:13]
	v_mul_f64 v[12:13], v[2:3], v[12:13]
	v_fma_f64 v[18:19], v[2:3], v[10:11], -v[18:19]
	v_fmac_f64_e32 v[12:13], v[4:5], v[10:11]
	s_waitcnt vmcnt(2)
	v_add_f64 v[10:11], v[14:15], -v[18:19]
	s_waitcnt vmcnt(0)
	v_add_f64 v[12:13], v[16:17], -v[12:13]
	buffer_store_dword v10, v8, s[0:3], 0 offen
	buffer_store_dword v11, v8, s[0:3], 0 offen offset:4
	buffer_store_dword v12, v8, s[0:3], 0 offen offset:8
	;; [unrolled: 1-line block ×3, first 2 shown]
	v_add_u32_e32 v8, 16, v8
	s_cbranch_scc0 .LBB229_33
; %bb.34:                               ;   in Loop: Header=BB229_32 Depth=3
	s_add_i32 s14, s14, 1
	s_add_i32 s15, s15, 16
	s_cmp_ge_i32 s14, s16
	s_cbranch_scc0 .LBB229_32
.LBB229_35:                             ;   in Loop: Header=BB229_28 Depth=2
	s_mul_i32 s31, s16, 28
	s_mov_b32 s34, 0
	s_mov_b32 s35, s24
	s_branch .LBB229_37
.LBB229_36:                             ;   in Loop: Header=BB229_37 Depth=3
	s_mul_i32 s14, s37, 0x1d0
	v_mov_b32_e32 v8, s14
	ds_read_b128 v[8:11], v8
	s_lshl_b32 s14, s34, 4
	s_add_i32 s34, s34, 1
	s_addk_i32 s35, 0x1c0
	v_add_u32_e32 v16, s14, v6
	s_waitcnt vmcnt(0) lgkmcnt(0)
	v_mul_f64 v[12:13], v[10:11], v[4:5]
	v_mul_f64 v[14:15], v[8:9], v[4:5]
	v_fma_f64 v[12:13], v[8:9], v[2:3], -v[12:13]
	v_fmac_f64_e32 v[14:15], v[10:11], v[2:3]
	v_add_lshl_u32 v2, s36, v0, 4
	s_cmp_eq_u32 s34, s19
	buffer_store_dword v13, v16, s[0:3], 0 offen offset:4
	buffer_store_dword v12, v16, s[0:3], 0 offen
	buffer_store_dword v15, v16, s[0:3], 0 offen offset:12
	buffer_store_dword v14, v16, s[0:3], 0 offen offset:8
	ds_write_b128 v2, v[12:15] offset:12544
	s_cbranch_scc1 .LBB229_27
.LBB229_37:                             ;   Parent Loop BB229_25 Depth=1
                                        ;     Parent Loop BB229_28 Depth=2
                                        ; =>    This Loop Header: Depth=3
                                        ;         Child Loop BB229_39 Depth 4
	s_cmp_lg_u32 s34, 0
	s_cbranch_scc0 .LBB229_41
; %bb.38:                               ;   in Loop: Header=BB229_37 Depth=3
	s_lshl_b32 s14, s34, 4
	v_add_u32_e32 v8, s14, v6
	buffer_load_dword v2, v8, s[0:3], 0 offen
	buffer_load_dword v3, v8, s[0:3], 0 offen offset:4
	buffer_load_dword v4, v8, s[0:3], 0 offen offset:8
	buffer_load_dword v5, v8, s[0:3], 0 offen offset:12
	s_add_i32 s37, s34, s16
	s_mul_i32 s36, s37, 28
	v_mov_b32_e32 v9, 0
	s_mov_b32 s14, 0
	s_mov_b32 s15, s35
.LBB229_39:                             ;   Parent Loop BB229_25 Depth=1
                                        ;     Parent Loop BB229_28 Depth=2
                                        ;       Parent Loop BB229_37 Depth=3
                                        ; =>      This Inner Loop Header: Depth=4
	buffer_load_dword v14, v9, s[0:3], 0 offen offset:8
	buffer_load_dword v15, v9, s[0:3], 0 offen offset:12
	buffer_load_dword v16, v9, s[0:3], 0 offen
	buffer_load_dword v17, v9, s[0:3], 0 offen offset:4
	v_mov_b32_e32 v10, s15
	ds_read_b128 v[10:13], v10
	s_add_i32 s14, s14, 1
	s_add_i32 s15, s15, 16
	v_add_u32_e32 v9, 16, v9
	s_cmp_ge_u32 s14, s34
	s_waitcnt vmcnt(2) lgkmcnt(0)
	v_mul_f64 v[18:19], v[12:13], v[14:15]
	v_mul_f64 v[14:15], v[10:11], v[14:15]
	s_waitcnt vmcnt(0)
	v_fma_f64 v[10:11], v[10:11], v[16:17], -v[18:19]
	v_fmac_f64_e32 v[14:15], v[12:13], v[16:17]
	v_add_f64 v[2:3], v[2:3], -v[10:11]
	v_add_f64 v[4:5], v[4:5], -v[14:15]
	buffer_store_dword v2, v8, s[0:3], 0 offen
	buffer_store_dword v3, v8, s[0:3], 0 offen offset:4
	buffer_store_dword v4, v8, s[0:3], 0 offen offset:8
	;; [unrolled: 1-line block ×3, first 2 shown]
	s_cbranch_scc0 .LBB229_39
; %bb.40:                               ;   in Loop: Header=BB229_37 Depth=3
	s_branch .LBB229_36
.LBB229_41:                             ;   in Loop: Header=BB229_37 Depth=3
                                        ; implicit-def: $vgpr2_vgpr3
                                        ; implicit-def: $vgpr4_vgpr5
                                        ; implicit-def: $sgpr37
                                        ; implicit-def: $sgpr36
	s_cbranch_execz .LBB229_36
; %bb.42:                               ;   in Loop: Header=BB229_37 Depth=3
	buffer_load_dword v2, off, s[0:3], 0
	buffer_load_dword v3, off, s[0:3], 0 offset:4
	buffer_load_dword v4, off, s[0:3], 0 offset:8
	;; [unrolled: 1-line block ×3, first 2 shown]
	s_mov_b32 s36, s31
	s_mov_b32 s37, s16
	s_branch .LBB229_36
.LBB229_43:
	s_mov_b64 s[12:13], 0
.LBB229_44:
	s_and_b64 vcc, exec, s[12:13]
	s_cbranch_vccz .LBB229_64
; %bb.45:
	v_mov_b32_e32 v1, 0x3100
	s_mul_i32 s16, s33, 0x1c0
	s_mov_b32 s13, 0
	v_lshl_add_u32 v1, v0, 4, v1
	s_addk_i32 s16, 0xfe40
	v_mov_b32_e32 v6, 0
	s_mov_b32 s12, s13
	s_mov_b32 s17, s38
	s_branch .LBB229_47
.LBB229_46:                             ;   in Loop: Header=BB229_47 Depth=1
	s_cmp_lt_i32 s17, 0
	s_cselect_b64 s[14:15], -1, 0
	s_add_i32 s12, s12, 1
	s_cmp_eq_u32 s12, 3
	s_cselect_b64 s[18:19], -1, 0
	s_or_b64 s[14:15], s[14:15], s[18:19]
	s_and_b64 vcc, exec, s[14:15]
	s_cbranch_vccnz .LBB229_64
.LBB229_47:                             ; =>This Loop Header: Depth=1
                                        ;     Child Loop BB229_50 Depth 2
                                        ;       Child Loop BB229_51 Depth 3
                                        ;       Child Loop BB229_53 Depth 3
                                        ;         Child Loop BB229_54 Depth 4
                                        ;       Child Loop BB229_58 Depth 3
                                        ;         Child Loop BB229_60 Depth 4
	s_lshl_b64 s[14:15], s[12:13], 2
	s_getpc_b64 s[18:19]
	s_add_u32 s18, s18, __const._ZL38rocblas_trsm_small_left_device_sharedBILi28ELi28ELb0E19rocblas_complex_numIdES1_PKS1_PS1_Ev13rocblas_fill_18rocblas_operation_17rocblas_diagonal_iiT3_T4_lilT5_lili.step_sizes@rel32@lo+4
	s_addc_u32 s19, s19, __const._ZL38rocblas_trsm_small_left_device_sharedBILi28ELi28ELb0E19rocblas_complex_numIdES1_PKS1_PS1_Ev13rocblas_fill_18rocblas_operation_17rocblas_diagonal_iiT3_T4_lilT5_lili.step_sizes@rel32@hi+12
	s_add_u32 s14, s14, s18
	s_addc_u32 s15, s15, s19
	s_load_dword s18, s[14:15], 0x0
	s_waitcnt lgkmcnt(0)
	s_add_i32 s19, s18, -1
	s_cmp_lt_i32 s17, s19
	s_cbranch_scc1 .LBB229_46
; %bb.48:                               ;   in Loop: Header=BB229_47 Depth=1
	s_mul_i32 s14, s17, 0x1c0
	v_add_u32_e32 v7, s14, v1
	s_lshl_b32 s14, s17, 4
	s_add_i32 s24, s16, s14
	s_lshl_b32 s14, s18, 4
	s_max_i32 s20, s18, 1
	s_mul_i32 s21, s18, 0xfffffe40
	s_sub_i32 s30, 0, s14
	s_mul_i32 s31, s17, 0x1d0
	s_mul_i32 s34, s18, 0xfffffe30
	s_branch .LBB229_50
.LBB229_49:                             ;   in Loop: Header=BB229_50 Depth=2
	s_sub_i32 s17, s17, s18
	s_add_i32 s24, s24, s30
	s_add_i32 s31, s31, s34
	s_cmp_lt_i32 s17, s19
	v_add_u32_e32 v7, s21, v7
	s_cbranch_scc1 .LBB229_46
.LBB229_50:                             ;   Parent Loop BB229_47 Depth=1
                                        ; =>  This Loop Header: Depth=2
                                        ;       Child Loop BB229_51 Depth 3
                                        ;       Child Loop BB229_53 Depth 3
                                        ;         Child Loop BB229_54 Depth 4
                                        ;       Child Loop BB229_58 Depth 3
                                        ;         Child Loop BB229_60 Depth 4
	v_mov_b32_e32 v2, 0
	v_mov_b32_e32 v3, v7
	s_mov_b32 s14, s20
.LBB229_51:                             ;   Parent Loop BB229_47 Depth=1
                                        ;     Parent Loop BB229_50 Depth=2
                                        ; =>    This Inner Loop Header: Depth=3
	ds_read_b128 v[8:11], v3
	s_add_i32 s14, s14, -1
	v_add_u32_e32 v3, 0xfffffe40, v3
	s_cmp_eq_u32 s14, 0
	s_waitcnt lgkmcnt(0)
	buffer_store_dword v11, v2, s[0:3], 0 offen offset:12
	buffer_store_dword v10, v2, s[0:3], 0 offen offset:8
	;; [unrolled: 1-line block ×3, first 2 shown]
	buffer_store_dword v8, v2, s[0:3], 0 offen
	v_add_u32_e32 v2, 16, v2
	s_cbranch_scc0 .LBB229_51
; %bb.52:                               ;   in Loop: Header=BB229_50 Depth=2
	s_cmp_le_i32 s38, s17
	s_mov_b32 s14, s24
	s_mov_b32 s15, s38
	s_cbranch_scc1 .LBB229_56
.LBB229_53:                             ;   Parent Loop BB229_47 Depth=1
                                        ;     Parent Loop BB229_50 Depth=2
                                        ; =>    This Loop Header: Depth=3
                                        ;         Child Loop BB229_54 Depth 4
	s_mul_i32 s35, s15, 28
	v_add_lshl_u32 v2, s35, v0, 4
	ds_read_b128 v[2:5], v2 offset:12544
	v_mov_b32_e32 v8, 0
	s_mov_b32 s35, s20
	s_mov_b32 s36, s14
.LBB229_54:                             ;   Parent Loop BB229_47 Depth=1
                                        ;     Parent Loop BB229_50 Depth=2
                                        ;       Parent Loop BB229_53 Depth=3
                                        ; =>      This Inner Loop Header: Depth=4
	buffer_load_dword v14, v8, s[0:3], 0 offen
	buffer_load_dword v15, v8, s[0:3], 0 offen offset:4
	buffer_load_dword v16, v8, s[0:3], 0 offen offset:8
	;; [unrolled: 1-line block ×3, first 2 shown]
	v_mov_b32_e32 v9, s36
	ds_read_b128 v[10:13], v9
	s_add_i32 s36, s36, -16
	s_add_i32 s35, s35, -1
	s_cmp_eq_u32 s35, 0
	s_waitcnt lgkmcnt(0)
	v_mul_f64 v[18:19], v[4:5], v[12:13]
	v_mul_f64 v[12:13], v[2:3], v[12:13]
	v_fma_f64 v[18:19], v[2:3], v[10:11], -v[18:19]
	v_fmac_f64_e32 v[12:13], v[4:5], v[10:11]
	s_waitcnt vmcnt(2)
	v_add_f64 v[10:11], v[14:15], -v[18:19]
	s_waitcnt vmcnt(0)
	v_add_f64 v[12:13], v[16:17], -v[12:13]
	buffer_store_dword v10, v8, s[0:3], 0 offen
	buffer_store_dword v11, v8, s[0:3], 0 offen offset:4
	buffer_store_dword v12, v8, s[0:3], 0 offen offset:8
	buffer_store_dword v13, v8, s[0:3], 0 offen offset:12
	v_add_u32_e32 v8, 16, v8
	s_cbranch_scc0 .LBB229_54
; %bb.55:                               ;   in Loop: Header=BB229_53 Depth=3
	s_add_i32 s15, s15, -1
	s_addk_i32 s14, 0xfe40
	s_cmp_le_i32 s15, s17
	s_cbranch_scc0 .LBB229_53
.LBB229_56:                             ;   in Loop: Header=BB229_50 Depth=2
	s_mov_b32 s35, 0
	s_mov_b32 s36, s31
	s_branch .LBB229_58
.LBB229_57:                             ;   in Loop: Header=BB229_58 Depth=3
	s_mul_i32 s14, s37, 0x1d0
	v_mov_b32_e32 v8, s14
	ds_read_b128 v[8:11], v8
	s_mul_i32 s14, s37, 28
	s_lshl_b32 s15, s35, 4
	s_add_i32 s35, s35, 1
	s_add_i32 s36, s36, -16
	s_waitcnt vmcnt(0) lgkmcnt(0)
	v_mul_f64 v[12:13], v[10:11], v[4:5]
	v_mul_f64 v[14:15], v[8:9], v[4:5]
	v_add_u32_e32 v16, s15, v6
	v_fma_f64 v[12:13], v[8:9], v[2:3], -v[12:13]
	v_fmac_f64_e32 v[14:15], v[10:11], v[2:3]
	v_add_lshl_u32 v2, s14, v0, 4
	s_cmp_eq_u32 s35, s20
	buffer_store_dword v13, v16, s[0:3], 0 offen offset:4
	buffer_store_dword v12, v16, s[0:3], 0 offen
	buffer_store_dword v15, v16, s[0:3], 0 offen offset:12
	buffer_store_dword v14, v16, s[0:3], 0 offen offset:8
	ds_write_b128 v2, v[12:15] offset:12544
	s_cbranch_scc1 .LBB229_49
.LBB229_58:                             ;   Parent Loop BB229_47 Depth=1
                                        ;     Parent Loop BB229_50 Depth=2
                                        ; =>    This Loop Header: Depth=3
                                        ;         Child Loop BB229_60 Depth 4
	s_cmp_lg_u32 s35, 0
	s_cbranch_scc0 .LBB229_62
; %bb.59:                               ;   in Loop: Header=BB229_58 Depth=3
	s_lshl_b32 s14, s35, 4
	v_add_u32_e32 v8, s14, v6
	buffer_load_dword v2, v8, s[0:3], 0 offen
	buffer_load_dword v3, v8, s[0:3], 0 offen offset:4
	buffer_load_dword v4, v8, s[0:3], 0 offen offset:8
	;; [unrolled: 1-line block ×3, first 2 shown]
	s_sub_i32 s37, s17, s35
	v_mov_b32_e32 v9, 0
	s_mov_b32 s14, 0
	s_mov_b32 s15, s36
.LBB229_60:                             ;   Parent Loop BB229_47 Depth=1
                                        ;     Parent Loop BB229_50 Depth=2
                                        ;       Parent Loop BB229_58 Depth=3
                                        ; =>      This Inner Loop Header: Depth=4
	buffer_load_dword v14, v9, s[0:3], 0 offen offset:8
	buffer_load_dword v15, v9, s[0:3], 0 offen offset:12
	buffer_load_dword v16, v9, s[0:3], 0 offen
	buffer_load_dword v17, v9, s[0:3], 0 offen offset:4
	v_mov_b32_e32 v10, s15
	ds_read_b128 v[10:13], v10
	s_add_i32 s14, s14, 1
	s_addk_i32 s15, 0xfe40
	v_add_u32_e32 v9, 16, v9
	s_cmp_ge_u32 s14, s35
	s_waitcnt vmcnt(2) lgkmcnt(0)
	v_mul_f64 v[18:19], v[12:13], v[14:15]
	v_mul_f64 v[14:15], v[10:11], v[14:15]
	s_waitcnt vmcnt(0)
	v_fma_f64 v[10:11], v[10:11], v[16:17], -v[18:19]
	v_fmac_f64_e32 v[14:15], v[12:13], v[16:17]
	v_add_f64 v[2:3], v[2:3], -v[10:11]
	v_add_f64 v[4:5], v[4:5], -v[14:15]
	buffer_store_dword v2, v8, s[0:3], 0 offen
	buffer_store_dword v3, v8, s[0:3], 0 offen offset:4
	buffer_store_dword v4, v8, s[0:3], 0 offen offset:8
	;; [unrolled: 1-line block ×3, first 2 shown]
	s_cbranch_scc0 .LBB229_60
; %bb.61:                               ;   in Loop: Header=BB229_58 Depth=3
	s_branch .LBB229_57
.LBB229_62:                             ;   in Loop: Header=BB229_58 Depth=3
                                        ; implicit-def: $vgpr2_vgpr3
                                        ; implicit-def: $vgpr4_vgpr5
                                        ; implicit-def: $sgpr37
	s_cbranch_execz .LBB229_57
; %bb.63:                               ;   in Loop: Header=BB229_58 Depth=3
	buffer_load_dword v2, off, s[0:3], 0
	buffer_load_dword v3, off, s[0:3], 0 offset:4
	buffer_load_dword v4, off, s[0:3], 0 offset:8
	;; [unrolled: 1-line block ×3, first 2 shown]
	s_mov_b32 s37, s17
	s_branch .LBB229_57
.LBB229_64:
	s_waitcnt lgkmcnt(0)
	; wave barrier
	s_waitcnt lgkmcnt(0)
	s_and_saveexec_b64 s[12:13], s[10:11]
	s_cbranch_execz .LBB229_71
; %bb.65:
	s_cmp_lt_i32 s26, 8
	s_mov_b32 s10, 0
	s_cbranch_scc1 .LBB229_68
; %bb.66:
	v_mad_i64_i32 v[2:3], s[10:11], s25, v0, 0
	v_lshlrev_b64 v[2:3], 4, v[2:3]
	v_mov_b32_e32 v4, s29
	v_add_co_u32_e32 v1, vcc, s27, v2
	v_addc_co_u32_e32 v2, vcc, v4, v3, vcc
	v_mov_b32_e32 v3, 0x3100
	s_lshl_b32 s10, s33, 4
	v_lshl_add_u32 v3, v0, 4, v3
	s_and_b32 s11, s10, 0x180
	s_mov_b32 s10, 0
	s_mov_b64 s[12:13], 0
.LBB229_67:                             ; =>This Inner Loop Header: Depth=1
	v_mov_b32_e32 v24, s13
	v_add_u32_e32 v25, 0x8c0, v3
	v_add_u32_e32 v28, 0xa80, v3
	;; [unrolled: 1-line block ×3, first 2 shown]
	v_add_co_u32_e32 v36, vcc, s12, v1
	ds_read2_b64 v[4:7], v3 offset1:1
	ds_read2_b64 v[8:11], v3 offset0:56 offset1:57
	ds_read2_b64 v[12:15], v3 offset0:112 offset1:113
	;; [unrolled: 1-line block ×4, first 2 shown]
	v_addc_co_u32_e32 v37, vcc, v2, v24, vcc
	ds_read2_b64 v[24:27], v25 offset1:1
	ds_read2_b64 v[28:31], v28 offset1:1
	ds_read2_b64 v[32:35], v32 offset1:1
	s_add_i32 s10, s10, 8
	s_add_u32 s12, s12, 0x80
	s_addc_u32 s13, s13, 0
	v_add_u32_e32 v3, 0xe00, v3
	s_cmp_lg_u32 s11, s12
	s_waitcnt lgkmcnt(7)
	global_store_dwordx4 v[36:37], v[4:7], off
	s_waitcnt lgkmcnt(6)
	global_store_dwordx4 v[36:37], v[8:11], off offset:16
	s_waitcnt lgkmcnt(5)
	global_store_dwordx4 v[36:37], v[12:15], off offset:32
	;; [unrolled: 2-line block ×7, first 2 shown]
	s_cbranch_scc1 .LBB229_67
.LBB229_68:
	s_and_b32 s12, s33, 7
	s_cmp_eq_u32 s12, 0
	s_mov_b32 s11, 0
	s_cbranch_scc1 .LBB229_71
; %bb.69:
	s_lshl_b64 s[8:9], s[8:9], 4
	v_lshlrev_b32_e32 v1, 4, v0
	v_mov_b32_e32 v2, s9
	v_add_co_u32_e32 v1, vcc, s8, v1
	s_lshl_b64 s[8:9], s[10:11], 4
	s_add_u32 s8, s22, s8
	s_addc_u32 s9, s23, s9
	s_add_u32 s6, s8, s6
	s_addc_u32 s7, s9, s7
	s_add_u32 s4, s6, s4
	s_addc_u32 s5, s7, s5
	v_addc_co_u32_e32 v4, vcc, 0, v2, vcc
	v_pk_mov_b32 v[2:3], s[4:5], s[4:5] op_sel:[0,1]
	v_mad_u64_u32 v[2:3], s[4:5], v1, s25, v[2:3]
	s_mul_i32 s4, s10, 0x1c0
	v_mul_lo_u32 v1, v1, s28
	v_mul_lo_u32 v4, v4, s25
	v_lshl_add_u32 v0, v0, 4, s4
	v_add3_u32 v3, v4, v3, v1
	v_add_u32_e32 v0, 0x3100, v0
.LBB229_70:                             ; =>This Inner Loop Header: Depth=1
	ds_read2_b64 v[4:7], v0 offset1:1
	s_add_i32 s12, s12, -1
	v_add_u32_e32 v0, 0x1c0, v0
	s_cmp_lg_u32 s12, 0
	s_waitcnt lgkmcnt(0)
	global_store_dwordx4 v[2:3], v[4:7], off
	v_add_co_u32_e32 v2, vcc, 16, v2
	v_addc_co_u32_e32 v3, vcc, 0, v3, vcc
	s_cbranch_scc1 .LBB229_70
.LBB229_71:
	s_endpgm
	.section	.rodata,"a",@progbits
	.p2align	6, 0x0
	.amdhsa_kernel _ZL38rocblas_trsm_small_left_device_sharedBILi28ELi28ELb0E19rocblas_complex_numIdES1_PKS1_PS1_Ev13rocblas_fill_18rocblas_operation_17rocblas_diagonal_iiT3_T4_lilT5_lili
		.amdhsa_group_segment_fixed_size 25088
		.amdhsa_private_segment_fixed_size 464
		.amdhsa_kernarg_size 368
		.amdhsa_user_sgpr_count 8
		.amdhsa_user_sgpr_private_segment_buffer 1
		.amdhsa_user_sgpr_dispatch_ptr 0
		.amdhsa_user_sgpr_queue_ptr 0
		.amdhsa_user_sgpr_kernarg_segment_ptr 1
		.amdhsa_user_sgpr_dispatch_id 0
		.amdhsa_user_sgpr_flat_scratch_init 1
		.amdhsa_user_sgpr_kernarg_preload_length 0
		.amdhsa_user_sgpr_kernarg_preload_offset 0
		.amdhsa_user_sgpr_private_segment_size 0
		.amdhsa_uses_dynamic_stack 0
		.amdhsa_system_sgpr_private_segment_wavefront_offset 1
		.amdhsa_system_sgpr_workgroup_id_x 1
		.amdhsa_system_sgpr_workgroup_id_y 0
		.amdhsa_system_sgpr_workgroup_id_z 1
		.amdhsa_system_sgpr_workgroup_info 0
		.amdhsa_system_vgpr_workitem_id 0
		.amdhsa_next_free_vgpr 54
		.amdhsa_next_free_sgpr 43
		.amdhsa_accum_offset 56
		.amdhsa_reserve_vcc 1
		.amdhsa_reserve_flat_scratch 0
		.amdhsa_float_round_mode_32 0
		.amdhsa_float_round_mode_16_64 0
		.amdhsa_float_denorm_mode_32 3
		.amdhsa_float_denorm_mode_16_64 3
		.amdhsa_dx10_clamp 1
		.amdhsa_ieee_mode 1
		.amdhsa_fp16_overflow 0
		.amdhsa_tg_split 0
		.amdhsa_exception_fp_ieee_invalid_op 0
		.amdhsa_exception_fp_denorm_src 0
		.amdhsa_exception_fp_ieee_div_zero 0
		.amdhsa_exception_fp_ieee_overflow 0
		.amdhsa_exception_fp_ieee_underflow 0
		.amdhsa_exception_fp_ieee_inexact 0
		.amdhsa_exception_int_div_zero 0
	.end_amdhsa_kernel
	.section	.text._ZL38rocblas_trsm_small_left_device_sharedBILi28ELi28ELb0E19rocblas_complex_numIdES1_PKS1_PS1_Ev13rocblas_fill_18rocblas_operation_17rocblas_diagonal_iiT3_T4_lilT5_lili,"axG",@progbits,_ZL38rocblas_trsm_small_left_device_sharedBILi28ELi28ELb0E19rocblas_complex_numIdES1_PKS1_PS1_Ev13rocblas_fill_18rocblas_operation_17rocblas_diagonal_iiT3_T4_lilT5_lili,comdat
.Lfunc_end229:
	.size	_ZL38rocblas_trsm_small_left_device_sharedBILi28ELi28ELb0E19rocblas_complex_numIdES1_PKS1_PS1_Ev13rocblas_fill_18rocblas_operation_17rocblas_diagonal_iiT3_T4_lilT5_lili, .Lfunc_end229-_ZL38rocblas_trsm_small_left_device_sharedBILi28ELi28ELb0E19rocblas_complex_numIdES1_PKS1_PS1_Ev13rocblas_fill_18rocblas_operation_17rocblas_diagonal_iiT3_T4_lilT5_lili
                                        ; -- End function
	.section	.AMDGPU.csdata,"",@progbits
; Kernel info:
; codeLenInByte = 4352
; NumSgprs: 47
; NumVgprs: 54
; NumAgprs: 0
; TotalNumVgprs: 54
; ScratchSize: 464
; MemoryBound: 0
; FloatMode: 240
; IeeeMode: 1
; LDSByteSize: 25088 bytes/workgroup (compile time only)
; SGPRBlocks: 5
; VGPRBlocks: 6
; NumSGPRsForWavesPerEU: 47
; NumVGPRsForWavesPerEU: 54
; AccumOffset: 56
; Occupancy: 1
; WaveLimiterHint : 0
; COMPUTE_PGM_RSRC2:SCRATCH_EN: 1
; COMPUTE_PGM_RSRC2:USER_SGPR: 8
; COMPUTE_PGM_RSRC2:TRAP_HANDLER: 0
; COMPUTE_PGM_RSRC2:TGID_X_EN: 1
; COMPUTE_PGM_RSRC2:TGID_Y_EN: 0
; COMPUTE_PGM_RSRC2:TGID_Z_EN: 1
; COMPUTE_PGM_RSRC2:TIDIG_COMP_CNT: 0
; COMPUTE_PGM_RSRC3_GFX90A:ACCUM_OFFSET: 13
; COMPUTE_PGM_RSRC3_GFX90A:TG_SPLIT: 0
	.section	.text._ZL30rocblas_trsm_small_left_deviceILi28ELi28ELb0E19rocblas_complex_numIdES1_PKS1_PS1_Ev13rocblas_fill_18rocblas_operation_17rocblas_diagonal_iiT3_T4_lilT5_lili,"axG",@progbits,_ZL30rocblas_trsm_small_left_deviceILi28ELi28ELb0E19rocblas_complex_numIdES1_PKS1_PS1_Ev13rocblas_fill_18rocblas_operation_17rocblas_diagonal_iiT3_T4_lilT5_lili,comdat
	.globl	_ZL30rocblas_trsm_small_left_deviceILi28ELi28ELb0E19rocblas_complex_numIdES1_PKS1_PS1_Ev13rocblas_fill_18rocblas_operation_17rocblas_diagonal_iiT3_T4_lilT5_lili ; -- Begin function _ZL30rocblas_trsm_small_left_deviceILi28ELi28ELb0E19rocblas_complex_numIdES1_PKS1_PS1_Ev13rocblas_fill_18rocblas_operation_17rocblas_diagonal_iiT3_T4_lilT5_lili
	.p2align	8
	.type	_ZL30rocblas_trsm_small_left_deviceILi28ELi28ELb0E19rocblas_complex_numIdES1_PKS1_PS1_Ev13rocblas_fill_18rocblas_operation_17rocblas_diagonal_iiT3_T4_lilT5_lili,@function
_ZL30rocblas_trsm_small_left_deviceILi28ELi28ELb0E19rocblas_complex_numIdES1_PKS1_PS1_Ev13rocblas_fill_18rocblas_operation_17rocblas_diagonal_iiT3_T4_lilT5_lili: ; @_ZL30rocblas_trsm_small_left_deviceILi28ELi28ELb0E19rocblas_complex_numIdES1_PKS1_PS1_Ev13rocblas_fill_18rocblas_operation_17rocblas_diagonal_iiT3_T4_lilT5_lili
; %bb.0:
	s_add_u32 s0, s0, s10
	s_load_dwordx4 s[24:27], s[4:5], 0x4
	s_load_dwordx8 s[12:19], s[4:5], 0x18
	s_load_dwordx4 s[20:23], s[4:5], 0x40
	s_load_dwordx2 s[10:11], s[4:5], 0x50
	s_load_dword s39, s[4:5], 0x70
	s_addc_u32 s1, s1, 0
	s_waitcnt lgkmcnt(0)
	s_min_i32 s38, s26, 28
	s_mov_b32 s40, 0
	s_add_i32 s33, s38, -1
	v_cmp_gt_i32_e32 vcc, s38, v0
	s_and_saveexec_b64 s[28:29], vcc
	s_cbranch_execz .LBB230_15
; %bb.1:
	s_load_dword s30, s[4:5], 0x38
	v_lshlrev_b32_e32 v1, 4, v0
	s_mul_i32 s26, s21, s9
	s_mul_hi_u32 s41, s20, s9
	s_mul_i32 s20, s20, s9
	s_waitcnt lgkmcnt(0)
	s_ashr_i32 s31, s30, 31
	s_cmpk_eq_i32 s24, 0x71
	s_cselect_b64 vcc, -1, 0
	s_cmp_lt_u32 s33, 3
	s_cbranch_scc1 .LBB230_4
; %bb.2:
	s_add_i32 s21, s41, s26
	s_and_b32 s40, s38, -4
	s_lshl_b64 s[6:7], s[20:21], 4
	s_lshl_b64 s[34:35], s[18:19], 4
	s_add_u32 s6, s6, s34
	s_addc_u32 s7, s7, s35
	s_add_u32 s6, s16, s6
	v_lshlrev_b32_e32 v2, 4, v0
	s_addc_u32 s7, s17, s7
	v_mov_b32_e32 v3, s7
	v_add_co_u32_e64 v2, s[6:7], s6, v2
	v_addc_co_u32_e64 v3, s[6:7], 0, v3, s[6:7]
	v_add_co_u32_e64 v2, s[6:7], 8, v2
	s_lshl_b64 s[34:35], s[30:31], 6
	s_lshl_b64 s[36:37], s[30:31], 4
	v_addc_co_u32_e64 v3, s[6:7], 0, v3, s[6:7]
	s_mov_b32 s21, 0
	v_mov_b32_e32 v4, s37
	v_mov_b32_e32 v5, s35
	;; [unrolled: 1-line block ×3, first 2 shown]
.LBB230_3:                              ; =>This Inner Loop Header: Depth=1
	v_add_co_u32_e64 v20, s[6:7], s36, v2
	v_addc_co_u32_e64 v21, s[6:7], v3, v4, s[6:7]
	v_add_co_u32_e64 v22, s[6:7], s36, v20
	global_load_dwordx4 v[8:11], v[2:3], off offset:-8
	v_addc_co_u32_e64 v23, s[6:7], v21, v4, s[6:7]
	global_load_dwordx4 v[12:15], v[20:21], off offset:-8
	global_load_dwordx4 v[16:19], v[22:23], off offset:-8
	v_add_co_u32_e64 v20, s[6:7], s36, v22
	v_addc_co_u32_e64 v21, s[6:7], v23, v4, s[6:7]
	global_load_dwordx4 v[20:23], v[20:21], off offset:-8
	s_add_i32 s21, s21, 4
	v_add_co_u32_e64 v2, s[6:7], s34, v2
	s_cmp_eq_u32 s40, s21
	v_addc_co_u32_e64 v3, s[6:7], v3, v5, s[6:7]
	s_waitcnt vmcnt(3)
	v_xor_b32_e32 v7, 0x80000000, v11
	v_cndmask_b32_e32 v11, v11, v7, vcc
	s_waitcnt vmcnt(2)
	v_xor_b32_e32 v7, 0x80000000, v15
	v_cndmask_b32_e32 v15, v15, v7, vcc
	;; [unrolled: 3-line block ×3, first 2 shown]
	ds_write_b128 v6, v[8:11]
	ds_write_b128 v6, v[12:15] offset:448
	s_waitcnt vmcnt(0)
	v_xor_b32_e32 v7, 0x80000000, v23
	v_cndmask_b32_e32 v23, v23, v7, vcc
	ds_write_b128 v6, v[16:19] offset:896
	ds_write_b128 v6, v[20:23] offset:1344
	v_add_u32_e32 v6, 0x700, v6
	s_cbranch_scc0 .LBB230_3
.LBB230_4:
	s_and_b32 s34, s38, 3
	s_cmp_eq_u32 s34, 0
	s_cbranch_scc1 .LBB230_7
; %bb.5:
	s_mul_i32 s6, s40, 0x1c0
	s_add_i32 s21, s41, s26
	v_lshl_add_u32 v4, v0, 4, s6
	s_lshl_b64 s[6:7], s[20:21], 4
	s_mul_i32 s20, s31, s40
	s_mul_hi_u32 s21, s30, s40
	s_add_i32 s21, s21, s20
	s_mul_i32 s20, s30, s40
	s_lshl_b64 s[20:21], s[20:21], 4
	s_add_u32 s20, s6, s20
	s_addc_u32 s21, s7, s21
	s_lshl_b64 s[6:7], s[18:19], 4
	s_add_u32 s6, s20, s6
	s_addc_u32 s7, s21, s7
	s_add_u32 s6, s16, s6
	s_addc_u32 s7, s17, s7
	v_mov_b32_e32 v2, s7
	v_add_co_u32_e64 v1, s[6:7], s6, v1
	v_addc_co_u32_e64 v3, s[6:7], 0, v2, s[6:7]
	v_add_co_u32_e64 v2, s[6:7], 8, v1
	s_lshl_b64 s[16:17], s[30:31], 4
	v_addc_co_u32_e64 v3, s[6:7], 0, v3, s[6:7]
	v_mov_b32_e32 v1, s17
.LBB230_6:                              ; =>This Inner Loop Header: Depth=1
	global_load_dwordx4 v[6:9], v[2:3], off offset:-8
	v_add_co_u32_e64 v2, s[6:7], s16, v2
	s_add_i32 s34, s34, -1
	v_addc_co_u32_e64 v3, s[6:7], v3, v1, s[6:7]
	s_cmp_lg_u32 s34, 0
	s_waitcnt vmcnt(0)
	v_xor_b32_e32 v5, 0x80000000, v9
	v_cndmask_b32_e32 v9, v9, v5, vcc
	ds_write_b128 v4, v[6:9]
	v_add_u32_e32 v4, 0x1c0, v4
	s_cbranch_scc1 .LBB230_6
.LBB230_7:
	v_mul_u32_u24_e32 v1, 29, v0
	s_cmpk_lg_i32 s25, 0x84
	v_lshlrev_b32_e32 v1, 4, v1
	s_cbranch_scc0 .LBB230_13
; %bb.8:
	ds_read_b128 v[2:5], v1
	s_waitcnt lgkmcnt(0)
	v_xor_b32_e32 v7, 0x80000000, v3
	v_cmp_gt_f64_e32 vcc, 0, v[2:3]
	v_xor_b32_e32 v8, 0x80000000, v5
	v_cndmask_b32_e32 v7, v3, v7, vcc
	v_cmp_gt_f64_e32 vcc, 0, v[4:5]
	v_mov_b32_e32 v6, v2
	v_cndmask_b32_e32 v9, v5, v8, vcc
	v_mov_b32_e32 v8, v4
	v_cmp_ngt_f64_e32 vcc, v[6:7], v[8:9]
                                        ; implicit-def: $vgpr8_vgpr9
	s_and_saveexec_b64 s[6:7], vcc
	s_xor_b64 s[6:7], exec, s[6:7]
	s_cbranch_execz .LBB230_10
; %bb.9:
	v_div_scale_f64 v[6:7], s[16:17], v[4:5], v[4:5], v[2:3]
	v_rcp_f64_e32 v[8:9], v[6:7]
	v_div_scale_f64 v[10:11], vcc, v[2:3], v[4:5], v[2:3]
	v_fma_f64 v[12:13], -v[6:7], v[8:9], 1.0
	v_fmac_f64_e32 v[8:9], v[8:9], v[12:13]
	v_fma_f64 v[12:13], -v[6:7], v[8:9], 1.0
	v_fmac_f64_e32 v[8:9], v[8:9], v[12:13]
	v_mul_f64 v[12:13], v[10:11], v[8:9]
	v_fma_f64 v[6:7], -v[6:7], v[12:13], v[10:11]
	v_div_fmas_f64 v[6:7], v[6:7], v[8:9], v[12:13]
	v_div_fixup_f64 v[8:9], v[6:7], v[4:5], v[2:3]
	v_fmac_f64_e32 v[4:5], v[2:3], v[8:9]
	v_div_scale_f64 v[2:3], s[16:17], v[4:5], v[4:5], 1.0
	v_rcp_f64_e32 v[6:7], v[2:3]
	v_fma_f64 v[10:11], -v[2:3], v[6:7], 1.0
	v_fmac_f64_e32 v[6:7], v[6:7], v[10:11]
	v_fma_f64 v[10:11], -v[2:3], v[6:7], 1.0
	v_fmac_f64_e32 v[6:7], v[6:7], v[10:11]
	v_div_scale_f64 v[10:11], vcc, 1.0, v[4:5], 1.0
	v_mul_f64 v[12:13], v[10:11], v[6:7]
	v_fma_f64 v[2:3], -v[2:3], v[12:13], v[10:11]
	s_nop 1
	v_div_fmas_f64 v[2:3], v[2:3], v[6:7], v[12:13]
	v_div_fixup_f64 v[2:3], v[2:3], v[4:5], 1.0
	v_add_f64 v[4:5], v[8:9], 0
	v_mul_f64 v[6:7], v[4:5], v[2:3]
	v_fma_f64 v[4:5], v[8:9], 0, -1.0
	v_mul_f64 v[8:9], v[4:5], v[2:3]
                                        ; implicit-def: $vgpr2_vgpr3
.LBB230_10:
	s_andn2_saveexec_b64 s[6:7], s[6:7]
	s_cbranch_execz .LBB230_12
; %bb.11:
	v_div_scale_f64 v[6:7], s[16:17], v[2:3], v[2:3], v[4:5]
	v_rcp_f64_e32 v[8:9], v[6:7]
	v_div_scale_f64 v[10:11], vcc, v[4:5], v[2:3], v[4:5]
	v_fma_f64 v[12:13], -v[6:7], v[8:9], 1.0
	v_fmac_f64_e32 v[8:9], v[8:9], v[12:13]
	v_fma_f64 v[12:13], -v[6:7], v[8:9], 1.0
	v_fmac_f64_e32 v[8:9], v[8:9], v[12:13]
	v_mul_f64 v[12:13], v[10:11], v[8:9]
	v_fma_f64 v[6:7], -v[6:7], v[12:13], v[10:11]
	v_div_fmas_f64 v[6:7], v[6:7], v[8:9], v[12:13]
	v_div_fixup_f64 v[8:9], v[6:7], v[2:3], v[4:5]
	v_fmac_f64_e32 v[2:3], v[4:5], v[8:9]
	v_div_scale_f64 v[4:5], s[16:17], v[2:3], v[2:3], 1.0
	v_rcp_f64_e32 v[6:7], v[4:5]
	v_fma_f64 v[10:11], -v[4:5], v[6:7], 1.0
	v_fmac_f64_e32 v[6:7], v[6:7], v[10:11]
	v_fma_f64 v[10:11], -v[4:5], v[6:7], 1.0
	v_fmac_f64_e32 v[6:7], v[6:7], v[10:11]
	v_div_scale_f64 v[10:11], vcc, 1.0, v[2:3], 1.0
	v_mul_f64 v[12:13], v[10:11], v[6:7]
	v_fma_f64 v[4:5], -v[4:5], v[12:13], v[10:11]
	s_nop 1
	v_div_fmas_f64 v[4:5], v[4:5], v[6:7], v[12:13]
	v_div_fixup_f64 v[2:3], v[4:5], v[2:3], 1.0
	v_fma_f64 v[4:5], v[8:9], 0, 1.0
	v_mul_f64 v[6:7], v[4:5], v[2:3]
	v_add_f64 v[4:5], -v[8:9], 0
	v_mul_f64 v[8:9], v[4:5], v[2:3]
.LBB230_12:
	s_or_b64 exec, exec, s[6:7]
	s_branch .LBB230_14
.LBB230_13:
	v_mov_b32_e32 v6, 0
	v_mov_b32_e32 v7, 0x3ff00000
	v_pk_mov_b32 v[8:9], 0, 0
.LBB230_14:
	ds_write_b128 v1, v[6:9]
.LBB230_15:
	s_or_b64 exec, exec, s[28:29]
	s_mul_i32 s6, s8, 0xffffffe4
	s_add_i32 s39, s39, -1
	s_add_i32 s6, s6, s27
	s_cmp_ge_u32 s8, s39
	s_cselect_b32 s6, s6, 28
	v_cmp_gt_i32_e32 vcc, s6, v0
	s_waitcnt lgkmcnt(0)
	; wave barrier
	s_waitcnt lgkmcnt(0)
	s_and_saveexec_b64 s[6:7], vcc
	s_cbranch_execz .LBB230_58
; %bb.16:
	s_load_dwordx2 s[6:7], s[4:5], 0x60
	s_load_dword s16, s[4:5], 0x58
	s_waitcnt lgkmcnt(0)
	s_mul_i32 s5, s9, s7
	s_mul_hi_u32 s7, s9, s6
	s_mul_i32 s4, s9, s6
	s_add_i32 s5, s7, s5
	s_lshl_b64 s[4:5], s[4:5], 4
	s_add_u32 s9, s22, s4
	s_addc_u32 s17, s23, s5
	s_lshl_b64 s[6:7], s[10:11], 4
	s_add_u32 s10, s9, s6
	v_mad_u64_u32 v[0:1], s[8:9], s8, 28, v[0:1]
	v_mad_i64_i32 v[0:1], s[8:9], s16, v0, 0
	s_addc_u32 s11, s17, s7
	v_lshlrev_b64 v[4:5], 4, v[0:1]
	v_mov_b32_e32 v0, s11
	v_add_co_u32_e32 v8, vcc, s10, v4
	v_addc_co_u32_e32 v9, vcc, v0, v5, vcc
	s_cmpk_eq_i32 s24, 0x6f
	s_mov_b64 s[8:9], -1
	s_cbranch_scc1 .LBB230_38
; %bb.17:
	s_add_u32 s8, s22, s6
	s_addc_u32 s9, s23, s7
	s_add_u32 s8, s8, s4
	s_addc_u32 s9, s9, s5
	v_mov_b32_e32 v0, s9
	v_add_co_u32_e32 v1, vcc, s8, v4
	v_addc_co_u32_e32 v0, vcc, v0, v5, vcc
	v_add_co_u32_e32 v10, vcc, 8, v1
	s_mov_b32 s9, 0
	v_addc_co_u32_e32 v11, vcc, 0, v0, vcc
	v_mov_b32_e32 v12, 0
	s_mov_b32 s10, s9
	s_mov_b32 s16, s9
	s_branch .LBB230_19
.LBB230_18:                             ;   in Loop: Header=BB230_19 Depth=1
	s_cmp_ge_i32 s16, s38
	s_cselect_b64 s[18:19], -1, 0
	s_add_i32 s10, s10, 1
	s_cmp_eq_u32 s10, 3
	s_cselect_b64 s[20:21], -1, 0
	s_or_b64 s[18:19], s[18:19], s[20:21]
	s_andn2_b64 vcc, exec, s[18:19]
	s_cbranch_vccz .LBB230_37
.LBB230_19:                             ; =>This Loop Header: Depth=1
                                        ;     Child Loop BB230_22 Depth 2
                                        ;       Child Loop BB230_23 Depth 3
                                        ;       Child Loop BB230_26 Depth 3
                                        ;         Child Loop BB230_27 Depth 4
                                        ;       Child Loop BB230_31 Depth 3
                                        ;         Child Loop BB230_33 Depth 4
	s_mov_b32 s11, s9
	s_lshl_b64 s[18:19], s[10:11], 2
	s_getpc_b64 s[20:21]
	s_add_u32 s20, s20, __const._ZL30rocblas_trsm_small_left_deviceILi28ELi28ELb0E19rocblas_complex_numIdES1_PKS1_PS1_Ev13rocblas_fill_18rocblas_operation_17rocblas_diagonal_iiT3_T4_lilT5_lili.step_sizes@rel32@lo+4
	s_addc_u32 s21, s21, __const._ZL30rocblas_trsm_small_left_deviceILi28ELi28ELb0E19rocblas_complex_numIdES1_PKS1_PS1_Ev13rocblas_fill_18rocblas_operation_17rocblas_diagonal_iiT3_T4_lilT5_lili.step_sizes@rel32@hi+12
	s_add_u32 s18, s18, s20
	s_addc_u32 s19, s19, s21
	s_load_dword s18, s[18:19], 0x0
	s_waitcnt lgkmcnt(0)
	s_add_i32 s11, s18, -1
	s_add_i32 s8, s11, s16
	s_cmp_ge_i32 s8, s38
	s_cbranch_scc1 .LBB230_18
; %bb.20:                               ;   in Loop: Header=BB230_19 Depth=1
	s_ashr_i32 s17, s16, 31
	s_lshl_b64 s[20:21], s[16:17], 4
	s_ashr_i32 s19, s18, 31
	v_mov_b32_e32 v0, s21
	v_add_co_u32_e32 v6, vcc, s20, v10
	s_lshl_b64 s[20:21], s[18:19], 4
	s_max_i32 s28, s18, 1
	v_addc_co_u32_e32 v7, vcc, v11, v0, vcc
	s_mul_i32 s17, s16, 0x1c0
	s_mul_i32 s19, s18, 0x1c0
	s_mul_i32 s29, s16, 0x1d0
	s_mul_i32 s30, s18, 0x1d0
	v_mov_b32_e32 v13, s21
	s_branch .LBB230_22
.LBB230_21:                             ;   in Loop: Header=BB230_22 Depth=2
	s_add_i32 s16, s16, s18
	s_add_i32 s8, s11, s16
	;; [unrolled: 1-line block ×4, first 2 shown]
	v_add_co_u32_e32 v6, vcc, s20, v6
	s_cmp_ge_i32 s8, s38
	v_addc_co_u32_e32 v7, vcc, v7, v13, vcc
	s_cbranch_scc1 .LBB230_18
.LBB230_22:                             ;   Parent Loop BB230_19 Depth=1
                                        ; =>  This Loop Header: Depth=2
                                        ;       Child Loop BB230_23 Depth 3
                                        ;       Child Loop BB230_26 Depth 3
                                        ;         Child Loop BB230_27 Depth 4
                                        ;       Child Loop BB230_31 Depth 3
                                        ;         Child Loop BB230_33 Depth 4
	v_mov_b32_e32 v2, 0
	v_pk_mov_b32 v[0:1], v[6:7], v[6:7] op_sel:[0,1]
	s_mov_b32 s8, s28
.LBB230_23:                             ;   Parent Loop BB230_19 Depth=1
                                        ;     Parent Loop BB230_22 Depth=2
                                        ; =>    This Inner Loop Header: Depth=3
	global_load_dwordx4 v[14:17], v[0:1], off offset:-8
	s_add_i32 s8, s8, -1
	v_add_co_u32_e32 v0, vcc, 16, v0
	v_addc_co_u32_e32 v1, vcc, 0, v1, vcc
	s_cmp_eq_u32 s8, 0
	s_waitcnt vmcnt(0)
	v_mul_f64 v[18:19], s[14:15], v[16:17]
	v_mul_f64 v[16:17], s[12:13], v[16:17]
	v_fma_f64 v[18:19], s[12:13], v[14:15], -v[18:19]
	v_fmac_f64_e32 v[16:17], s[14:15], v[14:15]
	buffer_store_dword v19, v2, s[0:3], 0 offen offset:4
	buffer_store_dword v18, v2, s[0:3], 0 offen
	buffer_store_dword v17, v2, s[0:3], 0 offen offset:12
	buffer_store_dword v16, v2, s[0:3], 0 offen offset:8
	v_add_u32_e32 v2, 16, v2
	s_cbranch_scc0 .LBB230_23
; %bb.24:                               ;   in Loop: Header=BB230_22 Depth=2
	s_cmp_lt_i32 s16, 1
	s_cbranch_scc1 .LBB230_29
; %bb.25:                               ;   in Loop: Header=BB230_22 Depth=2
	s_mov_b32 s8, 0
	s_mov_b32 s21, s17
.LBB230_26:                             ;   Parent Loop BB230_19 Depth=1
                                        ;     Parent Loop BB230_22 Depth=2
                                        ; =>    This Loop Header: Depth=3
                                        ;         Child Loop BB230_27 Depth 4
	s_lshl_b64 s[24:25], s[8:9], 4
	v_mov_b32_e32 v1, s25
	v_add_co_u32_e32 v0, vcc, s24, v8
	v_addc_co_u32_e32 v1, vcc, v9, v1, vcc
	global_load_dwordx4 v[0:3], v[0:1], off
	v_mov_b32_e32 v14, 0
	s_mov_b32 s24, s21
	s_mov_b32 s25, s28
.LBB230_27:                             ;   Parent Loop BB230_19 Depth=1
                                        ;     Parent Loop BB230_22 Depth=2
                                        ;       Parent Loop BB230_26 Depth=3
                                        ; =>      This Inner Loop Header: Depth=4
	buffer_load_dword v20, v14, s[0:3], 0 offen
	buffer_load_dword v21, v14, s[0:3], 0 offen offset:4
	buffer_load_dword v22, v14, s[0:3], 0 offen offset:8
	;; [unrolled: 1-line block ×3, first 2 shown]
	v_mov_b32_e32 v15, s24
	ds_read_b128 v[16:19], v15
	s_add_i32 s25, s25, -1
	s_addk_i32 s24, 0x1c0
	s_cmp_eq_u32 s25, 0
	s_waitcnt vmcnt(4) lgkmcnt(0)
	v_mul_f64 v[24:25], v[2:3], v[18:19]
	v_mul_f64 v[18:19], v[0:1], v[18:19]
	v_fma_f64 v[24:25], v[0:1], v[16:17], -v[24:25]
	v_fmac_f64_e32 v[18:19], v[2:3], v[16:17]
	s_waitcnt vmcnt(2)
	v_add_f64 v[16:17], v[20:21], -v[24:25]
	s_waitcnt vmcnt(0)
	v_add_f64 v[18:19], v[22:23], -v[18:19]
	buffer_store_dword v16, v14, s[0:3], 0 offen
	buffer_store_dword v17, v14, s[0:3], 0 offen offset:4
	buffer_store_dword v18, v14, s[0:3], 0 offen offset:8
	;; [unrolled: 1-line block ×3, first 2 shown]
	v_add_u32_e32 v14, 16, v14
	s_cbranch_scc0 .LBB230_27
; %bb.28:                               ;   in Loop: Header=BB230_26 Depth=3
	s_add_i32 s8, s8, 1
	s_add_i32 s21, s21, 16
	s_cmp_ge_i32 s8, s16
	s_cbranch_scc0 .LBB230_26
.LBB230_29:                             ;   in Loop: Header=BB230_22 Depth=2
	s_mov_b32 s8, 0
	s_mov_b32 s21, s29
	s_branch .LBB230_31
.LBB230_30:                             ;   in Loop: Header=BB230_31 Depth=3
	s_mul_i32 s25, s24, 0x1d0
	v_mov_b32_e32 v14, s25
	ds_read_b128 v[14:17], v14
	s_lshl_b32 s25, s8, 4
	v_add_u32_e32 v22, s25, v12
	s_ashr_i32 s25, s24, 31
	s_lshl_b64 s[24:25], s[24:25], 4
	s_waitcnt vmcnt(0) lgkmcnt(0)
	v_mul_f64 v[18:19], v[16:17], v[2:3]
	v_mul_f64 v[20:21], v[14:15], v[2:3]
	v_fma_f64 v[18:19], v[14:15], v[0:1], -v[18:19]
	v_fmac_f64_e32 v[20:21], v[16:17], v[0:1]
	v_mov_b32_e32 v1, s25
	v_add_co_u32_e32 v0, vcc, s24, v8
	s_add_i32 s8, s8, 1
	s_addk_i32 s21, 0x1c0
	v_addc_co_u32_e32 v1, vcc, v9, v1, vcc
	s_cmp_eq_u32 s8, s28
	buffer_store_dword v19, v22, s[0:3], 0 offen offset:4
	buffer_store_dword v18, v22, s[0:3], 0 offen
	buffer_store_dword v21, v22, s[0:3], 0 offen offset:12
	buffer_store_dword v20, v22, s[0:3], 0 offen offset:8
	global_store_dwordx4 v[0:1], v[18:21], off
	s_cbranch_scc1 .LBB230_21
.LBB230_31:                             ;   Parent Loop BB230_19 Depth=1
                                        ;     Parent Loop BB230_22 Depth=2
                                        ; =>    This Loop Header: Depth=3
                                        ;         Child Loop BB230_33 Depth 4
	s_cmp_lg_u32 s8, 0
	s_cbranch_scc0 .LBB230_35
; %bb.32:                               ;   in Loop: Header=BB230_31 Depth=3
	s_lshl_b32 s24, s8, 4
	v_add_u32_e32 v14, s24, v12
	buffer_load_dword v0, v14, s[0:3], 0 offen
	buffer_load_dword v1, v14, s[0:3], 0 offen offset:4
	buffer_load_dword v2, v14, s[0:3], 0 offen offset:8
	;; [unrolled: 1-line block ×3, first 2 shown]
	s_add_i32 s24, s8, s16
	v_mov_b32_e32 v15, 0
	s_mov_b32 s25, 0
	s_mov_b32 s26, s21
.LBB230_33:                             ;   Parent Loop BB230_19 Depth=1
                                        ;     Parent Loop BB230_22 Depth=2
                                        ;       Parent Loop BB230_31 Depth=3
                                        ; =>      This Inner Loop Header: Depth=4
	buffer_load_dword v20, v15, s[0:3], 0 offen offset:8
	buffer_load_dword v21, v15, s[0:3], 0 offen offset:12
	buffer_load_dword v22, v15, s[0:3], 0 offen
	buffer_load_dword v23, v15, s[0:3], 0 offen offset:4
	v_mov_b32_e32 v16, s26
	ds_read_b128 v[16:19], v16
	s_add_i32 s25, s25, 1
	s_add_i32 s26, s26, 16
	v_add_u32_e32 v15, 16, v15
	s_cmp_ge_u32 s25, s8
	s_waitcnt vmcnt(2) lgkmcnt(0)
	v_mul_f64 v[24:25], v[18:19], v[20:21]
	v_mul_f64 v[20:21], v[16:17], v[20:21]
	s_waitcnt vmcnt(0)
	v_fma_f64 v[16:17], v[16:17], v[22:23], -v[24:25]
	v_fmac_f64_e32 v[20:21], v[18:19], v[22:23]
	v_add_f64 v[0:1], v[0:1], -v[16:17]
	v_add_f64 v[2:3], v[2:3], -v[20:21]
	buffer_store_dword v0, v14, s[0:3], 0 offen
	buffer_store_dword v1, v14, s[0:3], 0 offen offset:4
	buffer_store_dword v2, v14, s[0:3], 0 offen offset:8
	;; [unrolled: 1-line block ×3, first 2 shown]
	s_cbranch_scc0 .LBB230_33
; %bb.34:                               ;   in Loop: Header=BB230_31 Depth=3
	s_branch .LBB230_30
.LBB230_35:                             ;   in Loop: Header=BB230_31 Depth=3
                                        ; implicit-def: $vgpr0_vgpr1
                                        ; implicit-def: $vgpr2_vgpr3
                                        ; implicit-def: $sgpr24
	s_cbranch_execz .LBB230_30
; %bb.36:                               ;   in Loop: Header=BB230_31 Depth=3
	buffer_load_dword v0, off, s[0:3], 0
	buffer_load_dword v1, off, s[0:3], 0 offset:4
	buffer_load_dword v2, off, s[0:3], 0 offset:8
	;; [unrolled: 1-line block ×3, first 2 shown]
	s_mov_b32 s24, s16
	s_branch .LBB230_30
.LBB230_37:
	s_mov_b64 s[8:9], 0
.LBB230_38:
	s_and_b64 vcc, exec, s[8:9]
	s_cbranch_vccz .LBB230_58
; %bb.39:
	s_add_u32 s6, s22, s6
	s_addc_u32 s7, s23, s7
	s_add_u32 s4, s6, s4
	s_addc_u32 s5, s7, s5
	v_mov_b32_e32 v0, s5
	v_add_co_u32_e32 v1, vcc, s4, v4
	v_addc_co_u32_e32 v0, vcc, v0, v5, vcc
	v_add_co_u32_e32 v4, vcc, 8, v1
	s_mul_i32 s18, s38, 0x1c0
	s_mov_b32 s5, 0
	v_addc_co_u32_e32 v5, vcc, 0, v0, vcc
	s_addk_i32 s18, 0xfe40
	v_mov_b32_e32 v6, 0
	s_mov_b32 s6, s33
	s_mov_b32 s4, s5
	s_branch .LBB230_41
.LBB230_40:                             ;   in Loop: Header=BB230_41 Depth=1
	s_cmp_lt_i32 s6, 0
	s_cselect_b64 s[8:9], -1, 0
	s_add_i32 s4, s4, 1
	s_cmp_eq_u32 s4, 3
	s_cselect_b64 s[10:11], -1, 0
	s_or_b64 s[8:9], s[8:9], s[10:11]
	s_and_b64 vcc, exec, s[8:9]
	s_cbranch_vccnz .LBB230_58
.LBB230_41:                             ; =>This Loop Header: Depth=1
                                        ;     Child Loop BB230_44 Depth 2
                                        ;       Child Loop BB230_45 Depth 3
                                        ;       Child Loop BB230_47 Depth 3
                                        ;         Child Loop BB230_48 Depth 4
                                        ;       Child Loop BB230_52 Depth 3
                                        ;         Child Loop BB230_54 Depth 4
	s_lshl_b64 s[8:9], s[4:5], 2
	s_getpc_b64 s[10:11]
	s_add_u32 s10, s10, __const._ZL30rocblas_trsm_small_left_deviceILi28ELi28ELb0E19rocblas_complex_numIdES1_PKS1_PS1_Ev13rocblas_fill_18rocblas_operation_17rocblas_diagonal_iiT3_T4_lilT5_lili.step_sizes@rel32@lo+4
	s_addc_u32 s11, s11, __const._ZL30rocblas_trsm_small_left_deviceILi28ELi28ELb0E19rocblas_complex_numIdES1_PKS1_PS1_Ev13rocblas_fill_18rocblas_operation_17rocblas_diagonal_iiT3_T4_lilT5_lili.step_sizes@rel32@hi+12
	s_add_u32 s8, s8, s10
	s_addc_u32 s9, s9, s11
	s_load_dword s19, s[8:9], 0x0
	s_waitcnt lgkmcnt(0)
	s_add_i32 s20, s19, -1
	s_cmp_lt_i32 s6, s20
	s_cbranch_scc1 .LBB230_40
; %bb.42:                               ;   in Loop: Header=BB230_41 Depth=1
	s_lshl_b32 s7, s6, 4
	s_add_i32 s22, s18, s7
	s_lshl_b32 s7, s19, 4
	s_max_i32 s21, s19, 1
	s_sub_i32 s23, 0, s7
	s_mul_i32 s24, s6, 0x1d0
	s_mul_i32 s25, s19, 0xfffffe30
	s_branch .LBB230_44
.LBB230_43:                             ;   in Loop: Header=BB230_44 Depth=2
	s_sub_i32 s6, s6, s19
	s_add_i32 s22, s22, s23
	s_add_i32 s24, s24, s25
	s_cmp_lt_i32 s6, s20
	s_cbranch_scc1 .LBB230_40
.LBB230_44:                             ;   Parent Loop BB230_41 Depth=1
                                        ; =>  This Loop Header: Depth=2
                                        ;       Child Loop BB230_45 Depth 3
                                        ;       Child Loop BB230_47 Depth 3
                                        ;         Child Loop BB230_48 Depth 4
                                        ;       Child Loop BB230_52 Depth 3
                                        ;         Child Loop BB230_54 Depth 4
	s_ashr_i32 s7, s6, 31
	s_lshl_b64 s[8:9], s[6:7], 4
	v_mov_b32_e32 v1, s9
	v_add_co_u32_e32 v0, vcc, s8, v4
	v_addc_co_u32_e32 v1, vcc, v5, v1, vcc
	v_mov_b32_e32 v2, 0
	s_mov_b32 s8, s21
.LBB230_45:                             ;   Parent Loop BB230_41 Depth=1
                                        ;     Parent Loop BB230_44 Depth=2
                                        ; =>    This Inner Loop Header: Depth=3
	global_load_dwordx4 v[10:13], v[0:1], off offset:-8
	s_add_i32 s8, s8, -1
	v_add_co_u32_e32 v0, vcc, -16, v0
	v_addc_co_u32_e32 v1, vcc, -1, v1, vcc
	s_cmp_eq_u32 s8, 0
	s_waitcnt vmcnt(0)
	v_mul_f64 v[14:15], s[14:15], v[12:13]
	v_mul_f64 v[12:13], s[12:13], v[12:13]
	v_fma_f64 v[14:15], s[12:13], v[10:11], -v[14:15]
	v_fmac_f64_e32 v[12:13], s[14:15], v[10:11]
	buffer_store_dword v15, v2, s[0:3], 0 offen offset:4
	buffer_store_dword v14, v2, s[0:3], 0 offen
	buffer_store_dword v13, v2, s[0:3], 0 offen offset:12
	buffer_store_dword v12, v2, s[0:3], 0 offen offset:8
	v_add_u32_e32 v2, 16, v2
	s_cbranch_scc0 .LBB230_45
; %bb.46:                               ;   in Loop: Header=BB230_44 Depth=2
	s_cmp_le_i32 s33, s6
	s_mov_b32 s10, s22
	s_mov_b32 s8, s33
	s_cbranch_scc1 .LBB230_50
.LBB230_47:                             ;   Parent Loop BB230_41 Depth=1
                                        ;     Parent Loop BB230_44 Depth=2
                                        ; =>    This Loop Header: Depth=3
                                        ;         Child Loop BB230_48 Depth 4
	s_ashr_i32 s9, s8, 31
	s_lshl_b64 s[16:17], s[8:9], 4
	v_mov_b32_e32 v1, s17
	v_add_co_u32_e32 v0, vcc, s16, v8
	v_addc_co_u32_e32 v1, vcc, v9, v1, vcc
	global_load_dwordx4 v[0:3], v[0:1], off
	v_mov_b32_e32 v7, 0
	s_mov_b32 s9, s21
	s_mov_b32 s11, s10
.LBB230_48:                             ;   Parent Loop BB230_41 Depth=1
                                        ;     Parent Loop BB230_44 Depth=2
                                        ;       Parent Loop BB230_47 Depth=3
                                        ; =>      This Inner Loop Header: Depth=4
	buffer_load_dword v14, v7, s[0:3], 0 offen
	buffer_load_dword v15, v7, s[0:3], 0 offen offset:4
	buffer_load_dword v16, v7, s[0:3], 0 offen offset:8
	;; [unrolled: 1-line block ×3, first 2 shown]
	v_mov_b32_e32 v10, s11
	ds_read_b128 v[10:13], v10
	s_add_i32 s11, s11, -16
	s_add_i32 s9, s9, -1
	s_cmp_eq_u32 s9, 0
	s_waitcnt vmcnt(4) lgkmcnt(0)
	v_mul_f64 v[18:19], v[2:3], v[12:13]
	v_mul_f64 v[12:13], v[0:1], v[12:13]
	v_fma_f64 v[18:19], v[0:1], v[10:11], -v[18:19]
	v_fmac_f64_e32 v[12:13], v[2:3], v[10:11]
	s_waitcnt vmcnt(2)
	v_add_f64 v[10:11], v[14:15], -v[18:19]
	s_waitcnt vmcnt(0)
	v_add_f64 v[12:13], v[16:17], -v[12:13]
	buffer_store_dword v10, v7, s[0:3], 0 offen
	buffer_store_dword v11, v7, s[0:3], 0 offen offset:4
	buffer_store_dword v12, v7, s[0:3], 0 offen offset:8
	;; [unrolled: 1-line block ×3, first 2 shown]
	v_add_u32_e32 v7, 16, v7
	s_cbranch_scc0 .LBB230_48
; %bb.49:                               ;   in Loop: Header=BB230_47 Depth=3
	s_add_i32 s8, s8, -1
	s_addk_i32 s10, 0xfe40
	s_cmp_le_i32 s8, s6
	s_cbranch_scc0 .LBB230_47
.LBB230_50:                             ;   in Loop: Header=BB230_44 Depth=2
	s_mov_b32 s26, 0
	s_mov_b32 s27, s24
	s_branch .LBB230_52
.LBB230_51:                             ;   in Loop: Header=BB230_52 Depth=3
	s_mulk_i32 s10, 0x1d0
	v_mov_b32_e32 v7, s10
	ds_read_b128 v[10:13], v7
	s_lshl_b64 s[8:9], s[8:9], 4
	s_lshl_b32 s10, s26, 4
	s_add_i32 s26, s26, 1
	s_add_i32 s27, s27, -16
	s_waitcnt vmcnt(0) lgkmcnt(0)
	v_mul_f64 v[14:15], v[12:13], v[2:3]
	v_mul_f64 v[16:17], v[10:11], v[2:3]
	v_fma_f64 v[14:15], v[10:11], v[0:1], -v[14:15]
	v_fmac_f64_e32 v[16:17], v[12:13], v[0:1]
	v_mov_b32_e32 v1, s9
	v_add_co_u32_e32 v0, vcc, s8, v8
	v_add_u32_e32 v7, s10, v6
	v_addc_co_u32_e32 v1, vcc, v9, v1, vcc
	s_cmp_eq_u32 s26, s21
	buffer_store_dword v15, v7, s[0:3], 0 offen offset:4
	buffer_store_dword v14, v7, s[0:3], 0 offen
	buffer_store_dword v17, v7, s[0:3], 0 offen offset:12
	buffer_store_dword v16, v7, s[0:3], 0 offen offset:8
	global_store_dwordx4 v[0:1], v[14:17], off
	s_cbranch_scc1 .LBB230_43
.LBB230_52:                             ;   Parent Loop BB230_41 Depth=1
                                        ;     Parent Loop BB230_44 Depth=2
                                        ; =>    This Loop Header: Depth=3
                                        ;         Child Loop BB230_54 Depth 4
	s_cmp_lg_u32 s26, 0
	s_cbranch_scc0 .LBB230_56
; %bb.53:                               ;   in Loop: Header=BB230_52 Depth=3
	s_lshl_b32 s8, s26, 4
	v_add_u32_e32 v7, s8, v6
	buffer_load_dword v0, v7, s[0:3], 0 offen
	buffer_load_dword v1, v7, s[0:3], 0 offen offset:4
	buffer_load_dword v2, v7, s[0:3], 0 offen offset:8
	;; [unrolled: 1-line block ×3, first 2 shown]
	v_mov_b32_e32 v10, 0
	s_mov_b32 s8, 0
	s_mov_b32 s9, s27
.LBB230_54:                             ;   Parent Loop BB230_41 Depth=1
                                        ;     Parent Loop BB230_44 Depth=2
                                        ;       Parent Loop BB230_52 Depth=3
                                        ; =>      This Inner Loop Header: Depth=4
	buffer_load_dword v16, v10, s[0:3], 0 offen offset:8
	buffer_load_dword v17, v10, s[0:3], 0 offen offset:12
	buffer_load_dword v18, v10, s[0:3], 0 offen
	buffer_load_dword v19, v10, s[0:3], 0 offen offset:4
	v_mov_b32_e32 v11, s9
	ds_read_b128 v[12:15], v11
	s_add_i32 s8, s8, 1
	s_addk_i32 s9, 0xfe40
	v_add_u32_e32 v10, 16, v10
	s_cmp_ge_u32 s8, s26
	s_waitcnt vmcnt(2) lgkmcnt(0)
	v_mul_f64 v[20:21], v[14:15], v[16:17]
	v_mul_f64 v[16:17], v[12:13], v[16:17]
	s_waitcnt vmcnt(0)
	v_fma_f64 v[12:13], v[12:13], v[18:19], -v[20:21]
	v_fmac_f64_e32 v[16:17], v[14:15], v[18:19]
	v_add_f64 v[0:1], v[0:1], -v[12:13]
	v_add_f64 v[2:3], v[2:3], -v[16:17]
	buffer_store_dword v0, v7, s[0:3], 0 offen
	buffer_store_dword v1, v7, s[0:3], 0 offen offset:4
	buffer_store_dword v2, v7, s[0:3], 0 offen offset:8
	;; [unrolled: 1-line block ×3, first 2 shown]
	s_cbranch_scc0 .LBB230_54
; %bb.55:                               ;   in Loop: Header=BB230_52 Depth=3
	s_sub_i32 s10, s6, s26
	s_ashr_i32 s11, s10, 31
	s_mov_b64 s[8:9], s[10:11]
	s_branch .LBB230_51
.LBB230_56:                             ;   in Loop: Header=BB230_52 Depth=3
                                        ; implicit-def: $vgpr0_vgpr1
                                        ; implicit-def: $vgpr2_vgpr3
                                        ; implicit-def: $sgpr10
                                        ; implicit-def: $sgpr8_sgpr9
	s_cbranch_execz .LBB230_51
; %bb.57:                               ;   in Loop: Header=BB230_52 Depth=3
	buffer_load_dword v0, off, s[0:3], 0
	buffer_load_dword v1, off, s[0:3], 0 offset:4
	buffer_load_dword v2, off, s[0:3], 0 offset:8
	;; [unrolled: 1-line block ×3, first 2 shown]
	s_mov_b64 s[8:9], s[6:7]
	s_mov_b32 s10, s6
	s_branch .LBB230_51
.LBB230_58:
	s_endpgm
	.section	.rodata,"a",@progbits
	.p2align	6, 0x0
	.amdhsa_kernel _ZL30rocblas_trsm_small_left_deviceILi28ELi28ELb0E19rocblas_complex_numIdES1_PKS1_PS1_Ev13rocblas_fill_18rocblas_operation_17rocblas_diagonal_iiT3_T4_lilT5_lili
		.amdhsa_group_segment_fixed_size 12544
		.amdhsa_private_segment_fixed_size 464
		.amdhsa_kernarg_size 368
		.amdhsa_user_sgpr_count 8
		.amdhsa_user_sgpr_private_segment_buffer 1
		.amdhsa_user_sgpr_dispatch_ptr 0
		.amdhsa_user_sgpr_queue_ptr 0
		.amdhsa_user_sgpr_kernarg_segment_ptr 1
		.amdhsa_user_sgpr_dispatch_id 0
		.amdhsa_user_sgpr_flat_scratch_init 1
		.amdhsa_user_sgpr_kernarg_preload_length 0
		.amdhsa_user_sgpr_kernarg_preload_offset 0
		.amdhsa_user_sgpr_private_segment_size 0
		.amdhsa_uses_dynamic_stack 0
		.amdhsa_system_sgpr_private_segment_wavefront_offset 1
		.amdhsa_system_sgpr_workgroup_id_x 1
		.amdhsa_system_sgpr_workgroup_id_y 0
		.amdhsa_system_sgpr_workgroup_id_z 1
		.amdhsa_system_sgpr_workgroup_info 0
		.amdhsa_system_vgpr_workitem_id 0
		.amdhsa_next_free_vgpr 26
		.amdhsa_next_free_sgpr 42
		.amdhsa_accum_offset 28
		.amdhsa_reserve_vcc 1
		.amdhsa_reserve_flat_scratch 0
		.amdhsa_float_round_mode_32 0
		.amdhsa_float_round_mode_16_64 0
		.amdhsa_float_denorm_mode_32 3
		.amdhsa_float_denorm_mode_16_64 3
		.amdhsa_dx10_clamp 1
		.amdhsa_ieee_mode 1
		.amdhsa_fp16_overflow 0
		.amdhsa_tg_split 0
		.amdhsa_exception_fp_ieee_invalid_op 0
		.amdhsa_exception_fp_denorm_src 0
		.amdhsa_exception_fp_ieee_div_zero 0
		.amdhsa_exception_fp_ieee_overflow 0
		.amdhsa_exception_fp_ieee_underflow 0
		.amdhsa_exception_fp_ieee_inexact 0
		.amdhsa_exception_int_div_zero 0
	.end_amdhsa_kernel
	.section	.text._ZL30rocblas_trsm_small_left_deviceILi28ELi28ELb0E19rocblas_complex_numIdES1_PKS1_PS1_Ev13rocblas_fill_18rocblas_operation_17rocblas_diagonal_iiT3_T4_lilT5_lili,"axG",@progbits,_ZL30rocblas_trsm_small_left_deviceILi28ELi28ELb0E19rocblas_complex_numIdES1_PKS1_PS1_Ev13rocblas_fill_18rocblas_operation_17rocblas_diagonal_iiT3_T4_lilT5_lili,comdat
.Lfunc_end230:
	.size	_ZL30rocblas_trsm_small_left_deviceILi28ELi28ELb0E19rocblas_complex_numIdES1_PKS1_PS1_Ev13rocblas_fill_18rocblas_operation_17rocblas_diagonal_iiT3_T4_lilT5_lili, .Lfunc_end230-_ZL30rocblas_trsm_small_left_deviceILi28ELi28ELb0E19rocblas_complex_numIdES1_PKS1_PS1_Ev13rocblas_fill_18rocblas_operation_17rocblas_diagonal_iiT3_T4_lilT5_lili
                                        ; -- End function
	.section	.AMDGPU.csdata,"",@progbits
; Kernel info:
; codeLenInByte = 3284
; NumSgprs: 46
; NumVgprs: 26
; NumAgprs: 0
; TotalNumVgprs: 26
; ScratchSize: 464
; MemoryBound: 0
; FloatMode: 240
; IeeeMode: 1
; LDSByteSize: 12544 bytes/workgroup (compile time only)
; SGPRBlocks: 5
; VGPRBlocks: 3
; NumSGPRsForWavesPerEU: 46
; NumVGPRsForWavesPerEU: 26
; AccumOffset: 28
; Occupancy: 2
; WaveLimiterHint : 0
; COMPUTE_PGM_RSRC2:SCRATCH_EN: 1
; COMPUTE_PGM_RSRC2:USER_SGPR: 8
; COMPUTE_PGM_RSRC2:TRAP_HANDLER: 0
; COMPUTE_PGM_RSRC2:TGID_X_EN: 1
; COMPUTE_PGM_RSRC2:TGID_Y_EN: 0
; COMPUTE_PGM_RSRC2:TGID_Z_EN: 1
; COMPUTE_PGM_RSRC2:TIDIG_COMP_CNT: 0
; COMPUTE_PGM_RSRC3_GFX90A:ACCUM_OFFSET: 6
; COMPUTE_PGM_RSRC3_GFX90A:TG_SPLIT: 0
	.section	.text._ZL38rocblas_trsm_small_left_device_sharedBILi28ELi28ELb1E19rocblas_complex_numIdES1_PKS1_PS1_Ev13rocblas_fill_18rocblas_operation_17rocblas_diagonal_iiT3_T4_lilT5_lili,"axG",@progbits,_ZL38rocblas_trsm_small_left_device_sharedBILi28ELi28ELb1E19rocblas_complex_numIdES1_PKS1_PS1_Ev13rocblas_fill_18rocblas_operation_17rocblas_diagonal_iiT3_T4_lilT5_lili,comdat
	.globl	_ZL38rocblas_trsm_small_left_device_sharedBILi28ELi28ELb1E19rocblas_complex_numIdES1_PKS1_PS1_Ev13rocblas_fill_18rocblas_operation_17rocblas_diagonal_iiT3_T4_lilT5_lili ; -- Begin function _ZL38rocblas_trsm_small_left_device_sharedBILi28ELi28ELb1E19rocblas_complex_numIdES1_PKS1_PS1_Ev13rocblas_fill_18rocblas_operation_17rocblas_diagonal_iiT3_T4_lilT5_lili
	.p2align	8
	.type	_ZL38rocblas_trsm_small_left_device_sharedBILi28ELi28ELb1E19rocblas_complex_numIdES1_PKS1_PS1_Ev13rocblas_fill_18rocblas_operation_17rocblas_diagonal_iiT3_T4_lilT5_lili,@function
_ZL38rocblas_trsm_small_left_device_sharedBILi28ELi28ELb1E19rocblas_complex_numIdES1_PKS1_PS1_Ev13rocblas_fill_18rocblas_operation_17rocblas_diagonal_iiT3_T4_lilT5_lili: ; @_ZL38rocblas_trsm_small_left_device_sharedBILi28ELi28ELb1E19rocblas_complex_numIdES1_PKS1_PS1_Ev13rocblas_fill_18rocblas_operation_17rocblas_diagonal_iiT3_T4_lilT5_lili
; %bb.0:
	s_add_u32 s0, s0, s10
	s_load_dwordx4 s[24:27], s[4:5], 0x4
	s_load_dwordx8 s[12:19], s[4:5], 0x18
	s_load_dwordx4 s[20:23], s[4:5], 0x40
	s_load_dwordx2 s[10:11], s[4:5], 0x50
	s_load_dword s39, s[4:5], 0x70
	s_addc_u32 s1, s1, 0
	s_waitcnt lgkmcnt(0)
	s_min_i32 s33, s26, 28
	s_mov_b32 s40, 0
	s_add_i32 s38, s33, -1
	v_cmp_gt_i32_e32 vcc, s33, v0
	s_and_saveexec_b64 s[28:29], vcc
	s_cbranch_execz .LBB231_15
; %bb.1:
	s_load_dword s30, s[4:5], 0x38
	s_mul_i32 s41, s21, s9
	s_mul_hi_u32 s42, s20, s9
	s_mul_i32 s20, s20, s9
	s_waitcnt lgkmcnt(0)
	s_ashr_i32 s31, s30, 31
	s_cmpk_eq_i32 s24, 0x71
	s_cselect_b64 vcc, -1, 0
	s_cmp_lt_u32 s38, 3
	s_cbranch_scc1 .LBB231_4
; %bb.2:
	s_add_i32 s21, s42, s41
	s_and_b32 s40, s33, -4
	s_lshl_b64 s[6:7], s[20:21], 4
	s_lshl_b64 s[34:35], s[18:19], 4
	s_add_u32 s6, s6, s34
	s_addc_u32 s7, s7, s35
	s_add_u32 s6, s16, s6
	v_lshlrev_b32_e32 v2, 4, v0
	s_addc_u32 s7, s17, s7
	v_mov_b32_e32 v3, s7
	v_add_co_u32_e64 v2, s[6:7], s6, v2
	v_addc_co_u32_e64 v3, s[6:7], 0, v3, s[6:7]
	v_add_co_u32_e64 v2, s[6:7], 8, v2
	s_lshl_b64 s[34:35], s[30:31], 6
	s_lshl_b64 s[36:37], s[30:31], 4
	v_lshlrev_b32_e32 v1, 4, v0
	v_addc_co_u32_e64 v3, s[6:7], 0, v3, s[6:7]
	s_mov_b32 s21, 0
	v_mov_b32_e32 v4, s37
	v_mov_b32_e32 v5, s35
.LBB231_3:                              ; =>This Inner Loop Header: Depth=1
	v_add_co_u32_e64 v18, s[6:7], s36, v2
	v_addc_co_u32_e64 v19, s[6:7], v3, v4, s[6:7]
	v_add_co_u32_e64 v20, s[6:7], s36, v18
	global_load_dwordx4 v[6:9], v[2:3], off offset:-8
	v_addc_co_u32_e64 v21, s[6:7], v19, v4, s[6:7]
	global_load_dwordx4 v[10:13], v[18:19], off offset:-8
	global_load_dwordx4 v[14:17], v[20:21], off offset:-8
	v_add_co_u32_e64 v18, s[6:7], s36, v20
	v_addc_co_u32_e64 v19, s[6:7], v21, v4, s[6:7]
	global_load_dwordx4 v[18:21], v[18:19], off offset:-8
	s_add_i32 s21, s21, 4
	v_add_co_u32_e64 v2, s[6:7], s34, v2
	s_cmp_eq_u32 s40, s21
	v_addc_co_u32_e64 v3, s[6:7], v3, v5, s[6:7]
	s_waitcnt vmcnt(3)
	v_xor_b32_e32 v22, 0x80000000, v9
	v_cndmask_b32_e32 v9, v9, v22, vcc
	ds_write_b128 v1, v[6:9]
	s_waitcnt vmcnt(1)
	v_xor_b32_e32 v6, 0x80000000, v17
	v_xor_b32_e32 v22, 0x80000000, v13
	v_cndmask_b32_e32 v17, v17, v6, vcc
	v_cndmask_b32_e32 v13, v13, v22, vcc
	ds_write_b128 v1, v[10:13] offset:448
	s_waitcnt vmcnt(0)
	v_xor_b32_e32 v6, 0x80000000, v21
	v_cndmask_b32_e32 v21, v21, v6, vcc
	ds_write_b128 v1, v[14:17] offset:896
	ds_write_b128 v1, v[18:21] offset:1344
	v_add_u32_e32 v1, 0x700, v1
	s_cbranch_scc0 .LBB231_3
.LBB231_4:
	s_and_b32 s34, s33, 3
	s_cmp_eq_u32 s34, 0
	s_cbranch_scc1 .LBB231_7
; %bb.5:
	s_mul_i32 s6, s40, 0x1c0
	s_add_i32 s21, s42, s41
	v_lshl_add_u32 v1, v0, 4, s6
	s_lshl_b64 s[6:7], s[20:21], 4
	s_mul_i32 s20, s31, s40
	s_mul_hi_u32 s21, s30, s40
	s_add_i32 s21, s21, s20
	s_mul_i32 s20, s30, s40
	s_lshl_b64 s[20:21], s[20:21], 4
	s_add_u32 s20, s6, s20
	s_addc_u32 s21, s7, s21
	s_lshl_b64 s[6:7], s[18:19], 4
	s_add_u32 s6, s20, s6
	s_addc_u32 s7, s21, s7
	s_add_u32 s6, s16, s6
	v_lshlrev_b32_e32 v2, 4, v0
	s_addc_u32 s7, s17, s7
	v_mov_b32_e32 v3, s7
	v_add_co_u32_e64 v2, s[6:7], s6, v2
	v_addc_co_u32_e64 v3, s[6:7], 0, v3, s[6:7]
	v_add_co_u32_e64 v2, s[6:7], 8, v2
	s_lshl_b64 s[16:17], s[30:31], 4
	v_addc_co_u32_e64 v3, s[6:7], 0, v3, s[6:7]
	v_mov_b32_e32 v4, s17
.LBB231_6:                              ; =>This Inner Loop Header: Depth=1
	global_load_dwordx4 v[6:9], v[2:3], off offset:-8
	v_add_co_u32_e64 v2, s[6:7], s16, v2
	s_add_i32 s34, s34, -1
	v_addc_co_u32_e64 v3, s[6:7], v3, v4, s[6:7]
	s_cmp_lg_u32 s34, 0
	s_waitcnt vmcnt(0)
	v_xor_b32_e32 v5, 0x80000000, v9
	v_cndmask_b32_e32 v9, v9, v5, vcc
	ds_write_b128 v1, v[6:9]
	v_add_u32_e32 v1, 0x1c0, v1
	s_cbranch_scc1 .LBB231_6
.LBB231_7:
	v_mul_u32_u24_e32 v1, 29, v0
	s_cmpk_lg_i32 s25, 0x84
	v_lshlrev_b32_e32 v1, 4, v1
	s_cbranch_scc0 .LBB231_13
; %bb.8:
	ds_read_b128 v[2:5], v1
	s_waitcnt lgkmcnt(0)
	v_xor_b32_e32 v7, 0x80000000, v3
	v_cmp_gt_f64_e32 vcc, 0, v[2:3]
	v_xor_b32_e32 v8, 0x80000000, v5
	v_cndmask_b32_e32 v7, v3, v7, vcc
	v_cmp_gt_f64_e32 vcc, 0, v[4:5]
	v_mov_b32_e32 v6, v2
	v_cndmask_b32_e32 v9, v5, v8, vcc
	v_mov_b32_e32 v8, v4
	v_cmp_ngt_f64_e32 vcc, v[6:7], v[8:9]
                                        ; implicit-def: $vgpr8_vgpr9
	s_and_saveexec_b64 s[6:7], vcc
	s_xor_b64 s[6:7], exec, s[6:7]
	s_cbranch_execz .LBB231_10
; %bb.9:
	v_div_scale_f64 v[6:7], s[16:17], v[4:5], v[4:5], v[2:3]
	v_rcp_f64_e32 v[8:9], v[6:7]
	v_div_scale_f64 v[10:11], vcc, v[2:3], v[4:5], v[2:3]
	v_fma_f64 v[12:13], -v[6:7], v[8:9], 1.0
	v_fmac_f64_e32 v[8:9], v[8:9], v[12:13]
	v_fma_f64 v[12:13], -v[6:7], v[8:9], 1.0
	v_fmac_f64_e32 v[8:9], v[8:9], v[12:13]
	v_mul_f64 v[12:13], v[10:11], v[8:9]
	v_fma_f64 v[6:7], -v[6:7], v[12:13], v[10:11]
	v_div_fmas_f64 v[6:7], v[6:7], v[8:9], v[12:13]
	v_div_fixup_f64 v[8:9], v[6:7], v[4:5], v[2:3]
	v_fmac_f64_e32 v[4:5], v[2:3], v[8:9]
	v_div_scale_f64 v[2:3], s[16:17], v[4:5], v[4:5], 1.0
	v_rcp_f64_e32 v[6:7], v[2:3]
	v_fma_f64 v[10:11], -v[2:3], v[6:7], 1.0
	v_fmac_f64_e32 v[6:7], v[6:7], v[10:11]
	v_fma_f64 v[10:11], -v[2:3], v[6:7], 1.0
	v_fmac_f64_e32 v[6:7], v[6:7], v[10:11]
	v_div_scale_f64 v[10:11], vcc, 1.0, v[4:5], 1.0
	v_mul_f64 v[12:13], v[10:11], v[6:7]
	v_fma_f64 v[2:3], -v[2:3], v[12:13], v[10:11]
	s_nop 1
	v_div_fmas_f64 v[2:3], v[2:3], v[6:7], v[12:13]
	v_div_fixup_f64 v[2:3], v[2:3], v[4:5], 1.0
	v_add_f64 v[4:5], v[8:9], 0
	v_mul_f64 v[6:7], v[4:5], v[2:3]
	v_fma_f64 v[4:5], v[8:9], 0, -1.0
	v_mul_f64 v[8:9], v[4:5], v[2:3]
                                        ; implicit-def: $vgpr2_vgpr3
.LBB231_10:
	s_andn2_saveexec_b64 s[6:7], s[6:7]
	s_cbranch_execz .LBB231_12
; %bb.11:
	v_div_scale_f64 v[6:7], s[16:17], v[2:3], v[2:3], v[4:5]
	v_rcp_f64_e32 v[8:9], v[6:7]
	v_div_scale_f64 v[10:11], vcc, v[4:5], v[2:3], v[4:5]
	v_fma_f64 v[12:13], -v[6:7], v[8:9], 1.0
	v_fmac_f64_e32 v[8:9], v[8:9], v[12:13]
	v_fma_f64 v[12:13], -v[6:7], v[8:9], 1.0
	v_fmac_f64_e32 v[8:9], v[8:9], v[12:13]
	v_mul_f64 v[12:13], v[10:11], v[8:9]
	v_fma_f64 v[6:7], -v[6:7], v[12:13], v[10:11]
	v_div_fmas_f64 v[6:7], v[6:7], v[8:9], v[12:13]
	v_div_fixup_f64 v[8:9], v[6:7], v[2:3], v[4:5]
	v_fmac_f64_e32 v[2:3], v[4:5], v[8:9]
	v_div_scale_f64 v[4:5], s[16:17], v[2:3], v[2:3], 1.0
	v_rcp_f64_e32 v[6:7], v[4:5]
	v_fma_f64 v[10:11], -v[4:5], v[6:7], 1.0
	v_fmac_f64_e32 v[6:7], v[6:7], v[10:11]
	v_fma_f64 v[10:11], -v[4:5], v[6:7], 1.0
	v_fmac_f64_e32 v[6:7], v[6:7], v[10:11]
	v_div_scale_f64 v[10:11], vcc, 1.0, v[2:3], 1.0
	v_mul_f64 v[12:13], v[10:11], v[6:7]
	v_fma_f64 v[4:5], -v[4:5], v[12:13], v[10:11]
	s_nop 1
	v_div_fmas_f64 v[4:5], v[4:5], v[6:7], v[12:13]
	v_div_fixup_f64 v[2:3], v[4:5], v[2:3], 1.0
	v_fma_f64 v[4:5], v[8:9], 0, 1.0
	v_mul_f64 v[6:7], v[4:5], v[2:3]
	v_add_f64 v[4:5], -v[8:9], 0
	v_mul_f64 v[8:9], v[4:5], v[2:3]
.LBB231_12:
	s_or_b64 exec, exec, s[6:7]
	s_branch .LBB231_14
.LBB231_13:
	v_mov_b32_e32 v6, 0
	v_mov_b32_e32 v7, 0x3ff00000
	v_pk_mov_b32 v[8:9], 0, 0
.LBB231_14:
	ds_write_b128 v1, v[6:9]
.LBB231_15:
	s_or_b64 exec, exec, s[28:29]
	s_load_dword s25, s[4:5], 0x58
	s_load_dwordx2 s[6:7], s[4:5], 0x60
	s_waitcnt lgkmcnt(0)
	s_ashr_i32 s28, s25, 31
	s_mul_i32 s5, s9, s7
	s_mul_hi_u32 s7, s9, s6
	s_mul_i32 s4, s9, s6
	s_add_i32 s5, s7, s5
	s_lshl_b64 s[4:5], s[4:5], 4
	s_add_u32 s9, s22, s4
	s_addc_u32 s16, s23, s5
	s_lshl_b64 s[6:7], s[10:11], 4
	s_add_u32 s17, s9, s6
	s_mul_i32 s9, s8, 0xffffffe4
	s_addc_u32 s16, s16, s7
	s_add_i32 s39, s39, -1
	s_add_i32 s9, s9, s27
	s_cmp_ge_u32 s8, s39
	s_mul_i32 s8, s8, 28
	s_mul_hi_i32 s11, s25, s8
	s_mul_i32 s10, s25, s8
	s_cselect_b32 s18, s9, 28
	s_ashr_i32 s9, s8, 31
	s_lshl_b64 s[10:11], s[10:11], 4
	s_add_u32 s27, s17, s10
	s_addc_u32 s29, s16, s11
	s_cmp_gt_i32 s26, 0
	v_cmp_gt_i32_e32 vcc, s18, v0
	s_cselect_b64 s[10:11], -1, 0
	s_mov_b32 s18, 0
	s_and_b64 s[10:11], vcc, s[10:11]
	s_and_saveexec_b64 s[16:17], s[10:11]
	s_cbranch_execz .LBB231_22
; %bb.16:
	s_cmp_lt_i32 s26, 8
	s_cbranch_scc1 .LBB231_19
; %bb.17:
	v_mad_i64_i32 v[2:3], s[18:19], s25, v0, 0
	v_lshlrev_b64 v[2:3], 4, v[2:3]
	v_mov_b32_e32 v4, s29
	v_add_co_u32_e32 v1, vcc, s27, v2
	v_addc_co_u32_e32 v2, vcc, v4, v3, vcc
	v_mov_b32_e32 v3, 0x3100
	s_lshl_b32 s18, s33, 4
	v_lshl_add_u32 v3, v0, 4, v3
	s_and_b32 s19, s18, 0x180
	s_mov_b32 s18, 0
	s_mov_b64 s[20:21], 0
.LBB231_18:                             ; =>This Inner Loop Header: Depth=1
	v_mov_b32_e32 v4, s21
	v_add_co_u32_e32 v36, vcc, s20, v1
	v_addc_co_u32_e32 v37, vcc, v2, v4, vcc
	global_load_dwordx4 v[4:7], v[36:37], off
	global_load_dwordx4 v[8:11], v[36:37], off offset:16
	global_load_dwordx4 v[12:15], v[36:37], off offset:32
	;; [unrolled: 1-line block ×7, first 2 shown]
	s_add_i32 s18, s18, 8
	s_add_u32 s20, s20, 0x80
	s_addc_u32 s21, s21, 0
	s_cmp_lg_u32 s19, s20
	s_waitcnt vmcnt(7)
	v_mul_f64 v[38:39], s[14:15], v[6:7]
	v_mul_f64 v[36:37], s[12:13], v[6:7]
	s_waitcnt vmcnt(6)
	v_mul_f64 v[40:41], s[14:15], v[10:11]
	v_mul_f64 v[6:7], s[12:13], v[10:11]
	;; [unrolled: 3-line block ×8, first 2 shown]
	v_fma_f64 v[34:35], s[12:13], v[4:5], -v[38:39]
	v_fmac_f64_e32 v[36:37], s[14:15], v[4:5]
	v_fma_f64 v[4:5], s[12:13], v[8:9], -v[40:41]
	v_fmac_f64_e32 v[6:7], s[14:15], v[8:9]
	;; [unrolled: 2-line block ×8, first 2 shown]
	ds_write_b128 v3, v[34:37]
	ds_write_b128 v3, v[4:7] offset:448
	ds_write_b128 v3, v[8:11] offset:896
	;; [unrolled: 1-line block ×7, first 2 shown]
	v_add_u32_e32 v3, 0xe00, v3
	s_cbranch_scc1 .LBB231_18
.LBB231_19:
	s_and_b32 s20, s33, 7
	s_cmp_eq_u32 s20, 0
	s_mov_b32 s19, 0
	s_cbranch_scc1 .LBB231_22
; %bb.20:
	s_mul_i32 s21, s18, 0x1c0
	s_lshl_b64 s[30:31], s[8:9], 4
	s_lshl_b64 s[18:19], s[18:19], 4
	s_add_u32 s18, s22, s18
	s_addc_u32 s19, s23, s19
	s_add_u32 s18, s18, s6
	s_addc_u32 s19, s19, s7
	v_lshlrev_b32_e32 v2, 4, v0
	s_add_u32 s18, s18, s4
	v_mov_b32_e32 v3, s31
	v_add_co_u32_e32 v4, vcc, s30, v2
	s_addc_u32 s19, s19, s5
	v_addc_co_u32_e32 v5, vcc, 0, v3, vcc
	v_pk_mov_b32 v[2:3], s[18:19], s[18:19] op_sel:[0,1]
	v_mad_u64_u32 v[2:3], s[18:19], v4, s25, v[2:3]
	v_mul_lo_u32 v4, v4, s28
	v_mul_lo_u32 v5, v5, s25
	v_lshl_add_u32 v1, v0, 4, s21
	v_add3_u32 v3, v5, v3, v4
	v_add_co_u32_e32 v2, vcc, 8, v2
	v_add_u32_e32 v1, 0x3100, v1
	v_addc_co_u32_e32 v3, vcc, 0, v3, vcc
.LBB231_21:                             ; =>This Inner Loop Header: Depth=1
	global_load_dwordx4 v[4:7], v[2:3], off offset:-8
	v_add_co_u32_e32 v2, vcc, 16, v2
	s_add_i32 s20, s20, -1
	v_addc_co_u32_e32 v3, vcc, 0, v3, vcc
	s_cmp_lg_u32 s20, 0
	s_waitcnt vmcnt(0)
	v_mul_f64 v[10:11], s[14:15], v[6:7]
	v_mul_f64 v[8:9], s[12:13], v[6:7]
	v_fma_f64 v[6:7], s[12:13], v[4:5], -v[10:11]
	v_fmac_f64_e32 v[8:9], s[14:15], v[4:5]
	ds_write_b128 v1, v[6:9]
	v_add_u32_e32 v1, 0x1c0, v1
	s_cbranch_scc1 .LBB231_21
.LBB231_22:
	s_or_b64 exec, exec, s[16:17]
	s_cmpk_eq_i32 s24, 0x6f
	s_mov_b64 s[12:13], -1
	s_waitcnt lgkmcnt(0)
	; wave barrier
	s_waitcnt lgkmcnt(0)
	s_cbranch_scc1 .LBB231_43
; %bb.23:
	v_mov_b32_e32 v1, 0x3100
	s_lshl_b32 s16, s33, 4
	s_mov_b32 s13, 0
	v_lshl_add_u32 v1, v0, 4, v1
	s_add_i32 s16, s16, -16
	v_mov_b32_e32 v6, 0
	s_mov_b32 s12, s13
	s_mov_b32 s17, s38
	s_branch .LBB231_25
.LBB231_24:                             ;   in Loop: Header=BB231_25 Depth=1
	s_cmp_lt_i32 s17, 0
	s_cselect_b64 s[14:15], -1, 0
	s_add_i32 s12, s12, 1
	s_cmp_eq_u32 s12, 3
	s_cselect_b64 s[18:19], -1, 0
	s_or_b64 s[14:15], s[14:15], s[18:19]
	s_andn2_b64 vcc, exec, s[14:15]
	s_cbranch_vccz .LBB231_42
.LBB231_25:                             ; =>This Loop Header: Depth=1
                                        ;     Child Loop BB231_28 Depth 2
                                        ;       Child Loop BB231_29 Depth 3
                                        ;       Child Loop BB231_31 Depth 3
                                        ;         Child Loop BB231_32 Depth 4
                                        ;       Child Loop BB231_36 Depth 3
                                        ;         Child Loop BB231_38 Depth 4
	s_lshl_b64 s[14:15], s[12:13], 2
	s_getpc_b64 s[18:19]
	s_add_u32 s18, s18, __const._ZL38rocblas_trsm_small_left_device_sharedBILi28ELi28ELb1E19rocblas_complex_numIdES1_PKS1_PS1_Ev13rocblas_fill_18rocblas_operation_17rocblas_diagonal_iiT3_T4_lilT5_lili.step_sizes@rel32@lo+4
	s_addc_u32 s19, s19, __const._ZL38rocblas_trsm_small_left_device_sharedBILi28ELi28ELb1E19rocblas_complex_numIdES1_PKS1_PS1_Ev13rocblas_fill_18rocblas_operation_17rocblas_diagonal_iiT3_T4_lilT5_lili.step_sizes@rel32@hi+12
	s_add_u32 s14, s14, s18
	s_addc_u32 s15, s15, s19
	s_load_dword s18, s[14:15], 0x0
	s_waitcnt lgkmcnt(0)
	s_add_i32 s19, s18, -1
	s_cmp_lt_i32 s17, s19
	s_cbranch_scc1 .LBB231_24
; %bb.26:                               ;   in Loop: Header=BB231_25 Depth=1
	s_mul_i32 s14, s17, 0x1c0
	s_max_i32 s20, s18, 1
	v_add_u32_e32 v7, s14, v1
	s_mul_i32 s21, s18, 0xfffffe40
	s_add_i32 s24, s16, s14
	s_mul_i32 s30, s17, 0x1d0
	s_mul_i32 s31, s18, 0xfffffe30
	s_branch .LBB231_28
.LBB231_27:                             ;   in Loop: Header=BB231_28 Depth=2
	s_sub_i32 s17, s17, s18
	s_add_i32 s24, s24, s21
	s_add_i32 s30, s30, s31
	s_cmp_lt_i32 s17, s19
	v_add_u32_e32 v7, s21, v7
	s_cbranch_scc1 .LBB231_24
.LBB231_28:                             ;   Parent Loop BB231_25 Depth=1
                                        ; =>  This Loop Header: Depth=2
                                        ;       Child Loop BB231_29 Depth 3
                                        ;       Child Loop BB231_31 Depth 3
                                        ;         Child Loop BB231_32 Depth 4
                                        ;       Child Loop BB231_36 Depth 3
                                        ;         Child Loop BB231_38 Depth 4
	v_mov_b32_e32 v2, 0
	v_mov_b32_e32 v3, v7
	s_mov_b32 s14, s20
.LBB231_29:                             ;   Parent Loop BB231_25 Depth=1
                                        ;     Parent Loop BB231_28 Depth=2
                                        ; =>    This Inner Loop Header: Depth=3
	ds_read_b128 v[8:11], v3
	s_add_i32 s14, s14, -1
	v_add_u32_e32 v3, 0xfffffe40, v3
	s_cmp_eq_u32 s14, 0
	s_waitcnt lgkmcnt(0)
	buffer_store_dword v11, v2, s[0:3], 0 offen offset:12
	buffer_store_dword v10, v2, s[0:3], 0 offen offset:8
	;; [unrolled: 1-line block ×3, first 2 shown]
	buffer_store_dword v8, v2, s[0:3], 0 offen
	v_add_u32_e32 v2, 16, v2
	s_cbranch_scc0 .LBB231_29
; %bb.30:                               ;   in Loop: Header=BB231_28 Depth=2
	s_cmp_le_i32 s38, s17
	s_mov_b32 s14, s24
	s_mov_b32 s15, s38
	s_cbranch_scc1 .LBB231_34
.LBB231_31:                             ;   Parent Loop BB231_25 Depth=1
                                        ;     Parent Loop BB231_28 Depth=2
                                        ; =>    This Loop Header: Depth=3
                                        ;         Child Loop BB231_32 Depth 4
	s_mul_i32 s34, s15, 28
	v_add_lshl_u32 v2, s34, v0, 4
	ds_read_b128 v[2:5], v2 offset:12544
	v_mov_b32_e32 v8, 0
	s_mov_b32 s34, s14
	s_mov_b32 s35, s20
.LBB231_32:                             ;   Parent Loop BB231_25 Depth=1
                                        ;     Parent Loop BB231_28 Depth=2
                                        ;       Parent Loop BB231_31 Depth=3
                                        ; =>      This Inner Loop Header: Depth=4
	buffer_load_dword v14, v8, s[0:3], 0 offen
	buffer_load_dword v15, v8, s[0:3], 0 offen offset:4
	buffer_load_dword v16, v8, s[0:3], 0 offen offset:8
	;; [unrolled: 1-line block ×3, first 2 shown]
	v_mov_b32_e32 v9, s34
	ds_read_b128 v[10:13], v9
	s_add_i32 s35, s35, -1
	s_addk_i32 s34, 0xfe40
	s_cmp_eq_u32 s35, 0
	s_waitcnt lgkmcnt(0)
	v_mul_f64 v[18:19], v[4:5], v[12:13]
	v_mul_f64 v[12:13], v[2:3], v[12:13]
	v_fma_f64 v[18:19], v[2:3], v[10:11], -v[18:19]
	v_fmac_f64_e32 v[12:13], v[4:5], v[10:11]
	s_waitcnt vmcnt(2)
	v_add_f64 v[10:11], v[14:15], -v[18:19]
	s_waitcnt vmcnt(0)
	v_add_f64 v[12:13], v[16:17], -v[12:13]
	buffer_store_dword v10, v8, s[0:3], 0 offen
	buffer_store_dword v11, v8, s[0:3], 0 offen offset:4
	buffer_store_dword v12, v8, s[0:3], 0 offen offset:8
	;; [unrolled: 1-line block ×3, first 2 shown]
	v_add_u32_e32 v8, 16, v8
	s_cbranch_scc0 .LBB231_32
; %bb.33:                               ;   in Loop: Header=BB231_31 Depth=3
	s_add_i32 s15, s15, -1
	s_add_i32 s14, s14, -16
	s_cmp_le_i32 s15, s17
	s_cbranch_scc0 .LBB231_31
.LBB231_34:                             ;   in Loop: Header=BB231_28 Depth=2
	s_mul_i32 s34, s17, 28
	s_mov_b32 s35, 0
	s_mov_b32 s36, s30
	s_branch .LBB231_36
.LBB231_35:                             ;   in Loop: Header=BB231_36 Depth=3
	s_mul_i32 s14, s39, 0x1d0
	v_mov_b32_e32 v8, s14
	ds_read_b128 v[8:11], v8
	s_lshl_b32 s14, s35, 4
	s_add_i32 s35, s35, 1
	s_addk_i32 s36, 0xfe40
	v_add_u32_e32 v16, s14, v6
	s_waitcnt vmcnt(0) lgkmcnt(0)
	v_mul_f64 v[12:13], v[10:11], v[4:5]
	v_mul_f64 v[14:15], v[8:9], v[4:5]
	v_fma_f64 v[12:13], v[8:9], v[2:3], -v[12:13]
	v_fmac_f64_e32 v[14:15], v[10:11], v[2:3]
	v_add_lshl_u32 v2, s37, v0, 4
	s_cmp_eq_u32 s35, s20
	buffer_store_dword v13, v16, s[0:3], 0 offen offset:4
	buffer_store_dword v12, v16, s[0:3], 0 offen
	buffer_store_dword v15, v16, s[0:3], 0 offen offset:12
	buffer_store_dword v14, v16, s[0:3], 0 offen offset:8
	ds_write_b128 v2, v[12:15] offset:12544
	s_cbranch_scc1 .LBB231_27
.LBB231_36:                             ;   Parent Loop BB231_25 Depth=1
                                        ;     Parent Loop BB231_28 Depth=2
                                        ; =>    This Loop Header: Depth=3
                                        ;         Child Loop BB231_38 Depth 4
	s_cmp_lg_u32 s35, 0
	s_cbranch_scc0 .LBB231_40
; %bb.37:                               ;   in Loop: Header=BB231_36 Depth=3
	s_lshl_b32 s14, s35, 4
	v_add_u32_e32 v8, s14, v6
	buffer_load_dword v2, v8, s[0:3], 0 offen
	buffer_load_dword v3, v8, s[0:3], 0 offen offset:4
	buffer_load_dword v4, v8, s[0:3], 0 offen offset:8
	buffer_load_dword v5, v8, s[0:3], 0 offen offset:12
	s_sub_i32 s39, s17, s35
	s_mul_i32 s37, s39, 28
	v_mov_b32_e32 v9, 0
	s_mov_b32 s14, 0
	s_mov_b32 s15, s36
.LBB231_38:                             ;   Parent Loop BB231_25 Depth=1
                                        ;     Parent Loop BB231_28 Depth=2
                                        ;       Parent Loop BB231_36 Depth=3
                                        ; =>      This Inner Loop Header: Depth=4
	buffer_load_dword v14, v9, s[0:3], 0 offen offset:8
	buffer_load_dword v15, v9, s[0:3], 0 offen offset:12
	buffer_load_dword v16, v9, s[0:3], 0 offen
	buffer_load_dword v17, v9, s[0:3], 0 offen offset:4
	v_mov_b32_e32 v10, s15
	ds_read_b128 v[10:13], v10
	s_add_i32 s14, s14, 1
	s_add_i32 s15, s15, -16
	v_add_u32_e32 v9, 16, v9
	s_cmp_ge_u32 s14, s35
	s_waitcnt vmcnt(2) lgkmcnt(0)
	v_mul_f64 v[18:19], v[12:13], v[14:15]
	v_mul_f64 v[14:15], v[10:11], v[14:15]
	s_waitcnt vmcnt(0)
	v_fma_f64 v[10:11], v[10:11], v[16:17], -v[18:19]
	v_fmac_f64_e32 v[14:15], v[12:13], v[16:17]
	v_add_f64 v[2:3], v[2:3], -v[10:11]
	v_add_f64 v[4:5], v[4:5], -v[14:15]
	buffer_store_dword v2, v8, s[0:3], 0 offen
	buffer_store_dword v3, v8, s[0:3], 0 offen offset:4
	buffer_store_dword v4, v8, s[0:3], 0 offen offset:8
	;; [unrolled: 1-line block ×3, first 2 shown]
	s_cbranch_scc0 .LBB231_38
; %bb.39:                               ;   in Loop: Header=BB231_36 Depth=3
	s_branch .LBB231_35
.LBB231_40:                             ;   in Loop: Header=BB231_36 Depth=3
                                        ; implicit-def: $vgpr2_vgpr3
                                        ; implicit-def: $vgpr4_vgpr5
                                        ; implicit-def: $sgpr39
                                        ; implicit-def: $sgpr37
	s_cbranch_execz .LBB231_35
; %bb.41:                               ;   in Loop: Header=BB231_36 Depth=3
	buffer_load_dword v2, off, s[0:3], 0
	buffer_load_dword v3, off, s[0:3], 0 offset:4
	buffer_load_dword v4, off, s[0:3], 0 offset:8
	;; [unrolled: 1-line block ×3, first 2 shown]
	s_mov_b32 s37, s34
	s_mov_b32 s39, s17
	s_branch .LBB231_35
.LBB231_42:
	s_mov_b64 s[12:13], 0
.LBB231_43:
	s_and_b64 vcc, exec, s[12:13]
	s_cbranch_vccz .LBB231_64
; %bb.44:
	v_mov_b32_e32 v1, 0x3100
	s_mov_b32 s13, 0
	v_lshl_add_u32 v1, v0, 4, v1
	v_mov_b32_e32 v6, 0
	s_mov_b32 s12, s13
	s_mov_b32 s16, s13
	s_branch .LBB231_46
.LBB231_45:                             ;   in Loop: Header=BB231_46 Depth=1
	s_cmp_ge_i32 s16, s33
	s_cselect_b64 s[14:15], -1, 0
	s_add_i32 s12, s12, 1
	s_cmp_eq_u32 s12, 3
	s_cselect_b64 s[18:19], -1, 0
	s_or_b64 s[14:15], s[14:15], s[18:19]
	s_and_b64 vcc, exec, s[14:15]
	s_cbranch_vccnz .LBB231_64
.LBB231_46:                             ; =>This Loop Header: Depth=1
                                        ;     Child Loop BB231_49 Depth 2
                                        ;       Child Loop BB231_50 Depth 3
                                        ;       Child Loop BB231_53 Depth 3
                                        ;         Child Loop BB231_54 Depth 4
                                        ;       Child Loop BB231_58 Depth 3
                                        ;         Child Loop BB231_60 Depth 4
	s_lshl_b64 s[14:15], s[12:13], 2
	s_getpc_b64 s[18:19]
	s_add_u32 s18, s18, __const._ZL38rocblas_trsm_small_left_device_sharedBILi28ELi28ELb1E19rocblas_complex_numIdES1_PKS1_PS1_Ev13rocblas_fill_18rocblas_operation_17rocblas_diagonal_iiT3_T4_lilT5_lili.step_sizes@rel32@lo+4
	s_addc_u32 s19, s19, __const._ZL38rocblas_trsm_small_left_device_sharedBILi28ELi28ELb1E19rocblas_complex_numIdES1_PKS1_PS1_Ev13rocblas_fill_18rocblas_operation_17rocblas_diagonal_iiT3_T4_lilT5_lili.step_sizes@rel32@hi+12
	s_add_u32 s14, s14, s18
	s_addc_u32 s15, s15, s19
	s_load_dword s17, s[14:15], 0x0
	s_waitcnt lgkmcnt(0)
	s_add_i32 s18, s17, -1
	s_add_i32 s14, s18, s16
	s_cmp_ge_i32 s14, s33
	s_cbranch_scc1 .LBB231_45
; %bb.47:                               ;   in Loop: Header=BB231_46 Depth=1
	s_mul_i32 s14, s16, 0x1c0
	s_max_i32 s19, s17, 1
	v_add_u32_e32 v7, s14, v1
	s_mul_i32 s20, s17, 0x1c0
	s_lshl_b32 s21, s16, 4
	s_lshl_b32 s24, s17, 4
	s_mul_i32 s30, s16, 0x1d0
	s_mul_i32 s31, s17, 0x1d0
	s_branch .LBB231_49
.LBB231_48:                             ;   in Loop: Header=BB231_49 Depth=2
	s_add_i32 s16, s16, s17
	s_add_i32 s14, s18, s16
	;; [unrolled: 1-line block ×4, first 2 shown]
	s_cmp_ge_i32 s14, s33
	v_add_u32_e32 v7, s20, v7
	s_cbranch_scc1 .LBB231_45
.LBB231_49:                             ;   Parent Loop BB231_46 Depth=1
                                        ; =>  This Loop Header: Depth=2
                                        ;       Child Loop BB231_50 Depth 3
                                        ;       Child Loop BB231_53 Depth 3
                                        ;         Child Loop BB231_54 Depth 4
                                        ;       Child Loop BB231_58 Depth 3
                                        ;         Child Loop BB231_60 Depth 4
	v_mov_b32_e32 v2, 0
	v_mov_b32_e32 v3, v7
	s_mov_b32 s14, s19
.LBB231_50:                             ;   Parent Loop BB231_46 Depth=1
                                        ;     Parent Loop BB231_49 Depth=2
                                        ; =>    This Inner Loop Header: Depth=3
	ds_read_b128 v[8:11], v3
	s_add_i32 s14, s14, -1
	v_add_u32_e32 v3, 0x1c0, v3
	s_cmp_eq_u32 s14, 0
	s_waitcnt lgkmcnt(0)
	buffer_store_dword v11, v2, s[0:3], 0 offen offset:12
	buffer_store_dword v10, v2, s[0:3], 0 offen offset:8
	;; [unrolled: 1-line block ×3, first 2 shown]
	buffer_store_dword v8, v2, s[0:3], 0 offen
	v_add_u32_e32 v2, 16, v2
	s_cbranch_scc0 .LBB231_50
; %bb.51:                               ;   in Loop: Header=BB231_49 Depth=2
	s_cmp_lt_i32 s16, 1
	s_cbranch_scc1 .LBB231_56
; %bb.52:                               ;   in Loop: Header=BB231_49 Depth=2
	s_mov_b32 s14, 0
	s_mov_b32 s15, s21
.LBB231_53:                             ;   Parent Loop BB231_46 Depth=1
                                        ;     Parent Loop BB231_49 Depth=2
                                        ; =>    This Loop Header: Depth=3
                                        ;         Child Loop BB231_54 Depth 4
	s_mul_i32 s34, s14, 28
	v_add_lshl_u32 v2, s34, v0, 4
	ds_read_b128 v[2:5], v2 offset:12544
	v_mov_b32_e32 v8, 0
	s_mov_b32 s34, s15
	s_mov_b32 s35, s19
.LBB231_54:                             ;   Parent Loop BB231_46 Depth=1
                                        ;     Parent Loop BB231_49 Depth=2
                                        ;       Parent Loop BB231_53 Depth=3
                                        ; =>      This Inner Loop Header: Depth=4
	buffer_load_dword v14, v8, s[0:3], 0 offen
	buffer_load_dword v15, v8, s[0:3], 0 offen offset:4
	buffer_load_dword v16, v8, s[0:3], 0 offen offset:8
	;; [unrolled: 1-line block ×3, first 2 shown]
	v_mov_b32_e32 v9, s34
	ds_read_b128 v[10:13], v9
	s_add_i32 s35, s35, -1
	s_add_i32 s34, s34, 16
	s_cmp_eq_u32 s35, 0
	s_waitcnt lgkmcnt(0)
	v_mul_f64 v[18:19], v[4:5], v[12:13]
	v_mul_f64 v[12:13], v[2:3], v[12:13]
	v_fma_f64 v[18:19], v[2:3], v[10:11], -v[18:19]
	v_fmac_f64_e32 v[12:13], v[4:5], v[10:11]
	s_waitcnt vmcnt(2)
	v_add_f64 v[10:11], v[14:15], -v[18:19]
	s_waitcnt vmcnt(0)
	v_add_f64 v[12:13], v[16:17], -v[12:13]
	buffer_store_dword v10, v8, s[0:3], 0 offen
	buffer_store_dword v11, v8, s[0:3], 0 offen offset:4
	buffer_store_dword v12, v8, s[0:3], 0 offen offset:8
	buffer_store_dword v13, v8, s[0:3], 0 offen offset:12
	v_add_u32_e32 v8, 16, v8
	s_cbranch_scc0 .LBB231_54
; %bb.55:                               ;   in Loop: Header=BB231_53 Depth=3
	s_add_i32 s14, s14, 1
	s_addk_i32 s15, 0x1c0
	s_cmp_ge_i32 s14, s16
	s_cbranch_scc0 .LBB231_53
.LBB231_56:                             ;   in Loop: Header=BB231_49 Depth=2
	s_mov_b32 s34, 0
	s_mov_b32 s35, s30
	s_branch .LBB231_58
.LBB231_57:                             ;   in Loop: Header=BB231_58 Depth=3
	s_mul_i32 s14, s36, 0x1d0
	v_mov_b32_e32 v8, s14
	ds_read_b128 v[8:11], v8
	s_mul_i32 s14, s36, 28
	s_lshl_b32 s15, s34, 4
	s_add_i32 s34, s34, 1
	s_add_i32 s35, s35, 16
	s_waitcnt vmcnt(0) lgkmcnt(0)
	v_mul_f64 v[12:13], v[10:11], v[4:5]
	v_mul_f64 v[14:15], v[8:9], v[4:5]
	v_add_u32_e32 v16, s15, v6
	v_fma_f64 v[12:13], v[8:9], v[2:3], -v[12:13]
	v_fmac_f64_e32 v[14:15], v[10:11], v[2:3]
	v_add_lshl_u32 v2, s14, v0, 4
	s_cmp_eq_u32 s34, s19
	buffer_store_dword v13, v16, s[0:3], 0 offen offset:4
	buffer_store_dword v12, v16, s[0:3], 0 offen
	buffer_store_dword v15, v16, s[0:3], 0 offen offset:12
	buffer_store_dword v14, v16, s[0:3], 0 offen offset:8
	ds_write_b128 v2, v[12:15] offset:12544
	s_cbranch_scc1 .LBB231_48
.LBB231_58:                             ;   Parent Loop BB231_46 Depth=1
                                        ;     Parent Loop BB231_49 Depth=2
                                        ; =>    This Loop Header: Depth=3
                                        ;         Child Loop BB231_60 Depth 4
	s_cmp_lg_u32 s34, 0
	s_cbranch_scc0 .LBB231_62
; %bb.59:                               ;   in Loop: Header=BB231_58 Depth=3
	s_lshl_b32 s14, s34, 4
	v_add_u32_e32 v8, s14, v6
	buffer_load_dword v2, v8, s[0:3], 0 offen
	buffer_load_dword v3, v8, s[0:3], 0 offen offset:4
	buffer_load_dword v4, v8, s[0:3], 0 offen offset:8
	;; [unrolled: 1-line block ×3, first 2 shown]
	s_add_i32 s36, s34, s16
	v_mov_b32_e32 v9, 0
	s_mov_b32 s14, 0
	s_mov_b32 s15, s35
.LBB231_60:                             ;   Parent Loop BB231_46 Depth=1
                                        ;     Parent Loop BB231_49 Depth=2
                                        ;       Parent Loop BB231_58 Depth=3
                                        ; =>      This Inner Loop Header: Depth=4
	buffer_load_dword v14, v9, s[0:3], 0 offen offset:8
	buffer_load_dword v15, v9, s[0:3], 0 offen offset:12
	buffer_load_dword v16, v9, s[0:3], 0 offen
	buffer_load_dword v17, v9, s[0:3], 0 offen offset:4
	v_mov_b32_e32 v10, s15
	ds_read_b128 v[10:13], v10
	s_add_i32 s14, s14, 1
	s_addk_i32 s15, 0x1c0
	v_add_u32_e32 v9, 16, v9
	s_cmp_ge_u32 s14, s34
	s_waitcnt vmcnt(2) lgkmcnt(0)
	v_mul_f64 v[18:19], v[12:13], v[14:15]
	v_mul_f64 v[14:15], v[10:11], v[14:15]
	s_waitcnt vmcnt(0)
	v_fma_f64 v[10:11], v[10:11], v[16:17], -v[18:19]
	v_fmac_f64_e32 v[14:15], v[12:13], v[16:17]
	v_add_f64 v[2:3], v[2:3], -v[10:11]
	v_add_f64 v[4:5], v[4:5], -v[14:15]
	buffer_store_dword v2, v8, s[0:3], 0 offen
	buffer_store_dword v3, v8, s[0:3], 0 offen offset:4
	buffer_store_dword v4, v8, s[0:3], 0 offen offset:8
	;; [unrolled: 1-line block ×3, first 2 shown]
	s_cbranch_scc0 .LBB231_60
; %bb.61:                               ;   in Loop: Header=BB231_58 Depth=3
	s_branch .LBB231_57
.LBB231_62:                             ;   in Loop: Header=BB231_58 Depth=3
                                        ; implicit-def: $vgpr2_vgpr3
                                        ; implicit-def: $vgpr4_vgpr5
                                        ; implicit-def: $sgpr36
	s_cbranch_execz .LBB231_57
; %bb.63:                               ;   in Loop: Header=BB231_58 Depth=3
	buffer_load_dword v2, off, s[0:3], 0
	buffer_load_dword v3, off, s[0:3], 0 offset:4
	buffer_load_dword v4, off, s[0:3], 0 offset:8
	;; [unrolled: 1-line block ×3, first 2 shown]
	s_mov_b32 s36, s16
	s_branch .LBB231_57
.LBB231_64:
	s_waitcnt lgkmcnt(0)
	; wave barrier
	s_waitcnt lgkmcnt(0)
	s_and_saveexec_b64 s[12:13], s[10:11]
	s_cbranch_execz .LBB231_71
; %bb.65:
	s_cmp_lt_i32 s26, 8
	s_mov_b32 s10, 0
	s_cbranch_scc1 .LBB231_68
; %bb.66:
	v_mad_i64_i32 v[2:3], s[10:11], s25, v0, 0
	v_lshlrev_b64 v[2:3], 4, v[2:3]
	v_mov_b32_e32 v4, s29
	v_add_co_u32_e32 v1, vcc, s27, v2
	v_addc_co_u32_e32 v2, vcc, v4, v3, vcc
	v_mov_b32_e32 v3, 0x3100
	s_lshl_b32 s10, s33, 4
	v_lshl_add_u32 v3, v0, 4, v3
	s_and_b32 s11, s10, 0x180
	s_mov_b32 s10, 0
	s_mov_b64 s[12:13], 0
.LBB231_67:                             ; =>This Inner Loop Header: Depth=1
	v_mov_b32_e32 v24, s13
	v_add_u32_e32 v25, 0x8c0, v3
	v_add_u32_e32 v28, 0xa80, v3
	;; [unrolled: 1-line block ×3, first 2 shown]
	v_add_co_u32_e32 v36, vcc, s12, v1
	ds_read2_b64 v[4:7], v3 offset1:1
	ds_read2_b64 v[8:11], v3 offset0:56 offset1:57
	ds_read2_b64 v[12:15], v3 offset0:112 offset1:113
	;; [unrolled: 1-line block ×4, first 2 shown]
	v_addc_co_u32_e32 v37, vcc, v2, v24, vcc
	ds_read2_b64 v[24:27], v25 offset1:1
	ds_read2_b64 v[28:31], v28 offset1:1
	;; [unrolled: 1-line block ×3, first 2 shown]
	s_add_i32 s10, s10, 8
	s_add_u32 s12, s12, 0x80
	s_addc_u32 s13, s13, 0
	v_add_u32_e32 v3, 0xe00, v3
	s_cmp_lg_u32 s11, s12
	s_waitcnt lgkmcnt(7)
	global_store_dwordx4 v[36:37], v[4:7], off
	s_waitcnt lgkmcnt(6)
	global_store_dwordx4 v[36:37], v[8:11], off offset:16
	s_waitcnt lgkmcnt(5)
	global_store_dwordx4 v[36:37], v[12:15], off offset:32
	;; [unrolled: 2-line block ×7, first 2 shown]
	s_cbranch_scc1 .LBB231_67
.LBB231_68:
	s_and_b32 s12, s33, 7
	s_cmp_eq_u32 s12, 0
	s_mov_b32 s11, 0
	s_cbranch_scc1 .LBB231_71
; %bb.69:
	s_lshl_b64 s[8:9], s[8:9], 4
	v_lshlrev_b32_e32 v1, 4, v0
	v_mov_b32_e32 v2, s9
	v_add_co_u32_e32 v1, vcc, s8, v1
	s_lshl_b64 s[8:9], s[10:11], 4
	s_add_u32 s8, s22, s8
	s_addc_u32 s9, s23, s9
	s_add_u32 s6, s8, s6
	s_addc_u32 s7, s9, s7
	;; [unrolled: 2-line block ×3, first 2 shown]
	v_addc_co_u32_e32 v4, vcc, 0, v2, vcc
	v_pk_mov_b32 v[2:3], s[4:5], s[4:5] op_sel:[0,1]
	v_mad_u64_u32 v[2:3], s[4:5], v1, s25, v[2:3]
	s_mul_i32 s4, s10, 0x1c0
	v_mul_lo_u32 v1, v1, s28
	v_mul_lo_u32 v4, v4, s25
	v_lshl_add_u32 v0, v0, 4, s4
	v_add3_u32 v3, v4, v3, v1
	v_add_u32_e32 v0, 0x3100, v0
.LBB231_70:                             ; =>This Inner Loop Header: Depth=1
	ds_read2_b64 v[4:7], v0 offset1:1
	s_add_i32 s12, s12, -1
	v_add_u32_e32 v0, 0x1c0, v0
	s_cmp_lg_u32 s12, 0
	s_waitcnt lgkmcnt(0)
	global_store_dwordx4 v[2:3], v[4:7], off
	v_add_co_u32_e32 v2, vcc, 16, v2
	v_addc_co_u32_e32 v3, vcc, 0, v3, vcc
	s_cbranch_scc1 .LBB231_70
.LBB231_71:
	s_endpgm
	.section	.rodata,"a",@progbits
	.p2align	6, 0x0
	.amdhsa_kernel _ZL38rocblas_trsm_small_left_device_sharedBILi28ELi28ELb1E19rocblas_complex_numIdES1_PKS1_PS1_Ev13rocblas_fill_18rocblas_operation_17rocblas_diagonal_iiT3_T4_lilT5_lili
		.amdhsa_group_segment_fixed_size 25088
		.amdhsa_private_segment_fixed_size 464
		.amdhsa_kernarg_size 368
		.amdhsa_user_sgpr_count 8
		.amdhsa_user_sgpr_private_segment_buffer 1
		.amdhsa_user_sgpr_dispatch_ptr 0
		.amdhsa_user_sgpr_queue_ptr 0
		.amdhsa_user_sgpr_kernarg_segment_ptr 1
		.amdhsa_user_sgpr_dispatch_id 0
		.amdhsa_user_sgpr_flat_scratch_init 1
		.amdhsa_user_sgpr_kernarg_preload_length 0
		.amdhsa_user_sgpr_kernarg_preload_offset 0
		.amdhsa_user_sgpr_private_segment_size 0
		.amdhsa_uses_dynamic_stack 0
		.amdhsa_system_sgpr_private_segment_wavefront_offset 1
		.amdhsa_system_sgpr_workgroup_id_x 1
		.amdhsa_system_sgpr_workgroup_id_y 0
		.amdhsa_system_sgpr_workgroup_id_z 1
		.amdhsa_system_sgpr_workgroup_info 0
		.amdhsa_system_vgpr_workitem_id 0
		.amdhsa_next_free_vgpr 54
		.amdhsa_next_free_sgpr 43
		.amdhsa_accum_offset 56
		.amdhsa_reserve_vcc 1
		.amdhsa_reserve_flat_scratch 0
		.amdhsa_float_round_mode_32 0
		.amdhsa_float_round_mode_16_64 0
		.amdhsa_float_denorm_mode_32 3
		.amdhsa_float_denorm_mode_16_64 3
		.amdhsa_dx10_clamp 1
		.amdhsa_ieee_mode 1
		.amdhsa_fp16_overflow 0
		.amdhsa_tg_split 0
		.amdhsa_exception_fp_ieee_invalid_op 0
		.amdhsa_exception_fp_denorm_src 0
		.amdhsa_exception_fp_ieee_div_zero 0
		.amdhsa_exception_fp_ieee_overflow 0
		.amdhsa_exception_fp_ieee_underflow 0
		.amdhsa_exception_fp_ieee_inexact 0
		.amdhsa_exception_int_div_zero 0
	.end_amdhsa_kernel
	.section	.text._ZL38rocblas_trsm_small_left_device_sharedBILi28ELi28ELb1E19rocblas_complex_numIdES1_PKS1_PS1_Ev13rocblas_fill_18rocblas_operation_17rocblas_diagonal_iiT3_T4_lilT5_lili,"axG",@progbits,_ZL38rocblas_trsm_small_left_device_sharedBILi28ELi28ELb1E19rocblas_complex_numIdES1_PKS1_PS1_Ev13rocblas_fill_18rocblas_operation_17rocblas_diagonal_iiT3_T4_lilT5_lili,comdat
.Lfunc_end231:
	.size	_ZL38rocblas_trsm_small_left_device_sharedBILi28ELi28ELb1E19rocblas_complex_numIdES1_PKS1_PS1_Ev13rocblas_fill_18rocblas_operation_17rocblas_diagonal_iiT3_T4_lilT5_lili, .Lfunc_end231-_ZL38rocblas_trsm_small_left_device_sharedBILi28ELi28ELb1E19rocblas_complex_numIdES1_PKS1_PS1_Ev13rocblas_fill_18rocblas_operation_17rocblas_diagonal_iiT3_T4_lilT5_lili
                                        ; -- End function
	.section	.AMDGPU.csdata,"",@progbits
; Kernel info:
; codeLenInByte = 4344
; NumSgprs: 47
; NumVgprs: 54
; NumAgprs: 0
; TotalNumVgprs: 54
; ScratchSize: 464
; MemoryBound: 0
; FloatMode: 240
; IeeeMode: 1
; LDSByteSize: 25088 bytes/workgroup (compile time only)
; SGPRBlocks: 5
; VGPRBlocks: 6
; NumSGPRsForWavesPerEU: 47
; NumVGPRsForWavesPerEU: 54
; AccumOffset: 56
; Occupancy: 1
; WaveLimiterHint : 0
; COMPUTE_PGM_RSRC2:SCRATCH_EN: 1
; COMPUTE_PGM_RSRC2:USER_SGPR: 8
; COMPUTE_PGM_RSRC2:TRAP_HANDLER: 0
; COMPUTE_PGM_RSRC2:TGID_X_EN: 1
; COMPUTE_PGM_RSRC2:TGID_Y_EN: 0
; COMPUTE_PGM_RSRC2:TGID_Z_EN: 1
; COMPUTE_PGM_RSRC2:TIDIG_COMP_CNT: 0
; COMPUTE_PGM_RSRC3_GFX90A:ACCUM_OFFSET: 13
; COMPUTE_PGM_RSRC3_GFX90A:TG_SPLIT: 0
	.section	.text._ZL30rocblas_trsm_small_left_deviceILi28ELi28ELb1E19rocblas_complex_numIdES1_PKS1_PS1_Ev13rocblas_fill_18rocblas_operation_17rocblas_diagonal_iiT3_T4_lilT5_lili,"axG",@progbits,_ZL30rocblas_trsm_small_left_deviceILi28ELi28ELb1E19rocblas_complex_numIdES1_PKS1_PS1_Ev13rocblas_fill_18rocblas_operation_17rocblas_diagonal_iiT3_T4_lilT5_lili,comdat
	.globl	_ZL30rocblas_trsm_small_left_deviceILi28ELi28ELb1E19rocblas_complex_numIdES1_PKS1_PS1_Ev13rocblas_fill_18rocblas_operation_17rocblas_diagonal_iiT3_T4_lilT5_lili ; -- Begin function _ZL30rocblas_trsm_small_left_deviceILi28ELi28ELb1E19rocblas_complex_numIdES1_PKS1_PS1_Ev13rocblas_fill_18rocblas_operation_17rocblas_diagonal_iiT3_T4_lilT5_lili
	.p2align	8
	.type	_ZL30rocblas_trsm_small_left_deviceILi28ELi28ELb1E19rocblas_complex_numIdES1_PKS1_PS1_Ev13rocblas_fill_18rocblas_operation_17rocblas_diagonal_iiT3_T4_lilT5_lili,@function
_ZL30rocblas_trsm_small_left_deviceILi28ELi28ELb1E19rocblas_complex_numIdES1_PKS1_PS1_Ev13rocblas_fill_18rocblas_operation_17rocblas_diagonal_iiT3_T4_lilT5_lili: ; @_ZL30rocblas_trsm_small_left_deviceILi28ELi28ELb1E19rocblas_complex_numIdES1_PKS1_PS1_Ev13rocblas_fill_18rocblas_operation_17rocblas_diagonal_iiT3_T4_lilT5_lili
; %bb.0:
	s_add_u32 s0, s0, s10
	s_load_dwordx4 s[24:27], s[4:5], 0x4
	s_load_dwordx8 s[12:19], s[4:5], 0x18
	s_load_dwordx4 s[20:23], s[4:5], 0x40
	s_load_dwordx2 s[10:11], s[4:5], 0x50
	s_load_dword s38, s[4:5], 0x70
	s_addc_u32 s1, s1, 0
	s_waitcnt lgkmcnt(0)
	s_min_i32 s26, s26, 28
	s_mov_b32 s39, 0
	s_add_i32 s33, s26, -1
	v_cmp_gt_i32_e32 vcc, s26, v0
	s_and_saveexec_b64 s[28:29], vcc
	s_cbranch_execz .LBB232_15
; %bb.1:
	s_load_dword s30, s[4:5], 0x38
	v_lshlrev_b32_e32 v1, 4, v0
	s_mul_i32 s40, s21, s9
	s_mul_hi_u32 s41, s20, s9
	s_mul_i32 s20, s20, s9
	s_waitcnt lgkmcnt(0)
	s_ashr_i32 s31, s30, 31
	s_cmpk_eq_i32 s24, 0x71
	s_cselect_b64 vcc, -1, 0
	s_cmp_lt_u32 s33, 3
	s_cbranch_scc1 .LBB232_4
; %bb.2:
	s_add_i32 s21, s41, s40
	s_and_b32 s39, s26, -4
	s_lshl_b64 s[6:7], s[20:21], 4
	s_lshl_b64 s[34:35], s[18:19], 4
	s_add_u32 s6, s6, s34
	s_addc_u32 s7, s7, s35
	s_add_u32 s6, s16, s6
	v_lshlrev_b32_e32 v2, 4, v0
	s_addc_u32 s7, s17, s7
	v_mov_b32_e32 v3, s7
	v_add_co_u32_e64 v2, s[6:7], s6, v2
	v_addc_co_u32_e64 v3, s[6:7], 0, v3, s[6:7]
	v_add_co_u32_e64 v2, s[6:7], 8, v2
	s_lshl_b64 s[34:35], s[30:31], 6
	s_lshl_b64 s[36:37], s[30:31], 4
	v_addc_co_u32_e64 v3, s[6:7], 0, v3, s[6:7]
	s_mov_b32 s21, 0
	v_mov_b32_e32 v4, s37
	v_mov_b32_e32 v5, s35
	;; [unrolled: 1-line block ×3, first 2 shown]
.LBB232_3:                              ; =>This Inner Loop Header: Depth=1
	v_add_co_u32_e64 v20, s[6:7], s36, v2
	v_addc_co_u32_e64 v21, s[6:7], v3, v4, s[6:7]
	v_add_co_u32_e64 v22, s[6:7], s36, v20
	global_load_dwordx4 v[8:11], v[2:3], off offset:-8
	v_addc_co_u32_e64 v23, s[6:7], v21, v4, s[6:7]
	global_load_dwordx4 v[12:15], v[20:21], off offset:-8
	global_load_dwordx4 v[16:19], v[22:23], off offset:-8
	v_add_co_u32_e64 v20, s[6:7], s36, v22
	v_addc_co_u32_e64 v21, s[6:7], v23, v4, s[6:7]
	global_load_dwordx4 v[20:23], v[20:21], off offset:-8
	s_add_i32 s21, s21, 4
	v_add_co_u32_e64 v2, s[6:7], s34, v2
	s_cmp_eq_u32 s39, s21
	v_addc_co_u32_e64 v3, s[6:7], v3, v5, s[6:7]
	s_waitcnt vmcnt(3)
	v_xor_b32_e32 v7, 0x80000000, v11
	v_cndmask_b32_e32 v11, v11, v7, vcc
	s_waitcnt vmcnt(2)
	v_xor_b32_e32 v7, 0x80000000, v15
	v_cndmask_b32_e32 v15, v15, v7, vcc
	;; [unrolled: 3-line block ×3, first 2 shown]
	ds_write_b128 v6, v[8:11]
	ds_write_b128 v6, v[12:15] offset:448
	s_waitcnt vmcnt(0)
	v_xor_b32_e32 v7, 0x80000000, v23
	v_cndmask_b32_e32 v23, v23, v7, vcc
	ds_write_b128 v6, v[16:19] offset:896
	ds_write_b128 v6, v[20:23] offset:1344
	v_add_u32_e32 v6, 0x700, v6
	s_cbranch_scc0 .LBB232_3
.LBB232_4:
	s_and_b32 s34, s26, 3
	s_cmp_eq_u32 s34, 0
	s_cbranch_scc1 .LBB232_7
; %bb.5:
	s_mul_i32 s6, s39, 0x1c0
	s_add_i32 s21, s41, s40
	v_lshl_add_u32 v4, v0, 4, s6
	s_lshl_b64 s[6:7], s[20:21], 4
	s_mul_i32 s20, s31, s39
	s_mul_hi_u32 s21, s30, s39
	s_add_i32 s21, s21, s20
	s_mul_i32 s20, s30, s39
	s_lshl_b64 s[20:21], s[20:21], 4
	s_add_u32 s20, s6, s20
	s_addc_u32 s21, s7, s21
	s_lshl_b64 s[6:7], s[18:19], 4
	s_add_u32 s6, s20, s6
	s_addc_u32 s7, s21, s7
	s_add_u32 s6, s16, s6
	s_addc_u32 s7, s17, s7
	v_mov_b32_e32 v2, s7
	v_add_co_u32_e64 v1, s[6:7], s6, v1
	v_addc_co_u32_e64 v3, s[6:7], 0, v2, s[6:7]
	v_add_co_u32_e64 v2, s[6:7], 8, v1
	s_lshl_b64 s[16:17], s[30:31], 4
	v_addc_co_u32_e64 v3, s[6:7], 0, v3, s[6:7]
	v_mov_b32_e32 v1, s17
.LBB232_6:                              ; =>This Inner Loop Header: Depth=1
	global_load_dwordx4 v[6:9], v[2:3], off offset:-8
	v_add_co_u32_e64 v2, s[6:7], s16, v2
	s_add_i32 s34, s34, -1
	v_addc_co_u32_e64 v3, s[6:7], v3, v1, s[6:7]
	s_cmp_lg_u32 s34, 0
	s_waitcnt vmcnt(0)
	v_xor_b32_e32 v5, 0x80000000, v9
	v_cndmask_b32_e32 v9, v9, v5, vcc
	ds_write_b128 v4, v[6:9]
	v_add_u32_e32 v4, 0x1c0, v4
	s_cbranch_scc1 .LBB232_6
.LBB232_7:
	v_mul_u32_u24_e32 v1, 29, v0
	s_cmpk_lg_i32 s25, 0x84
	v_lshlrev_b32_e32 v1, 4, v1
	s_cbranch_scc0 .LBB232_13
; %bb.8:
	ds_read_b128 v[2:5], v1
	s_waitcnt lgkmcnt(0)
	v_xor_b32_e32 v7, 0x80000000, v3
	v_cmp_gt_f64_e32 vcc, 0, v[2:3]
	v_xor_b32_e32 v8, 0x80000000, v5
	v_cndmask_b32_e32 v7, v3, v7, vcc
	v_cmp_gt_f64_e32 vcc, 0, v[4:5]
	v_mov_b32_e32 v6, v2
	v_cndmask_b32_e32 v9, v5, v8, vcc
	v_mov_b32_e32 v8, v4
	v_cmp_ngt_f64_e32 vcc, v[6:7], v[8:9]
                                        ; implicit-def: $vgpr8_vgpr9
	s_and_saveexec_b64 s[6:7], vcc
	s_xor_b64 s[6:7], exec, s[6:7]
	s_cbranch_execz .LBB232_10
; %bb.9:
	v_div_scale_f64 v[6:7], s[16:17], v[4:5], v[4:5], v[2:3]
	v_rcp_f64_e32 v[8:9], v[6:7]
	v_div_scale_f64 v[10:11], vcc, v[2:3], v[4:5], v[2:3]
	v_fma_f64 v[12:13], -v[6:7], v[8:9], 1.0
	v_fmac_f64_e32 v[8:9], v[8:9], v[12:13]
	v_fma_f64 v[12:13], -v[6:7], v[8:9], 1.0
	v_fmac_f64_e32 v[8:9], v[8:9], v[12:13]
	v_mul_f64 v[12:13], v[10:11], v[8:9]
	v_fma_f64 v[6:7], -v[6:7], v[12:13], v[10:11]
	v_div_fmas_f64 v[6:7], v[6:7], v[8:9], v[12:13]
	v_div_fixup_f64 v[8:9], v[6:7], v[4:5], v[2:3]
	v_fmac_f64_e32 v[4:5], v[2:3], v[8:9]
	v_div_scale_f64 v[2:3], s[16:17], v[4:5], v[4:5], 1.0
	v_rcp_f64_e32 v[6:7], v[2:3]
	v_fma_f64 v[10:11], -v[2:3], v[6:7], 1.0
	v_fmac_f64_e32 v[6:7], v[6:7], v[10:11]
	v_fma_f64 v[10:11], -v[2:3], v[6:7], 1.0
	v_fmac_f64_e32 v[6:7], v[6:7], v[10:11]
	v_div_scale_f64 v[10:11], vcc, 1.0, v[4:5], 1.0
	v_mul_f64 v[12:13], v[10:11], v[6:7]
	v_fma_f64 v[2:3], -v[2:3], v[12:13], v[10:11]
	s_nop 1
	v_div_fmas_f64 v[2:3], v[2:3], v[6:7], v[12:13]
	v_div_fixup_f64 v[2:3], v[2:3], v[4:5], 1.0
	v_add_f64 v[4:5], v[8:9], 0
	v_mul_f64 v[6:7], v[4:5], v[2:3]
	v_fma_f64 v[4:5], v[8:9], 0, -1.0
	v_mul_f64 v[8:9], v[4:5], v[2:3]
                                        ; implicit-def: $vgpr2_vgpr3
.LBB232_10:
	s_andn2_saveexec_b64 s[6:7], s[6:7]
	s_cbranch_execz .LBB232_12
; %bb.11:
	v_div_scale_f64 v[6:7], s[16:17], v[2:3], v[2:3], v[4:5]
	v_rcp_f64_e32 v[8:9], v[6:7]
	v_div_scale_f64 v[10:11], vcc, v[4:5], v[2:3], v[4:5]
	v_fma_f64 v[12:13], -v[6:7], v[8:9], 1.0
	v_fmac_f64_e32 v[8:9], v[8:9], v[12:13]
	v_fma_f64 v[12:13], -v[6:7], v[8:9], 1.0
	v_fmac_f64_e32 v[8:9], v[8:9], v[12:13]
	v_mul_f64 v[12:13], v[10:11], v[8:9]
	v_fma_f64 v[6:7], -v[6:7], v[12:13], v[10:11]
	v_div_fmas_f64 v[6:7], v[6:7], v[8:9], v[12:13]
	v_div_fixup_f64 v[8:9], v[6:7], v[2:3], v[4:5]
	v_fmac_f64_e32 v[2:3], v[4:5], v[8:9]
	v_div_scale_f64 v[4:5], s[16:17], v[2:3], v[2:3], 1.0
	v_rcp_f64_e32 v[6:7], v[4:5]
	v_fma_f64 v[10:11], -v[4:5], v[6:7], 1.0
	v_fmac_f64_e32 v[6:7], v[6:7], v[10:11]
	v_fma_f64 v[10:11], -v[4:5], v[6:7], 1.0
	v_fmac_f64_e32 v[6:7], v[6:7], v[10:11]
	v_div_scale_f64 v[10:11], vcc, 1.0, v[2:3], 1.0
	v_mul_f64 v[12:13], v[10:11], v[6:7]
	v_fma_f64 v[4:5], -v[4:5], v[12:13], v[10:11]
	s_nop 1
	v_div_fmas_f64 v[4:5], v[4:5], v[6:7], v[12:13]
	v_div_fixup_f64 v[2:3], v[4:5], v[2:3], 1.0
	v_fma_f64 v[4:5], v[8:9], 0, 1.0
	v_mul_f64 v[6:7], v[4:5], v[2:3]
	v_add_f64 v[4:5], -v[8:9], 0
	v_mul_f64 v[8:9], v[4:5], v[2:3]
.LBB232_12:
	s_or_b64 exec, exec, s[6:7]
	s_branch .LBB232_14
.LBB232_13:
	v_mov_b32_e32 v6, 0
	v_mov_b32_e32 v7, 0x3ff00000
	v_pk_mov_b32 v[8:9], 0, 0
.LBB232_14:
	ds_write_b128 v1, v[6:9]
.LBB232_15:
	s_or_b64 exec, exec, s[28:29]
	s_mul_i32 s6, s8, 0xffffffe4
	s_add_i32 s38, s38, -1
	s_add_i32 s6, s6, s27
	s_cmp_ge_u32 s8, s38
	s_cselect_b32 s6, s6, 28
	v_cmp_gt_i32_e32 vcc, s6, v0
	s_waitcnt lgkmcnt(0)
	; wave barrier
	s_waitcnt lgkmcnt(0)
	s_and_saveexec_b64 s[6:7], vcc
	s_cbranch_execz .LBB232_58
; %bb.16:
	s_load_dwordx2 s[6:7], s[4:5], 0x60
	s_load_dword s16, s[4:5], 0x58
	s_waitcnt lgkmcnt(0)
	s_mul_i32 s5, s9, s7
	s_mul_hi_u32 s7, s9, s6
	s_mul_i32 s4, s9, s6
	s_add_i32 s5, s7, s5
	s_lshl_b64 s[4:5], s[4:5], 4
	s_add_u32 s9, s22, s4
	s_addc_u32 s17, s23, s5
	s_lshl_b64 s[6:7], s[10:11], 4
	s_add_u32 s10, s9, s6
	v_mad_u64_u32 v[0:1], s[8:9], s8, 28, v[0:1]
	v_mad_i64_i32 v[0:1], s[8:9], s16, v0, 0
	s_addc_u32 s11, s17, s7
	v_lshlrev_b64 v[4:5], 4, v[0:1]
	v_mov_b32_e32 v0, s11
	v_add_co_u32_e32 v6, vcc, s10, v4
	v_addc_co_u32_e32 v7, vcc, v0, v5, vcc
	s_cmpk_eq_i32 s24, 0x6f
	s_mov_b64 s[8:9], -1
	s_cbranch_scc1 .LBB232_37
; %bb.17:
	s_add_u32 s8, s22, s6
	s_addc_u32 s9, s23, s7
	s_add_u32 s8, s8, s4
	s_addc_u32 s9, s9, s5
	v_mov_b32_e32 v0, s9
	v_add_co_u32_e32 v1, vcc, s8, v4
	v_addc_co_u32_e32 v0, vcc, v0, v5, vcc
	v_add_co_u32_e32 v8, vcc, 8, v1
	s_lshl_b32 s24, s26, 4
	s_mov_b32 s9, 0
	v_addc_co_u32_e32 v9, vcc, 0, v0, vcc
	s_add_i32 s24, s24, -16
	v_mov_b32_e32 v10, 0
	s_mov_b32 s8, s9
	s_mov_b32 s10, s33
	s_branch .LBB232_19
.LBB232_18:                             ;   in Loop: Header=BB232_19 Depth=1
	s_cmp_lt_i32 s10, 0
	s_cselect_b64 s[16:17], -1, 0
	s_add_i32 s8, s8, 1
	s_cmp_eq_u32 s8, 3
	s_cselect_b64 s[18:19], -1, 0
	s_or_b64 s[16:17], s[16:17], s[18:19]
	s_andn2_b64 vcc, exec, s[16:17]
	s_cbranch_vccz .LBB232_36
.LBB232_19:                             ; =>This Loop Header: Depth=1
                                        ;     Child Loop BB232_22 Depth 2
                                        ;       Child Loop BB232_23 Depth 3
                                        ;       Child Loop BB232_25 Depth 3
                                        ;         Child Loop BB232_26 Depth 4
                                        ;       Child Loop BB232_30 Depth 3
                                        ;         Child Loop BB232_32 Depth 4
	s_lshl_b64 s[16:17], s[8:9], 2
	s_getpc_b64 s[18:19]
	s_add_u32 s18, s18, __const._ZL30rocblas_trsm_small_left_deviceILi28ELi28ELb1E19rocblas_complex_numIdES1_PKS1_PS1_Ev13rocblas_fill_18rocblas_operation_17rocblas_diagonal_iiT3_T4_lilT5_lili.step_sizes@rel32@lo+4
	s_addc_u32 s19, s19, __const._ZL30rocblas_trsm_small_left_deviceILi28ELi28ELb1E19rocblas_complex_numIdES1_PKS1_PS1_Ev13rocblas_fill_18rocblas_operation_17rocblas_diagonal_iiT3_T4_lilT5_lili.step_sizes@rel32@hi+12
	s_add_u32 s16, s16, s18
	s_addc_u32 s17, s17, s19
	s_load_dword s25, s[16:17], 0x0
	s_waitcnt lgkmcnt(0)
	s_add_i32 s27, s25, -1
	s_cmp_lt_i32 s10, s27
	s_cbranch_scc1 .LBB232_18
; %bb.20:                               ;   in Loop: Header=BB232_19 Depth=1
	s_mul_i32 s11, s10, 0x1c0
	s_max_i32 s28, s25, 1
	s_add_i32 s29, s24, s11
	s_mul_i32 s30, s25, 0xfffffe40
	s_mul_i32 s31, s10, 0x1d0
	;; [unrolled: 1-line block ×3, first 2 shown]
	s_branch .LBB232_22
.LBB232_21:                             ;   in Loop: Header=BB232_22 Depth=2
	s_sub_i32 s10, s10, s25
	s_add_i32 s29, s29, s30
	s_add_i32 s31, s31, s34
	s_cmp_lt_i32 s10, s27
	s_cbranch_scc1 .LBB232_18
.LBB232_22:                             ;   Parent Loop BB232_19 Depth=1
                                        ; =>  This Loop Header: Depth=2
                                        ;       Child Loop BB232_23 Depth 3
                                        ;       Child Loop BB232_25 Depth 3
                                        ;         Child Loop BB232_26 Depth 4
                                        ;       Child Loop BB232_30 Depth 3
                                        ;         Child Loop BB232_32 Depth 4
	s_ashr_i32 s11, s10, 31
	s_lshl_b64 s[16:17], s[10:11], 4
	v_mov_b32_e32 v1, s17
	v_add_co_u32_e32 v0, vcc, s16, v8
	v_addc_co_u32_e32 v1, vcc, v9, v1, vcc
	v_mov_b32_e32 v2, 0
	s_mov_b32 s16, s28
.LBB232_23:                             ;   Parent Loop BB232_19 Depth=1
                                        ;     Parent Loop BB232_22 Depth=2
                                        ; =>    This Inner Loop Header: Depth=3
	global_load_dwordx4 v[12:15], v[0:1], off offset:-8
	s_add_i32 s16, s16, -1
	v_add_co_u32_e32 v0, vcc, -16, v0
	v_addc_co_u32_e32 v1, vcc, -1, v1, vcc
	s_cmp_eq_u32 s16, 0
	s_waitcnt vmcnt(0)
	v_mul_f64 v[16:17], s[14:15], v[14:15]
	v_mul_f64 v[14:15], s[12:13], v[14:15]
	v_fma_f64 v[16:17], s[12:13], v[12:13], -v[16:17]
	v_fmac_f64_e32 v[14:15], s[14:15], v[12:13]
	buffer_store_dword v17, v2, s[0:3], 0 offen offset:4
	buffer_store_dword v16, v2, s[0:3], 0 offen
	buffer_store_dword v15, v2, s[0:3], 0 offen offset:12
	buffer_store_dword v14, v2, s[0:3], 0 offen offset:8
	v_add_u32_e32 v2, 16, v2
	s_cbranch_scc0 .LBB232_23
; %bb.24:                               ;   in Loop: Header=BB232_22 Depth=2
	s_cmp_le_i32 s33, s10
	s_mov_b32 s18, s29
	s_mov_b32 s16, s33
	s_cbranch_scc1 .LBB232_28
.LBB232_25:                             ;   Parent Loop BB232_19 Depth=1
                                        ;     Parent Loop BB232_22 Depth=2
                                        ; =>    This Loop Header: Depth=3
                                        ;         Child Loop BB232_26 Depth 4
	s_ashr_i32 s17, s16, 31
	s_lshl_b64 s[20:21], s[16:17], 4
	v_mov_b32_e32 v1, s21
	v_add_co_u32_e32 v0, vcc, s20, v6
	v_addc_co_u32_e32 v1, vcc, v7, v1, vcc
	global_load_dwordx4 v[0:3], v[0:1], off
	v_mov_b32_e32 v11, 0
	s_mov_b32 s17, s18
	s_mov_b32 s19, s28
.LBB232_26:                             ;   Parent Loop BB232_19 Depth=1
                                        ;     Parent Loop BB232_22 Depth=2
                                        ;       Parent Loop BB232_25 Depth=3
                                        ; =>      This Inner Loop Header: Depth=4
	buffer_load_dword v16, v11, s[0:3], 0 offen
	buffer_load_dword v17, v11, s[0:3], 0 offen offset:4
	buffer_load_dword v18, v11, s[0:3], 0 offen offset:8
	;; [unrolled: 1-line block ×3, first 2 shown]
	v_mov_b32_e32 v12, s17
	ds_read_b128 v[12:15], v12
	s_add_i32 s19, s19, -1
	s_addk_i32 s17, 0xfe40
	s_cmp_eq_u32 s19, 0
	s_waitcnt vmcnt(4) lgkmcnt(0)
	v_mul_f64 v[20:21], v[2:3], v[14:15]
	v_mul_f64 v[14:15], v[0:1], v[14:15]
	v_fma_f64 v[20:21], v[0:1], v[12:13], -v[20:21]
	v_fmac_f64_e32 v[14:15], v[2:3], v[12:13]
	s_waitcnt vmcnt(2)
	v_add_f64 v[12:13], v[16:17], -v[20:21]
	s_waitcnt vmcnt(0)
	v_add_f64 v[14:15], v[18:19], -v[14:15]
	buffer_store_dword v12, v11, s[0:3], 0 offen
	buffer_store_dword v13, v11, s[0:3], 0 offen offset:4
	buffer_store_dword v14, v11, s[0:3], 0 offen offset:8
	buffer_store_dword v15, v11, s[0:3], 0 offen offset:12
	v_add_u32_e32 v11, 16, v11
	s_cbranch_scc0 .LBB232_26
; %bb.27:                               ;   in Loop: Header=BB232_25 Depth=3
	s_add_i32 s16, s16, -1
	s_add_i32 s18, s18, -16
	s_cmp_le_i32 s16, s10
	s_cbranch_scc0 .LBB232_25
.LBB232_28:                             ;   in Loop: Header=BB232_22 Depth=2
	s_mov_b32 s35, 0
	s_mov_b32 s36, s31
	s_branch .LBB232_30
.LBB232_29:                             ;   in Loop: Header=BB232_30 Depth=3
	s_mulk_i32 s18, 0x1d0
	v_mov_b32_e32 v11, s18
	ds_read_b128 v[12:15], v11
	s_lshl_b64 s[16:17], s[16:17], 4
	s_lshl_b32 s18, s35, 4
	s_add_i32 s35, s35, 1
	s_addk_i32 s36, 0xfe40
	s_waitcnt vmcnt(0) lgkmcnt(0)
	v_mul_f64 v[16:17], v[14:15], v[2:3]
	v_mul_f64 v[18:19], v[12:13], v[2:3]
	v_fma_f64 v[16:17], v[12:13], v[0:1], -v[16:17]
	v_fmac_f64_e32 v[18:19], v[14:15], v[0:1]
	v_mov_b32_e32 v1, s17
	v_add_co_u32_e32 v0, vcc, s16, v6
	v_add_u32_e32 v11, s18, v10
	v_addc_co_u32_e32 v1, vcc, v7, v1, vcc
	s_cmp_eq_u32 s35, s28
	buffer_store_dword v17, v11, s[0:3], 0 offen offset:4
	buffer_store_dword v16, v11, s[0:3], 0 offen
	buffer_store_dword v19, v11, s[0:3], 0 offen offset:12
	buffer_store_dword v18, v11, s[0:3], 0 offen offset:8
	global_store_dwordx4 v[0:1], v[16:19], off
	s_cbranch_scc1 .LBB232_21
.LBB232_30:                             ;   Parent Loop BB232_19 Depth=1
                                        ;     Parent Loop BB232_22 Depth=2
                                        ; =>    This Loop Header: Depth=3
                                        ;         Child Loop BB232_32 Depth 4
	s_cmp_lg_u32 s35, 0
	s_cbranch_scc0 .LBB232_34
; %bb.31:                               ;   in Loop: Header=BB232_30 Depth=3
	s_lshl_b32 s16, s35, 4
	v_add_u32_e32 v11, s16, v10
	buffer_load_dword v0, v11, s[0:3], 0 offen
	buffer_load_dword v1, v11, s[0:3], 0 offen offset:4
	buffer_load_dword v2, v11, s[0:3], 0 offen offset:8
	;; [unrolled: 1-line block ×3, first 2 shown]
	v_mov_b32_e32 v12, 0
	s_mov_b32 s16, 0
	s_mov_b32 s17, s36
.LBB232_32:                             ;   Parent Loop BB232_19 Depth=1
                                        ;     Parent Loop BB232_22 Depth=2
                                        ;       Parent Loop BB232_30 Depth=3
                                        ; =>      This Inner Loop Header: Depth=4
	buffer_load_dword v18, v12, s[0:3], 0 offen offset:8
	buffer_load_dword v19, v12, s[0:3], 0 offen offset:12
	buffer_load_dword v20, v12, s[0:3], 0 offen
	buffer_load_dword v21, v12, s[0:3], 0 offen offset:4
	v_mov_b32_e32 v13, s17
	ds_read_b128 v[14:17], v13
	s_add_i32 s16, s16, 1
	s_add_i32 s17, s17, -16
	v_add_u32_e32 v12, 16, v12
	s_cmp_ge_u32 s16, s35
	s_waitcnt vmcnt(2) lgkmcnt(0)
	v_mul_f64 v[22:23], v[16:17], v[18:19]
	v_mul_f64 v[18:19], v[14:15], v[18:19]
	s_waitcnt vmcnt(0)
	v_fma_f64 v[14:15], v[14:15], v[20:21], -v[22:23]
	v_fmac_f64_e32 v[18:19], v[16:17], v[20:21]
	v_add_f64 v[0:1], v[0:1], -v[14:15]
	v_add_f64 v[2:3], v[2:3], -v[18:19]
	buffer_store_dword v0, v11, s[0:3], 0 offen
	buffer_store_dword v1, v11, s[0:3], 0 offen offset:4
	buffer_store_dword v2, v11, s[0:3], 0 offen offset:8
	buffer_store_dword v3, v11, s[0:3], 0 offen offset:12
	s_cbranch_scc0 .LBB232_32
; %bb.33:                               ;   in Loop: Header=BB232_30 Depth=3
	s_sub_i32 s18, s10, s35
	s_ashr_i32 s19, s18, 31
	s_mov_b64 s[16:17], s[18:19]
	s_branch .LBB232_29
.LBB232_34:                             ;   in Loop: Header=BB232_30 Depth=3
                                        ; implicit-def: $vgpr0_vgpr1
                                        ; implicit-def: $vgpr2_vgpr3
                                        ; implicit-def: $sgpr18
                                        ; implicit-def: $sgpr16_sgpr17
	s_cbranch_execz .LBB232_29
; %bb.35:                               ;   in Loop: Header=BB232_30 Depth=3
	buffer_load_dword v0, off, s[0:3], 0
	buffer_load_dword v1, off, s[0:3], 0 offset:4
	buffer_load_dword v2, off, s[0:3], 0 offset:8
	;; [unrolled: 1-line block ×3, first 2 shown]
	s_mov_b64 s[16:17], s[10:11]
	s_mov_b32 s18, s10
	s_branch .LBB232_29
.LBB232_36:
	s_mov_b64 s[8:9], 0
.LBB232_37:
	s_and_b64 vcc, exec, s[8:9]
	s_cbranch_vccz .LBB232_58
; %bb.38:
	s_add_u32 s6, s22, s6
	s_addc_u32 s7, s23, s7
	s_add_u32 s4, s6, s4
	s_addc_u32 s5, s7, s5
	v_mov_b32_e32 v0, s5
	v_add_co_u32_e32 v1, vcc, s4, v4
	v_addc_co_u32_e32 v0, vcc, v0, v5, vcc
	v_add_co_u32_e32 v8, vcc, 8, v1
	s_mov_b32 s5, 0
	v_addc_co_u32_e32 v9, vcc, 0, v0, vcc
	v_mov_b32_e32 v10, 0
	s_mov_b32 s6, s5
	s_mov_b32 s8, s5
	s_branch .LBB232_40
.LBB232_39:                             ;   in Loop: Header=BB232_40 Depth=1
	s_cmp_ge_i32 s6, s26
	s_cselect_b64 s[10:11], -1, 0
	s_add_i32 s8, s8, 1
	s_cmp_eq_u32 s8, 3
	s_cselect_b64 s[16:17], -1, 0
	s_or_b64 s[10:11], s[10:11], s[16:17]
	s_and_b64 vcc, exec, s[10:11]
	s_cbranch_vccnz .LBB232_58
.LBB232_40:                             ; =>This Loop Header: Depth=1
                                        ;     Child Loop BB232_43 Depth 2
                                        ;       Child Loop BB232_44 Depth 3
                                        ;       Child Loop BB232_47 Depth 3
                                        ;         Child Loop BB232_48 Depth 4
                                        ;       Child Loop BB232_52 Depth 3
                                        ;         Child Loop BB232_54 Depth 4
	s_mov_b32 s9, s5
	s_lshl_b64 s[10:11], s[8:9], 2
	s_getpc_b64 s[16:17]
	s_add_u32 s16, s16, __const._ZL30rocblas_trsm_small_left_deviceILi28ELi28ELb1E19rocblas_complex_numIdES1_PKS1_PS1_Ev13rocblas_fill_18rocblas_operation_17rocblas_diagonal_iiT3_T4_lilT5_lili.step_sizes@rel32@lo+4
	s_addc_u32 s17, s17, __const._ZL30rocblas_trsm_small_left_deviceILi28ELi28ELb1E19rocblas_complex_numIdES1_PKS1_PS1_Ev13rocblas_fill_18rocblas_operation_17rocblas_diagonal_iiT3_T4_lilT5_lili.step_sizes@rel32@hi+12
	s_add_u32 s10, s10, s16
	s_addc_u32 s11, s11, s17
	s_load_dword s10, s[10:11], 0x0
	s_waitcnt lgkmcnt(0)
	s_add_i32 s9, s10, -1
	s_add_i32 s4, s9, s6
	s_cmp_ge_i32 s4, s26
	s_cbranch_scc1 .LBB232_39
; %bb.41:                               ;   in Loop: Header=BB232_40 Depth=1
	s_ashr_i32 s7, s6, 31
	s_lshl_b64 s[16:17], s[6:7], 4
	s_ashr_i32 s11, s10, 31
	v_mov_b32_e32 v0, s17
	v_add_co_u32_e32 v4, vcc, s16, v8
	s_lshl_b64 s[16:17], s[10:11], 4
	s_max_i32 s22, s10, 1
	v_addc_co_u32_e32 v5, vcc, v9, v0, vcc
	s_lshl_b32 s7, s6, 4
	s_lshl_b32 s11, s10, 4
	s_mul_i32 s23, s6, 0x1d0
	s_mul_i32 s24, s10, 0x1d0
	v_mov_b32_e32 v11, s17
	s_branch .LBB232_43
.LBB232_42:                             ;   in Loop: Header=BB232_43 Depth=2
	s_add_i32 s6, s6, s10
	s_add_i32 s4, s9, s6
	;; [unrolled: 1-line block ×4, first 2 shown]
	v_add_co_u32_e32 v4, vcc, s16, v4
	s_cmp_ge_i32 s4, s26
	v_addc_co_u32_e32 v5, vcc, v5, v11, vcc
	s_cbranch_scc1 .LBB232_39
.LBB232_43:                             ;   Parent Loop BB232_40 Depth=1
                                        ; =>  This Loop Header: Depth=2
                                        ;       Child Loop BB232_44 Depth 3
                                        ;       Child Loop BB232_47 Depth 3
                                        ;         Child Loop BB232_48 Depth 4
                                        ;       Child Loop BB232_52 Depth 3
                                        ;         Child Loop BB232_54 Depth 4
	v_mov_b32_e32 v2, 0
	v_pk_mov_b32 v[0:1], v[4:5], v[4:5] op_sel:[0,1]
	s_mov_b32 s4, s22
.LBB232_44:                             ;   Parent Loop BB232_40 Depth=1
                                        ;     Parent Loop BB232_43 Depth=2
                                        ; =>    This Inner Loop Header: Depth=3
	global_load_dwordx4 v[12:15], v[0:1], off offset:-8
	s_add_i32 s4, s4, -1
	v_add_co_u32_e32 v0, vcc, 16, v0
	v_addc_co_u32_e32 v1, vcc, 0, v1, vcc
	s_cmp_eq_u32 s4, 0
	s_waitcnt vmcnt(0)
	v_mul_f64 v[16:17], s[14:15], v[14:15]
	v_mul_f64 v[14:15], s[12:13], v[14:15]
	v_fma_f64 v[16:17], s[12:13], v[12:13], -v[16:17]
	v_fmac_f64_e32 v[14:15], s[14:15], v[12:13]
	buffer_store_dword v17, v2, s[0:3], 0 offen offset:4
	buffer_store_dword v16, v2, s[0:3], 0 offen
	buffer_store_dword v15, v2, s[0:3], 0 offen offset:12
	buffer_store_dword v14, v2, s[0:3], 0 offen offset:8
	v_add_u32_e32 v2, 16, v2
	s_cbranch_scc0 .LBB232_44
; %bb.45:                               ;   in Loop: Header=BB232_43 Depth=2
	s_cmp_lt_i32 s6, 1
	s_cbranch_scc1 .LBB232_50
; %bb.46:                               ;   in Loop: Header=BB232_43 Depth=2
	s_mov_b32 s4, 0
	s_mov_b32 s17, s7
.LBB232_47:                             ;   Parent Loop BB232_40 Depth=1
                                        ;     Parent Loop BB232_43 Depth=2
                                        ; =>    This Loop Header: Depth=3
                                        ;         Child Loop BB232_48 Depth 4
	s_lshl_b64 s[18:19], s[4:5], 4
	v_mov_b32_e32 v1, s19
	v_add_co_u32_e32 v0, vcc, s18, v6
	v_addc_co_u32_e32 v1, vcc, v7, v1, vcc
	global_load_dwordx4 v[0:3], v[0:1], off
	v_mov_b32_e32 v12, 0
	s_mov_b32 s18, s17
	s_mov_b32 s19, s22
.LBB232_48:                             ;   Parent Loop BB232_40 Depth=1
                                        ;     Parent Loop BB232_43 Depth=2
                                        ;       Parent Loop BB232_47 Depth=3
                                        ; =>      This Inner Loop Header: Depth=4
	buffer_load_dword v18, v12, s[0:3], 0 offen
	buffer_load_dword v19, v12, s[0:3], 0 offen offset:4
	buffer_load_dword v20, v12, s[0:3], 0 offen offset:8
	;; [unrolled: 1-line block ×3, first 2 shown]
	v_mov_b32_e32 v13, s18
	ds_read_b128 v[14:17], v13
	s_add_i32 s19, s19, -1
	s_add_i32 s18, s18, 16
	s_cmp_eq_u32 s19, 0
	s_waitcnt vmcnt(4) lgkmcnt(0)
	v_mul_f64 v[22:23], v[2:3], v[16:17]
	v_mul_f64 v[16:17], v[0:1], v[16:17]
	v_fma_f64 v[22:23], v[0:1], v[14:15], -v[22:23]
	v_fmac_f64_e32 v[16:17], v[2:3], v[14:15]
	s_waitcnt vmcnt(2)
	v_add_f64 v[14:15], v[18:19], -v[22:23]
	s_waitcnt vmcnt(0)
	v_add_f64 v[16:17], v[20:21], -v[16:17]
	buffer_store_dword v14, v12, s[0:3], 0 offen
	buffer_store_dword v15, v12, s[0:3], 0 offen offset:4
	buffer_store_dword v16, v12, s[0:3], 0 offen offset:8
	;; [unrolled: 1-line block ×3, first 2 shown]
	v_add_u32_e32 v12, 16, v12
	s_cbranch_scc0 .LBB232_48
; %bb.49:                               ;   in Loop: Header=BB232_47 Depth=3
	s_add_i32 s4, s4, 1
	s_addk_i32 s17, 0x1c0
	s_cmp_ge_i32 s4, s6
	s_cbranch_scc0 .LBB232_47
.LBB232_50:                             ;   in Loop: Header=BB232_43 Depth=2
	s_mov_b32 s4, 0
	s_mov_b32 s17, s23
	s_branch .LBB232_52
.LBB232_51:                             ;   in Loop: Header=BB232_52 Depth=3
	s_mul_i32 s19, s18, 0x1d0
	v_mov_b32_e32 v12, s19
	ds_read_b128 v[12:15], v12
	s_lshl_b32 s19, s4, 4
	v_add_u32_e32 v20, s19, v10
	s_ashr_i32 s19, s18, 31
	s_lshl_b64 s[18:19], s[18:19], 4
	s_waitcnt vmcnt(0) lgkmcnt(0)
	v_mul_f64 v[16:17], v[14:15], v[2:3]
	v_mul_f64 v[18:19], v[12:13], v[2:3]
	v_fma_f64 v[16:17], v[12:13], v[0:1], -v[16:17]
	v_fmac_f64_e32 v[18:19], v[14:15], v[0:1]
	v_mov_b32_e32 v1, s19
	v_add_co_u32_e32 v0, vcc, s18, v6
	s_add_i32 s4, s4, 1
	s_add_i32 s17, s17, 16
	v_addc_co_u32_e32 v1, vcc, v7, v1, vcc
	s_cmp_eq_u32 s4, s22
	buffer_store_dword v17, v20, s[0:3], 0 offen offset:4
	buffer_store_dword v16, v20, s[0:3], 0 offen
	buffer_store_dword v19, v20, s[0:3], 0 offen offset:12
	buffer_store_dword v18, v20, s[0:3], 0 offen offset:8
	global_store_dwordx4 v[0:1], v[16:19], off
	s_cbranch_scc1 .LBB232_42
.LBB232_52:                             ;   Parent Loop BB232_40 Depth=1
                                        ;     Parent Loop BB232_43 Depth=2
                                        ; =>    This Loop Header: Depth=3
                                        ;         Child Loop BB232_54 Depth 4
	s_cmp_lg_u32 s4, 0
	s_cbranch_scc0 .LBB232_56
; %bb.53:                               ;   in Loop: Header=BB232_52 Depth=3
	s_lshl_b32 s18, s4, 4
	v_add_u32_e32 v12, s18, v10
	buffer_load_dword v0, v12, s[0:3], 0 offen
	buffer_load_dword v1, v12, s[0:3], 0 offen offset:4
	buffer_load_dword v2, v12, s[0:3], 0 offen offset:8
	buffer_load_dword v3, v12, s[0:3], 0 offen offset:12
	s_add_i32 s18, s4, s6
	v_mov_b32_e32 v13, 0
	s_mov_b32 s19, 0
	s_mov_b32 s20, s17
.LBB232_54:                             ;   Parent Loop BB232_40 Depth=1
                                        ;     Parent Loop BB232_43 Depth=2
                                        ;       Parent Loop BB232_52 Depth=3
                                        ; =>      This Inner Loop Header: Depth=4
	buffer_load_dword v18, v13, s[0:3], 0 offen offset:8
	buffer_load_dword v19, v13, s[0:3], 0 offen offset:12
	buffer_load_dword v20, v13, s[0:3], 0 offen
	buffer_load_dword v21, v13, s[0:3], 0 offen offset:4
	v_mov_b32_e32 v14, s20
	ds_read_b128 v[14:17], v14
	s_add_i32 s19, s19, 1
	s_addk_i32 s20, 0x1c0
	v_add_u32_e32 v13, 16, v13
	s_cmp_ge_u32 s19, s4
	s_waitcnt vmcnt(2) lgkmcnt(0)
	v_mul_f64 v[22:23], v[16:17], v[18:19]
	v_mul_f64 v[18:19], v[14:15], v[18:19]
	s_waitcnt vmcnt(0)
	v_fma_f64 v[14:15], v[14:15], v[20:21], -v[22:23]
	v_fmac_f64_e32 v[18:19], v[16:17], v[20:21]
	v_add_f64 v[0:1], v[0:1], -v[14:15]
	v_add_f64 v[2:3], v[2:3], -v[18:19]
	buffer_store_dword v0, v12, s[0:3], 0 offen
	buffer_store_dword v1, v12, s[0:3], 0 offen offset:4
	buffer_store_dword v2, v12, s[0:3], 0 offen offset:8
	;; [unrolled: 1-line block ×3, first 2 shown]
	s_cbranch_scc0 .LBB232_54
; %bb.55:                               ;   in Loop: Header=BB232_52 Depth=3
	s_branch .LBB232_51
.LBB232_56:                             ;   in Loop: Header=BB232_52 Depth=3
                                        ; implicit-def: $vgpr0_vgpr1
                                        ; implicit-def: $vgpr2_vgpr3
                                        ; implicit-def: $sgpr18
	s_cbranch_execz .LBB232_51
; %bb.57:                               ;   in Loop: Header=BB232_52 Depth=3
	buffer_load_dword v0, off, s[0:3], 0
	buffer_load_dword v1, off, s[0:3], 0 offset:4
	buffer_load_dword v2, off, s[0:3], 0 offset:8
	;; [unrolled: 1-line block ×3, first 2 shown]
	s_mov_b32 s18, s6
	s_branch .LBB232_51
.LBB232_58:
	s_endpgm
	.section	.rodata,"a",@progbits
	.p2align	6, 0x0
	.amdhsa_kernel _ZL30rocblas_trsm_small_left_deviceILi28ELi28ELb1E19rocblas_complex_numIdES1_PKS1_PS1_Ev13rocblas_fill_18rocblas_operation_17rocblas_diagonal_iiT3_T4_lilT5_lili
		.amdhsa_group_segment_fixed_size 12544
		.amdhsa_private_segment_fixed_size 464
		.amdhsa_kernarg_size 368
		.amdhsa_user_sgpr_count 8
		.amdhsa_user_sgpr_private_segment_buffer 1
		.amdhsa_user_sgpr_dispatch_ptr 0
		.amdhsa_user_sgpr_queue_ptr 0
		.amdhsa_user_sgpr_kernarg_segment_ptr 1
		.amdhsa_user_sgpr_dispatch_id 0
		.amdhsa_user_sgpr_flat_scratch_init 1
		.amdhsa_user_sgpr_kernarg_preload_length 0
		.amdhsa_user_sgpr_kernarg_preload_offset 0
		.amdhsa_user_sgpr_private_segment_size 0
		.amdhsa_uses_dynamic_stack 0
		.amdhsa_system_sgpr_private_segment_wavefront_offset 1
		.amdhsa_system_sgpr_workgroup_id_x 1
		.amdhsa_system_sgpr_workgroup_id_y 0
		.amdhsa_system_sgpr_workgroup_id_z 1
		.amdhsa_system_sgpr_workgroup_info 0
		.amdhsa_system_vgpr_workitem_id 0
		.amdhsa_next_free_vgpr 24
		.amdhsa_next_free_sgpr 42
		.amdhsa_accum_offset 24
		.amdhsa_reserve_vcc 1
		.amdhsa_reserve_flat_scratch 0
		.amdhsa_float_round_mode_32 0
		.amdhsa_float_round_mode_16_64 0
		.amdhsa_float_denorm_mode_32 3
		.amdhsa_float_denorm_mode_16_64 3
		.amdhsa_dx10_clamp 1
		.amdhsa_ieee_mode 1
		.amdhsa_fp16_overflow 0
		.amdhsa_tg_split 0
		.amdhsa_exception_fp_ieee_invalid_op 0
		.amdhsa_exception_fp_denorm_src 0
		.amdhsa_exception_fp_ieee_div_zero 0
		.amdhsa_exception_fp_ieee_overflow 0
		.amdhsa_exception_fp_ieee_underflow 0
		.amdhsa_exception_fp_ieee_inexact 0
		.amdhsa_exception_int_div_zero 0
	.end_amdhsa_kernel
	.section	.text._ZL30rocblas_trsm_small_left_deviceILi28ELi28ELb1E19rocblas_complex_numIdES1_PKS1_PS1_Ev13rocblas_fill_18rocblas_operation_17rocblas_diagonal_iiT3_T4_lilT5_lili,"axG",@progbits,_ZL30rocblas_trsm_small_left_deviceILi28ELi28ELb1E19rocblas_complex_numIdES1_PKS1_PS1_Ev13rocblas_fill_18rocblas_operation_17rocblas_diagonal_iiT3_T4_lilT5_lili,comdat
.Lfunc_end232:
	.size	_ZL30rocblas_trsm_small_left_deviceILi28ELi28ELb1E19rocblas_complex_numIdES1_PKS1_PS1_Ev13rocblas_fill_18rocblas_operation_17rocblas_diagonal_iiT3_T4_lilT5_lili, .Lfunc_end232-_ZL30rocblas_trsm_small_left_deviceILi28ELi28ELb1E19rocblas_complex_numIdES1_PKS1_PS1_Ev13rocblas_fill_18rocblas_operation_17rocblas_diagonal_iiT3_T4_lilT5_lili
                                        ; -- End function
	.section	.AMDGPU.csdata,"",@progbits
; Kernel info:
; codeLenInByte = 3276
; NumSgprs: 46
; NumVgprs: 24
; NumAgprs: 0
; TotalNumVgprs: 24
; ScratchSize: 464
; MemoryBound: 0
; FloatMode: 240
; IeeeMode: 1
; LDSByteSize: 12544 bytes/workgroup (compile time only)
; SGPRBlocks: 5
; VGPRBlocks: 2
; NumSGPRsForWavesPerEU: 46
; NumVGPRsForWavesPerEU: 24
; AccumOffset: 24
; Occupancy: 2
; WaveLimiterHint : 0
; COMPUTE_PGM_RSRC2:SCRATCH_EN: 1
; COMPUTE_PGM_RSRC2:USER_SGPR: 8
; COMPUTE_PGM_RSRC2:TRAP_HANDLER: 0
; COMPUTE_PGM_RSRC2:TGID_X_EN: 1
; COMPUTE_PGM_RSRC2:TGID_Y_EN: 0
; COMPUTE_PGM_RSRC2:TGID_Z_EN: 1
; COMPUTE_PGM_RSRC2:TIDIG_COMP_CNT: 0
; COMPUTE_PGM_RSRC3_GFX90A:ACCUM_OFFSET: 5
; COMPUTE_PGM_RSRC3_GFX90A:TG_SPLIT: 0
	.section	.text._ZL31rocblas_trsm_small_right_deviceI19rocblas_complex_numIdES1_PKS1_PS1_Li28EEv13rocblas_fill_18rocblas_operation_17rocblas_diagonal_iiT0_T1_lilT2_lili,"axG",@progbits,_ZL31rocblas_trsm_small_right_deviceI19rocblas_complex_numIdES1_PKS1_PS1_Li28EEv13rocblas_fill_18rocblas_operation_17rocblas_diagonal_iiT0_T1_lilT2_lili,comdat
	.globl	_ZL31rocblas_trsm_small_right_deviceI19rocblas_complex_numIdES1_PKS1_PS1_Li28EEv13rocblas_fill_18rocblas_operation_17rocblas_diagonal_iiT0_T1_lilT2_lili ; -- Begin function _ZL31rocblas_trsm_small_right_deviceI19rocblas_complex_numIdES1_PKS1_PS1_Li28EEv13rocblas_fill_18rocblas_operation_17rocblas_diagonal_iiT0_T1_lilT2_lili
	.p2align	8
	.type	_ZL31rocblas_trsm_small_right_deviceI19rocblas_complex_numIdES1_PKS1_PS1_Li28EEv13rocblas_fill_18rocblas_operation_17rocblas_diagonal_iiT0_T1_lilT2_lili,@function
_ZL31rocblas_trsm_small_right_deviceI19rocblas_complex_numIdES1_PKS1_PS1_Li28EEv13rocblas_fill_18rocblas_operation_17rocblas_diagonal_iiT0_T1_lilT2_lili: ; @_ZL31rocblas_trsm_small_right_deviceI19rocblas_complex_numIdES1_PKS1_PS1_Li28EEv13rocblas_fill_18rocblas_operation_17rocblas_diagonal_iiT0_T1_lilT2_lili
; %bb.0:
	s_load_dwordx4 s[16:19], s[4:5], 0x0
	s_load_dword s33, s[4:5], 0x10
	s_load_dwordx8 s[8:15], s[4:5], 0x18
	s_load_dwordx2 s[20:21], s[4:5], 0x50
	s_load_dwordx4 s[0:3], s[4:5], 0x40
	s_mov_b32 s36, 0
	s_waitcnt lgkmcnt(0)
	s_min_i32 s34, s33, 28
	s_add_i32 s35, s34, -1
	v_cmp_gt_i32_e32 vcc, s34, v0
	s_and_saveexec_b64 s[22:23], vcc
	s_cbranch_execz .LBB233_9
; %bb.1:
	s_load_dword s24, s[4:5], 0x38
	s_mul_i32 s37, s1, s7
	s_mul_hi_u32 s38, s0, s7
	s_mul_i32 s26, s0, s7
	s_waitcnt lgkmcnt(0)
	s_ashr_i32 s25, s24, 31
	s_cmpk_eq_i32 s17, 0x71
	s_cselect_b64 vcc, -1, 0
	s_cmp_lt_u32 s35, 3
	s_cbranch_scc1 .LBB233_4
; %bb.2:
	s_add_i32 s27, s38, s37
	s_and_b32 s36, s34, -4
	s_lshl_b64 s[0:1], s[26:27], 4
	s_lshl_b64 s[28:29], s[14:15], 4
	s_add_u32 s0, s0, s28
	s_addc_u32 s1, s1, s29
	s_add_u32 s0, s12, s0
	v_lshlrev_b32_e32 v2, 4, v0
	s_addc_u32 s1, s13, s1
	v_mov_b32_e32 v3, s1
	v_add_co_u32_e64 v2, s[0:1], s0, v2
	v_addc_co_u32_e64 v3, s[0:1], 0, v3, s[0:1]
	v_add_co_u32_e64 v2, s[0:1], 8, v2
	s_lshl_b64 s[28:29], s[24:25], 6
	s_lshl_b64 s[30:31], s[24:25], 4
	v_lshlrev_b32_e32 v1, 4, v0
	v_addc_co_u32_e64 v3, s[0:1], 0, v3, s[0:1]
	s_mov_b32 s27, 0
	v_mov_b32_e32 v4, s31
	v_mov_b32_e32 v5, s29
.LBB233_3:                              ; =>This Inner Loop Header: Depth=1
	v_add_co_u32_e64 v18, s[0:1], s30, v2
	v_addc_co_u32_e64 v19, s[0:1], v3, v4, s[0:1]
	v_add_co_u32_e64 v20, s[0:1], s30, v18
	global_load_dwordx4 v[6:9], v[2:3], off offset:-8
	v_addc_co_u32_e64 v21, s[0:1], v19, v4, s[0:1]
	global_load_dwordx4 v[10:13], v[18:19], off offset:-8
	global_load_dwordx4 v[14:17], v[20:21], off offset:-8
	v_add_co_u32_e64 v18, s[0:1], s30, v20
	v_addc_co_u32_e64 v19, s[0:1], v21, v4, s[0:1]
	global_load_dwordx4 v[18:21], v[18:19], off offset:-8
	s_add_i32 s27, s27, 4
	v_add_co_u32_e64 v2, s[0:1], s28, v2
	s_cmp_eq_u32 s36, s27
	v_addc_co_u32_e64 v3, s[0:1], v3, v5, s[0:1]
	s_waitcnt vmcnt(3)
	v_xor_b32_e32 v22, 0x80000000, v9
	v_cndmask_b32_e32 v9, v9, v22, vcc
	ds_write_b128 v1, v[6:9]
	s_waitcnt vmcnt(1)
	v_xor_b32_e32 v6, 0x80000000, v17
	v_xor_b32_e32 v22, 0x80000000, v13
	v_cndmask_b32_e32 v17, v17, v6, vcc
	v_cndmask_b32_e32 v13, v13, v22, vcc
	ds_write_b128 v1, v[10:13] offset:448
	s_waitcnt vmcnt(0)
	v_xor_b32_e32 v6, 0x80000000, v21
	v_cndmask_b32_e32 v21, v21, v6, vcc
	ds_write_b128 v1, v[14:17] offset:896
	ds_write_b128 v1, v[18:21] offset:1344
	v_add_u32_e32 v1, 0x700, v1
	s_cbranch_scc0 .LBB233_3
.LBB233_4:
	s_and_b32 s28, s34, 3
	s_cmp_eq_u32 s28, 0
	s_cbranch_scc1 .LBB233_7
; %bb.5:
	s_mul_i32 s0, s36, 0x1c0
	s_add_i32 s27, s38, s37
	v_lshl_add_u32 v1, v0, 4, s0
	s_lshl_b64 s[0:1], s[26:27], 4
	s_mul_i32 s26, s25, s36
	s_mul_hi_u32 s27, s24, s36
	s_add_i32 s27, s27, s26
	s_mul_i32 s26, s24, s36
	s_lshl_b64 s[26:27], s[26:27], 4
	s_add_u32 s26, s0, s26
	s_addc_u32 s27, s1, s27
	s_lshl_b64 s[0:1], s[14:15], 4
	s_add_u32 s0, s26, s0
	s_addc_u32 s1, s27, s1
	s_add_u32 s0, s12, s0
	v_lshlrev_b32_e32 v2, 4, v0
	s_addc_u32 s1, s13, s1
	v_mov_b32_e32 v3, s1
	v_add_co_u32_e64 v2, s[0:1], s0, v2
	v_addc_co_u32_e64 v3, s[0:1], 0, v3, s[0:1]
	v_add_co_u32_e64 v2, s[0:1], 8, v2
	s_lshl_b64 s[12:13], s[24:25], 4
	v_addc_co_u32_e64 v3, s[0:1], 0, v3, s[0:1]
	v_mov_b32_e32 v4, s13
.LBB233_6:                              ; =>This Inner Loop Header: Depth=1
	global_load_dwordx4 v[6:9], v[2:3], off offset:-8
	v_add_co_u32_e64 v2, s[0:1], s12, v2
	s_add_i32 s28, s28, -1
	v_addc_co_u32_e64 v3, s[0:1], v3, v4, s[0:1]
	s_cmp_lg_u32 s28, 0
	s_waitcnt vmcnt(0)
	v_xor_b32_e32 v5, 0x80000000, v9
	v_cndmask_b32_e32 v9, v9, v5, vcc
	ds_write_b128 v1, v[6:9]
	v_add_u32_e32 v1, 0x1c0, v1
	s_cbranch_scc1 .LBB233_6
.LBB233_7:
	s_cmpk_eq_i32 s18, 0x84
	s_cbranch_scc0 .LBB233_9
; %bb.8:
	v_mul_u32_u24_e32 v1, 29, v0
	v_mov_b32_e32 v2, 0
	v_lshlrev_b32_e32 v1, 4, v1
	v_mov_b32_e32 v3, 0x3ff00000
	v_mov_b32_e32 v4, v2
	v_mov_b32_e32 v5, v2
	ds_write_b128 v1, v[2:5]
.LBB233_9:
	s_or_b64 exec, exec, s[22:23]
	s_load_dword s1, s[4:5], 0x70
	s_load_dwordx2 s[12:13], s[4:5], 0x60
	s_load_dword s0, s[4:5], 0x58
	s_mul_i32 s15, s6, 0xffffffe4
	s_mul_i32 s23, s6, 0x1c0
	s_mul_hi_i32 s22, s6, 0x1c0
	s_waitcnt lgkmcnt(0)
	s_mul_i32 s5, s7, s13
	s_mul_hi_u32 s13, s7, s12
	s_mul_i32 s4, s7, s12
	s_add_i32 s5, s13, s5
	s_lshl_b64 s[12:13], s[4:5], 4
	s_add_u32 s7, s2, s12
	s_addc_u32 s14, s3, s13
	s_lshl_b64 s[4:5], s[20:21], 4
	s_add_u32 s7, s7, s4
	s_addc_u32 s14, s14, s5
	s_add_i32 s1, s1, -1
	s_add_i32 s15, s15, s19
	s_cmp_ge_u32 s6, s1
	s_cselect_b32 s1, s15, 28
	s_add_u32 s24, s7, s23
	s_addc_u32 s25, s14, s22
	s_cmp_gt_i32 s33, 0
	v_cmp_gt_i32_e32 vcc, s1, v0
	s_cselect_b64 s[6:7], -1, 0
	s_mov_b32 s26, 0
	s_and_b64 s[6:7], vcc, s[6:7]
	s_and_saveexec_b64 s[14:15], s[6:7]
	s_cbranch_execz .LBB233_16
; %bb.10:
	s_ashr_i32 s1, s0, 31
	s_cmp_lt_u32 s33, 4
	s_cbranch_scc1 .LBB233_13
; %bb.11:
	v_lshlrev_b32_e32 v1, 4, v0
	v_mov_b32_e32 v3, s25
	v_add_co_u32_e32 v2, vcc, s24, v1
	v_mov_b32_e32 v1, 0x3100
	s_lshl_b64 s[18:19], s[0:1], 6
	s_lshl_b64 s[20:21], s[0:1], 4
	v_addc_co_u32_e32 v3, vcc, 0, v3, vcc
	s_and_b32 s26, s33, 0x7ffffffc
	v_lshl_add_u32 v1, v0, 4, v1
	s_mov_b32 s27, 0
	v_mov_b32_e32 v4, s21
	v_mov_b32_e32 v5, s19
.LBB233_12:                             ; =>This Inner Loop Header: Depth=1
	v_add_co_u32_e32 v14, vcc, s20, v2
	v_addc_co_u32_e32 v15, vcc, v3, v4, vcc
	v_add_co_u32_e32 v18, vcc, s20, v14
	global_load_dwordx4 v[6:9], v[2:3], off
	global_load_dwordx4 v[10:13], v[14:15], off
	v_addc_co_u32_e32 v19, vcc, v15, v4, vcc
	global_load_dwordx4 v[14:17], v[18:19], off
	v_add_co_u32_e32 v18, vcc, s20, v18
	v_addc_co_u32_e32 v19, vcc, v19, v4, vcc
	global_load_dwordx4 v[18:21], v[18:19], off
	s_add_i32 s27, s27, 4
	v_add_co_u32_e32 v2, vcc, s18, v2
	s_cmp_lg_u32 s26, s27
	v_addc_co_u32_e32 v3, vcc, v3, v5, vcc
	s_waitcnt vmcnt(3)
	v_mul_f64 v[22:23], s[10:11], v[8:9]
	v_mul_f64 v[24:25], s[8:9], v[8:9]
	v_fma_f64 v[22:23], s[8:9], v[6:7], -v[22:23]
	v_fmac_f64_e32 v[24:25], s[10:11], v[6:7]
	s_waitcnt vmcnt(2)
	v_mul_f64 v[6:7], s[10:11], v[12:13]
	v_mul_f64 v[8:9], s[8:9], v[12:13]
	v_fma_f64 v[6:7], s[8:9], v[10:11], -v[6:7]
	v_fmac_f64_e32 v[8:9], s[10:11], v[10:11]
	s_waitcnt vmcnt(1)
	v_mul_f64 v[12:13], s[10:11], v[16:17]
	v_mul_f64 v[10:11], s[8:9], v[16:17]
	ds_write_b128 v1, v[6:9] offset:448
	v_fma_f64 v[8:9], s[8:9], v[14:15], -v[12:13]
	v_fmac_f64_e32 v[10:11], s[10:11], v[14:15]
	s_waitcnt vmcnt(0)
	v_mul_f64 v[6:7], s[10:11], v[20:21]
	v_mul_f64 v[12:13], s[8:9], v[20:21]
	ds_write_b128 v1, v[8:11] offset:896
	v_fma_f64 v[10:11], s[8:9], v[18:19], -v[6:7]
	v_fmac_f64_e32 v[12:13], s[10:11], v[18:19]
	ds_write_b128 v1, v[22:25]
	ds_write_b128 v1, v[10:13] offset:1344
	v_add_u32_e32 v1, 0x700, v1
	s_cbranch_scc1 .LBB233_12
.LBB233_13:
	s_and_b32 s20, s33, 3
	s_cmp_eq_u32 s20, 0
	s_cbranch_scc1 .LBB233_16
; %bb.14:
	s_mul_i32 s18, s26, 0x1c0
	v_lshl_add_u32 v1, v0, 4, s18
	s_mul_hi_i32 s19, s0, s26
	s_mul_i32 s18, s0, s26
	s_lshl_b64 s[18:19], s[18:19], 4
	s_add_u32 s18, s12, s18
	s_addc_u32 s19, s13, s19
	s_add_u32 s18, s18, s23
	s_addc_u32 s19, s19, s22
	;; [unrolled: 2-line block ×3, first 2 shown]
	s_add_u32 s18, s2, s18
	v_lshlrev_b32_e32 v2, 4, v0
	s_addc_u32 s19, s3, s19
	v_mov_b32_e32 v3, s19
	v_add_co_u32_e32 v2, vcc, s18, v2
	v_addc_co_u32_e32 v3, vcc, 0, v3, vcc
	v_add_co_u32_e32 v2, vcc, 8, v2
	s_lshl_b64 s[18:19], s[0:1], 4
	v_add_u32_e32 v1, 0x3100, v1
	v_addc_co_u32_e32 v3, vcc, 0, v3, vcc
	v_mov_b32_e32 v4, s19
.LBB233_15:                             ; =>This Inner Loop Header: Depth=1
	global_load_dwordx4 v[6:9], v[2:3], off offset:-8
	s_add_i32 s20, s20, -1
	v_add_co_u32_e32 v2, vcc, s18, v2
	v_addc_co_u32_e32 v3, vcc, v3, v4, vcc
	s_cmp_lg_u32 s20, 0
	s_waitcnt vmcnt(0)
	v_mul_f64 v[12:13], s[10:11], v[8:9]
	v_mul_f64 v[10:11], s[8:9], v[8:9]
	v_fma_f64 v[8:9], s[8:9], v[6:7], -v[12:13]
	v_fmac_f64_e32 v[10:11], s[10:11], v[6:7]
	ds_write_b128 v1, v[8:11]
	v_add_u32_e32 v1, 0x1c0, v1
	s_cbranch_scc1 .LBB233_15
.LBB233_16:
	s_or_b64 exec, exec, s[14:15]
	s_cmpk_eq_i32 s17, 0x6f
	s_cselect_b64 s[8:9], -1, 0
	s_cmpk_eq_i32 s16, 0x79
	s_cselect_b64 s[14:15], -1, 0
	s_cmpk_lg_i32 s16, 0x79
	s_cselect_b64 s[10:11], -1, 0
	s_and_b64 s[14:15], s[14:15], s[8:9]
	s_andn2_b64 vcc, exec, s[14:15]
	s_mov_b64 s[14:15], -1
	s_waitcnt lgkmcnt(0)
	; wave barrier
	s_waitcnt lgkmcnt(0)
	s_cbranch_vccz .LBB233_124
; %bb.17:
	s_cmpk_lg_i32 s16, 0x7a
	s_cselect_b64 s[16:17], -1, 0
	s_xor_b64 s[8:9], s[8:9], -1
	s_or_b64 s[16:17], s[16:17], s[8:9]
	s_cmp_gt_i32 s33, 3
	s_cselect_b64 s[8:9], -1, 0
	s_and_b64 vcc, exec, s[16:17]
	s_cbranch_vccz .LBB233_91
; %bb.18:
	s_andn2_b64 vcc, exec, s[10:11]
	s_mov_b64 s[10:11], -1
	s_cbranch_vccnz .LBB233_58
; %bb.19:
	s_andn2_b64 vcc, exec, s[8:9]
	s_mov_b32 s15, 0
	s_cbranch_vccnz .LBB233_42
; %bb.20:
	v_mov_b32_e32 v1, 0x3100
	v_lshl_add_u32 v1, v0, 4, v1
	s_mov_b32 s1, 0
	s_mov_b32 s14, 0
.LBB233_21:                             ; =>This Loop Header: Depth=1
                                        ;     Child Loop BB233_23 Depth 2
	s_mul_i32 s15, s14, 28
	v_add_lshl_u32 v14, s15, v0, 4
	s_add_i32 s16, s15, 28
	s_add_i32 s15, s15, 56
	v_add_lshl_u32 v16, s15, v0, 4
	v_add_lshl_u32 v15, s16, v0, 4
	ds_read_b128 v[18:21], v14 offset:12544
	ds_read_b128 v[10:13], v15 offset:12544
	;; [unrolled: 1-line block ×4, first 2 shown]
	s_cmp_eq_u32 s14, 0
	s_cbranch_scc1 .LBB233_24
; %bb.22:                               ;   in Loop: Header=BB233_21 Depth=1
	s_mov_b32 s10, 0
	v_mov_b32_e32 v17, v1
	s_mov_b32 s11, s1
.LBB233_23:                             ;   Parent Loop BB233_21 Depth=1
                                        ; =>  This Inner Loop Header: Depth=2
	v_mov_b32_e32 v58, s11
	ds_read_b128 v[22:25], v17
	ds_read_b128 v[26:29], v17 offset:448
	ds_read_b128 v[30:33], v58
	ds_read_b128 v[34:37], v58 offset:16
	ds_read_b128 v[38:41], v58 offset:32
	;; [unrolled: 1-line block ×7, first 2 shown]
	s_add_i32 s10, s10, 2
	s_addk_i32 s11, 0x380
	s_waitcnt lgkmcnt(7)
	v_mul_f64 v[62:63], v[24:25], v[32:33]
	v_mul_f64 v[32:33], v[22:23], v[32:33]
	s_waitcnt lgkmcnt(6)
	v_mul_f64 v[64:65], v[24:25], v[36:37]
	v_mul_f64 v[36:37], v[22:23], v[36:37]
	;; [unrolled: 3-line block ×8, first 2 shown]
	v_fma_f64 v[62:63], v[22:23], v[30:31], -v[62:63]
	v_fmac_f64_e32 v[32:33], v[24:25], v[30:31]
	v_fma_f64 v[30:31], v[22:23], v[34:35], -v[64:65]
	v_fmac_f64_e32 v[36:37], v[24:25], v[34:35]
	;; [unrolled: 2-line block ×8, first 2 shown]
	v_add_f64 v[18:19], v[18:19], -v[62:63]
	v_add_f64 v[20:21], v[20:21], -v[32:33]
	;; [unrolled: 1-line block ×8, first 2 shown]
	v_add_u32_e32 v17, 0x380, v17
	s_cmp_ge_u32 s10, s14
	v_add_f64 v[18:19], v[18:19], -v[24:25]
	v_add_f64 v[20:21], v[20:21], -v[48:49]
	;; [unrolled: 1-line block ×8, first 2 shown]
	s_cbranch_scc0 .LBB233_23
.LBB233_24:                             ;   in Loop: Header=BB233_21 Depth=1
	s_mul_i32 s17, s14, 0x1d0
	v_add_u32_e32 v28, 0x3100, v14
	v_mov_b32_e32 v14, s17
	ds_read_b128 v[22:25], v14
	v_add_u32_e32 v27, 0x3100, v15
	v_add_u32_e32 v26, 0x3100, v16
	s_waitcnt lgkmcnt(0)
	v_xor_b32_e32 v15, 0x80000000, v23
	v_cmp_gt_f64_e32 vcc, 0, v[22:23]
	v_xor_b32_e32 v16, 0x80000000, v25
	v_cndmask_b32_e32 v15, v23, v15, vcc
	v_cmp_gt_f64_e32 vcc, 0, v[24:25]
	v_mov_b32_e32 v14, v22
	v_cndmask_b32_e32 v17, v25, v16, vcc
	v_mov_b32_e32 v16, v24
	v_cmp_ngt_f64_e32 vcc, v[14:15], v[16:17]
	s_cbranch_vccz .LBB233_26
; %bb.25:                               ;   in Loop: Header=BB233_21 Depth=1
	v_div_scale_f64 v[14:15], s[10:11], v[24:25], v[24:25], v[22:23]
	v_rcp_f64_e32 v[16:17], v[14:15]
	v_div_scale_f64 v[30:31], vcc, v[22:23], v[24:25], v[22:23]
	v_fma_f64 v[32:33], -v[14:15], v[16:17], 1.0
	v_fmac_f64_e32 v[16:17], v[16:17], v[32:33]
	v_fma_f64 v[32:33], -v[14:15], v[16:17], 1.0
	v_fmac_f64_e32 v[16:17], v[16:17], v[32:33]
	v_mul_f64 v[32:33], v[30:31], v[16:17]
	v_fma_f64 v[14:15], -v[14:15], v[32:33], v[30:31]
	v_div_fmas_f64 v[14:15], v[14:15], v[16:17], v[32:33]
	v_div_fixup_f64 v[16:17], v[14:15], v[24:25], v[22:23]
	v_fma_f64 v[14:15], v[22:23], v[16:17], v[24:25]
	v_div_scale_f64 v[30:31], s[10:11], v[14:15], v[14:15], 1.0
	v_rcp_f64_e32 v[32:33], v[30:31]
	v_fma_f64 v[34:35], -v[30:31], v[32:33], 1.0
	v_fmac_f64_e32 v[32:33], v[32:33], v[34:35]
	v_fma_f64 v[34:35], -v[30:31], v[32:33], 1.0
	v_fmac_f64_e32 v[32:33], v[32:33], v[34:35]
	v_div_scale_f64 v[34:35], vcc, 1.0, v[14:15], 1.0
	v_mul_f64 v[36:37], v[34:35], v[32:33]
	v_fma_f64 v[30:31], -v[30:31], v[36:37], v[34:35]
	s_nop 1
	v_div_fmas_f64 v[30:31], v[30:31], v[32:33], v[36:37]
	v_div_fixup_f64 v[30:31], v[30:31], v[14:15], 1.0
	v_fma_f64 v[14:15], v[18:19], v[16:17], v[20:21]
	v_fma_f64 v[16:17], v[20:21], v[16:17], -v[18:19]
	v_mul_f64 v[14:15], v[14:15], v[30:31]
	v_mul_f64 v[16:17], v[16:17], v[30:31]
	s_cbranch_execz .LBB233_27
	s_branch .LBB233_28
.LBB233_26:                             ;   in Loop: Header=BB233_21 Depth=1
                                        ; implicit-def: $vgpr16_vgpr17
.LBB233_27:                             ;   in Loop: Header=BB233_21 Depth=1
	v_div_scale_f64 v[14:15], s[10:11], v[22:23], v[22:23], v[24:25]
	v_rcp_f64_e32 v[16:17], v[14:15]
	v_div_scale_f64 v[30:31], vcc, v[24:25], v[22:23], v[24:25]
	v_fma_f64 v[32:33], -v[14:15], v[16:17], 1.0
	v_fmac_f64_e32 v[16:17], v[16:17], v[32:33]
	v_fma_f64 v[32:33], -v[14:15], v[16:17], 1.0
	v_fmac_f64_e32 v[16:17], v[16:17], v[32:33]
	v_mul_f64 v[32:33], v[30:31], v[16:17]
	v_fma_f64 v[14:15], -v[14:15], v[32:33], v[30:31]
	v_div_fmas_f64 v[14:15], v[14:15], v[16:17], v[32:33]
	v_div_fixup_f64 v[16:17], v[14:15], v[22:23], v[24:25]
	v_fmac_f64_e32 v[22:23], v[24:25], v[16:17]
	v_div_scale_f64 v[14:15], s[10:11], v[22:23], v[22:23], 1.0
	v_rcp_f64_e32 v[24:25], v[14:15]
	v_fma_f64 v[30:31], -v[14:15], v[24:25], 1.0
	v_fmac_f64_e32 v[24:25], v[24:25], v[30:31]
	v_fma_f64 v[30:31], -v[14:15], v[24:25], 1.0
	v_fmac_f64_e32 v[24:25], v[24:25], v[30:31]
	v_div_scale_f64 v[30:31], vcc, 1.0, v[22:23], 1.0
	v_mul_f64 v[32:33], v[30:31], v[24:25]
	v_fma_f64 v[14:15], -v[14:15], v[32:33], v[30:31]
	s_nop 1
	v_div_fmas_f64 v[14:15], v[14:15], v[24:25], v[32:33]
	v_div_fixup_f64 v[22:23], v[14:15], v[22:23], 1.0
	v_fma_f64 v[14:15], v[20:21], v[16:17], v[18:19]
	v_fma_f64 v[16:17], -v[18:19], v[16:17], v[20:21]
	v_mul_f64 v[14:15], v[14:15], v[22:23]
	v_mul_f64 v[16:17], v[16:17], v[22:23]
.LBB233_28:                             ;   in Loop: Header=BB233_21 Depth=1
	v_mov_b32_e32 v18, s17
	ds_read_b128 v[22:25], v18 offset:16
	ds_read_b128 v[18:21], v18 offset:464
	ds_write_b128 v28, v[14:17]
	s_waitcnt lgkmcnt(2)
	v_mul_f64 v[28:29], v[16:17], v[24:25]
	v_mul_f64 v[24:25], v[14:15], v[24:25]
	v_fma_f64 v[28:29], v[14:15], v[22:23], -v[28:29]
	v_fmac_f64_e32 v[24:25], v[16:17], v[22:23]
	v_add_f64 v[22:23], v[10:11], -v[28:29]
	s_waitcnt lgkmcnt(1)
	v_xor_b32_e32 v10, 0x80000000, v19
	v_cmp_gt_f64_e32 vcc, 0, v[18:19]
	v_add_f64 v[24:25], v[12:13], -v[24:25]
	v_cndmask_b32_e32 v11, v19, v10, vcc
	v_xor_b32_e32 v12, 0x80000000, v21
	v_cmp_gt_f64_e32 vcc, 0, v[20:21]
	v_mov_b32_e32 v10, v18
	v_cndmask_b32_e32 v13, v21, v12, vcc
	v_mov_b32_e32 v12, v20
	v_cmp_ngt_f64_e32 vcc, v[10:11], v[12:13]
	s_cbranch_vccz .LBB233_30
; %bb.29:                               ;   in Loop: Header=BB233_21 Depth=1
	v_div_scale_f64 v[10:11], s[10:11], v[20:21], v[20:21], v[18:19]
	v_rcp_f64_e32 v[12:13], v[10:11]
	v_div_scale_f64 v[28:29], vcc, v[18:19], v[20:21], v[18:19]
	v_fma_f64 v[30:31], -v[10:11], v[12:13], 1.0
	v_fmac_f64_e32 v[12:13], v[12:13], v[30:31]
	v_fma_f64 v[30:31], -v[10:11], v[12:13], 1.0
	v_fmac_f64_e32 v[12:13], v[12:13], v[30:31]
	v_mul_f64 v[30:31], v[28:29], v[12:13]
	v_fma_f64 v[10:11], -v[10:11], v[30:31], v[28:29]
	v_div_fmas_f64 v[10:11], v[10:11], v[12:13], v[30:31]
	v_div_fixup_f64 v[12:13], v[10:11], v[20:21], v[18:19]
	v_fma_f64 v[10:11], v[18:19], v[12:13], v[20:21]
	v_div_scale_f64 v[28:29], s[10:11], v[10:11], v[10:11], 1.0
	v_rcp_f64_e32 v[30:31], v[28:29]
	v_fma_f64 v[32:33], -v[28:29], v[30:31], 1.0
	v_fmac_f64_e32 v[30:31], v[30:31], v[32:33]
	v_fma_f64 v[32:33], -v[28:29], v[30:31], 1.0
	v_fmac_f64_e32 v[30:31], v[30:31], v[32:33]
	v_div_scale_f64 v[32:33], vcc, 1.0, v[10:11], 1.0
	v_mul_f64 v[34:35], v[32:33], v[30:31]
	v_fma_f64 v[28:29], -v[28:29], v[34:35], v[32:33]
	s_nop 1
	v_div_fmas_f64 v[28:29], v[28:29], v[30:31], v[34:35]
	v_div_fixup_f64 v[28:29], v[28:29], v[10:11], 1.0
	v_fma_f64 v[10:11], v[12:13], v[22:23], v[24:25]
	v_fma_f64 v[12:13], v[12:13], v[24:25], -v[22:23]
	v_mul_f64 v[10:11], v[10:11], v[28:29]
	v_mul_f64 v[12:13], v[12:13], v[28:29]
	s_cbranch_execz .LBB233_31
	s_branch .LBB233_32
.LBB233_30:                             ;   in Loop: Header=BB233_21 Depth=1
                                        ; implicit-def: $vgpr12_vgpr13
.LBB233_31:                             ;   in Loop: Header=BB233_21 Depth=1
	v_div_scale_f64 v[10:11], s[10:11], v[18:19], v[18:19], v[20:21]
	v_rcp_f64_e32 v[12:13], v[10:11]
	v_div_scale_f64 v[28:29], vcc, v[20:21], v[18:19], v[20:21]
	v_fma_f64 v[30:31], -v[10:11], v[12:13], 1.0
	v_fmac_f64_e32 v[12:13], v[12:13], v[30:31]
	v_fma_f64 v[30:31], -v[10:11], v[12:13], 1.0
	v_fmac_f64_e32 v[12:13], v[12:13], v[30:31]
	v_mul_f64 v[30:31], v[28:29], v[12:13]
	v_fma_f64 v[10:11], -v[10:11], v[30:31], v[28:29]
	v_div_fmas_f64 v[10:11], v[10:11], v[12:13], v[30:31]
	v_div_fixup_f64 v[12:13], v[10:11], v[18:19], v[20:21]
	v_fmac_f64_e32 v[18:19], v[20:21], v[12:13]
	v_div_scale_f64 v[10:11], s[10:11], v[18:19], v[18:19], 1.0
	v_rcp_f64_e32 v[20:21], v[10:11]
	v_fma_f64 v[28:29], -v[10:11], v[20:21], 1.0
	v_fmac_f64_e32 v[20:21], v[20:21], v[28:29]
	v_fma_f64 v[28:29], -v[10:11], v[20:21], 1.0
	v_fmac_f64_e32 v[20:21], v[20:21], v[28:29]
	v_div_scale_f64 v[28:29], vcc, 1.0, v[18:19], 1.0
	v_mul_f64 v[30:31], v[28:29], v[20:21]
	v_fma_f64 v[10:11], -v[10:11], v[30:31], v[28:29]
	s_nop 1
	v_div_fmas_f64 v[10:11], v[10:11], v[20:21], v[30:31]
	v_div_fixup_f64 v[18:19], v[10:11], v[18:19], 1.0
	v_fma_f64 v[10:11], v[12:13], v[24:25], v[22:23]
	v_fma_f64 v[12:13], -v[12:13], v[22:23], v[24:25]
	v_mul_f64 v[10:11], v[10:11], v[18:19]
	v_mul_f64 v[12:13], v[12:13], v[18:19]
.LBB233_32:                             ;   in Loop: Header=BB233_21 Depth=1
	v_mov_b32_e32 v18, s17
	ds_read_b128 v[22:25], v18 offset:32
	s_add_i32 s16, s16, s14
	s_lshl_b32 s16, s16, 4
	ds_write_b128 v27, v[10:13]
	v_mov_b32_e32 v27, s16
	s_waitcnt lgkmcnt(1)
	v_mul_f64 v[28:29], v[16:17], v[24:25]
	ds_read_b128 v[18:21], v18 offset:928
	v_fma_f64 v[32:33], v[14:15], v[22:23], -v[28:29]
	ds_read_b128 v[28:31], v27 offset:32
	v_mul_f64 v[24:25], v[14:15], v[24:25]
	v_fmac_f64_e32 v[24:25], v[16:17], v[22:23]
	v_add_f64 v[6:7], v[6:7], -v[32:33]
	v_add_f64 v[8:9], v[8:9], -v[24:25]
	s_waitcnt lgkmcnt(0)
	v_mul_f64 v[22:23], v[12:13], v[30:31]
	v_fma_f64 v[22:23], v[10:11], v[28:29], -v[22:23]
	v_mul_f64 v[24:25], v[10:11], v[30:31]
	v_fmac_f64_e32 v[24:25], v[12:13], v[28:29]
	v_add_f64 v[6:7], v[6:7], -v[22:23]
	v_xor_b32_e32 v22, 0x80000000, v19
	v_cmp_gt_f64_e32 vcc, 0, v[18:19]
	v_add_f64 v[8:9], v[8:9], -v[24:25]
	v_cndmask_b32_e32 v23, v19, v22, vcc
	v_xor_b32_e32 v24, 0x80000000, v21
	v_cmp_gt_f64_e32 vcc, 0, v[20:21]
	v_mov_b32_e32 v22, v18
	v_cndmask_b32_e32 v25, v21, v24, vcc
	v_mov_b32_e32 v24, v20
	v_cmp_ngt_f64_e32 vcc, v[22:23], v[24:25]
	s_cbranch_vccz .LBB233_34
; %bb.33:                               ;   in Loop: Header=BB233_21 Depth=1
	v_div_scale_f64 v[22:23], s[10:11], v[20:21], v[20:21], v[18:19]
	v_rcp_f64_e32 v[24:25], v[22:23]
	v_div_scale_f64 v[28:29], vcc, v[18:19], v[20:21], v[18:19]
	v_fma_f64 v[30:31], -v[22:23], v[24:25], 1.0
	v_fmac_f64_e32 v[24:25], v[24:25], v[30:31]
	v_fma_f64 v[30:31], -v[22:23], v[24:25], 1.0
	v_fmac_f64_e32 v[24:25], v[24:25], v[30:31]
	v_mul_f64 v[30:31], v[28:29], v[24:25]
	v_fma_f64 v[22:23], -v[22:23], v[30:31], v[28:29]
	v_div_fmas_f64 v[22:23], v[22:23], v[24:25], v[30:31]
	v_div_fixup_f64 v[24:25], v[22:23], v[20:21], v[18:19]
	v_fma_f64 v[22:23], v[18:19], v[24:25], v[20:21]
	v_div_scale_f64 v[28:29], s[10:11], v[22:23], v[22:23], 1.0
	v_rcp_f64_e32 v[30:31], v[28:29]
	v_fma_f64 v[32:33], -v[28:29], v[30:31], 1.0
	v_fmac_f64_e32 v[30:31], v[30:31], v[32:33]
	v_fma_f64 v[32:33], -v[28:29], v[30:31], 1.0
	v_fmac_f64_e32 v[30:31], v[30:31], v[32:33]
	v_div_scale_f64 v[32:33], vcc, 1.0, v[22:23], 1.0
	v_mul_f64 v[34:35], v[32:33], v[30:31]
	v_fma_f64 v[28:29], -v[28:29], v[34:35], v[32:33]
	s_nop 1
	v_div_fmas_f64 v[28:29], v[28:29], v[30:31], v[34:35]
	v_div_fixup_f64 v[28:29], v[28:29], v[22:23], 1.0
	v_fma_f64 v[22:23], v[24:25], v[6:7], v[8:9]
	v_fma_f64 v[24:25], v[24:25], v[8:9], -v[6:7]
	v_mul_f64 v[22:23], v[22:23], v[28:29]
	v_mul_f64 v[24:25], v[24:25], v[28:29]
	s_cbranch_execz .LBB233_35
	s_branch .LBB233_36
.LBB233_34:                             ;   in Loop: Header=BB233_21 Depth=1
                                        ; implicit-def: $vgpr24_vgpr25
.LBB233_35:                             ;   in Loop: Header=BB233_21 Depth=1
	v_div_scale_f64 v[22:23], s[10:11], v[18:19], v[18:19], v[20:21]
	v_rcp_f64_e32 v[24:25], v[22:23]
	v_div_scale_f64 v[28:29], vcc, v[20:21], v[18:19], v[20:21]
	v_fma_f64 v[30:31], -v[22:23], v[24:25], 1.0
	v_fmac_f64_e32 v[24:25], v[24:25], v[30:31]
	v_fma_f64 v[30:31], -v[22:23], v[24:25], 1.0
	v_fmac_f64_e32 v[24:25], v[24:25], v[30:31]
	v_mul_f64 v[30:31], v[28:29], v[24:25]
	v_fma_f64 v[22:23], -v[22:23], v[30:31], v[28:29]
	v_div_fmas_f64 v[22:23], v[22:23], v[24:25], v[30:31]
	v_div_fixup_f64 v[24:25], v[22:23], v[18:19], v[20:21]
	v_fmac_f64_e32 v[18:19], v[20:21], v[24:25]
	v_div_scale_f64 v[20:21], s[10:11], v[18:19], v[18:19], 1.0
	v_rcp_f64_e32 v[22:23], v[20:21]
	v_fma_f64 v[28:29], -v[20:21], v[22:23], 1.0
	v_fmac_f64_e32 v[22:23], v[22:23], v[28:29]
	v_fma_f64 v[28:29], -v[20:21], v[22:23], 1.0
	v_fmac_f64_e32 v[22:23], v[22:23], v[28:29]
	v_div_scale_f64 v[28:29], vcc, 1.0, v[18:19], 1.0
	v_mul_f64 v[30:31], v[28:29], v[22:23]
	v_fma_f64 v[20:21], -v[20:21], v[30:31], v[28:29]
	s_nop 1
	v_div_fmas_f64 v[20:21], v[20:21], v[22:23], v[30:31]
	v_div_fixup_f64 v[18:19], v[20:21], v[18:19], 1.0
	v_fma_f64 v[20:21], v[24:25], v[8:9], v[6:7]
	v_fma_f64 v[6:7], -v[24:25], v[6:7], v[8:9]
	v_mul_f64 v[22:23], v[20:21], v[18:19]
	v_mul_f64 v[24:25], v[6:7], v[18:19]
.LBB233_36:                             ;   in Loop: Header=BB233_21 Depth=1
	v_mov_b32_e32 v6, s17
	ds_read_b128 v[18:21], v6 offset:48
	s_add_i32 s15, s15, s14
	s_lshl_b32 s10, s15, 4
	ds_read_b128 v[6:9], v6 offset:1392
	ds_write_b128 v26, v[22:25]
	s_waitcnt lgkmcnt(2)
	v_mul_f64 v[28:29], v[16:17], v[20:21]
	v_mul_f64 v[20:21], v[14:15], v[20:21]
	v_fma_f64 v[14:15], v[14:15], v[18:19], -v[28:29]
	v_fmac_f64_e32 v[20:21], v[16:17], v[18:19]
	v_add_f64 v[18:19], v[2:3], -v[14:15]
	v_mov_b32_e32 v2, s16
	v_add_f64 v[20:21], v[4:5], -v[20:21]
	ds_read_b128 v[2:5], v2 offset:48
	v_mov_b32_e32 v14, s10
	ds_read_b128 v[14:17], v14 offset:48
	s_waitcnt lgkmcnt(3)
	v_cmp_gt_f64_e32 vcc, 0, v[6:7]
	s_waitcnt lgkmcnt(1)
	v_mul_f64 v[28:29], v[12:13], v[4:5]
	v_fma_f64 v[28:29], v[10:11], v[2:3], -v[28:29]
	v_mul_f64 v[4:5], v[10:11], v[4:5]
	s_waitcnt lgkmcnt(0)
	v_mul_f64 v[10:11], v[24:25], v[16:17]
	v_fmac_f64_e32 v[4:5], v[12:13], v[2:3]
	v_add_f64 v[2:3], v[18:19], -v[28:29]
	v_fma_f64 v[10:11], v[22:23], v[14:15], -v[10:11]
	v_mul_f64 v[12:13], v[22:23], v[16:17]
	v_add_f64 v[4:5], v[20:21], -v[4:5]
	v_fmac_f64_e32 v[12:13], v[24:25], v[14:15]
	v_add_f64 v[10:11], v[2:3], -v[10:11]
	v_xor_b32_e32 v2, 0x80000000, v7
	v_add_f64 v[12:13], v[4:5], -v[12:13]
	v_cndmask_b32_e32 v3, v7, v2, vcc
	v_xor_b32_e32 v4, 0x80000000, v9
	v_cmp_gt_f64_e32 vcc, 0, v[8:9]
	v_mov_b32_e32 v2, v6
	v_cndmask_b32_e32 v5, v9, v4, vcc
	v_mov_b32_e32 v4, v8
	v_cmp_ngt_f64_e32 vcc, v[2:3], v[4:5]
	s_cbranch_vccz .LBB233_38
; %bb.37:                               ;   in Loop: Header=BB233_21 Depth=1
	v_div_scale_f64 v[2:3], s[10:11], v[8:9], v[8:9], v[6:7]
	v_rcp_f64_e32 v[4:5], v[2:3]
	v_div_scale_f64 v[14:15], vcc, v[6:7], v[8:9], v[6:7]
	v_fma_f64 v[16:17], -v[2:3], v[4:5], 1.0
	v_fmac_f64_e32 v[4:5], v[4:5], v[16:17]
	v_fma_f64 v[16:17], -v[2:3], v[4:5], 1.0
	v_fmac_f64_e32 v[4:5], v[4:5], v[16:17]
	v_mul_f64 v[16:17], v[14:15], v[4:5]
	v_fma_f64 v[2:3], -v[2:3], v[16:17], v[14:15]
	v_div_fmas_f64 v[2:3], v[2:3], v[4:5], v[16:17]
	v_div_fixup_f64 v[4:5], v[2:3], v[8:9], v[6:7]
	v_fma_f64 v[2:3], v[6:7], v[4:5], v[8:9]
	v_div_scale_f64 v[14:15], s[10:11], v[2:3], v[2:3], 1.0
	v_rcp_f64_e32 v[16:17], v[14:15]
	v_fma_f64 v[18:19], -v[14:15], v[16:17], 1.0
	v_fmac_f64_e32 v[16:17], v[16:17], v[18:19]
	v_fma_f64 v[18:19], -v[14:15], v[16:17], 1.0
	v_fmac_f64_e32 v[16:17], v[16:17], v[18:19]
	v_div_scale_f64 v[18:19], vcc, 1.0, v[2:3], 1.0
	v_mul_f64 v[20:21], v[18:19], v[16:17]
	v_fma_f64 v[14:15], -v[14:15], v[20:21], v[18:19]
	s_nop 1
	v_div_fmas_f64 v[14:15], v[14:15], v[16:17], v[20:21]
	v_div_fixup_f64 v[14:15], v[14:15], v[2:3], 1.0
	v_fma_f64 v[2:3], v[4:5], v[10:11], v[12:13]
	v_fma_f64 v[4:5], v[4:5], v[12:13], -v[10:11]
	v_mul_f64 v[2:3], v[2:3], v[14:15]
	v_mul_f64 v[4:5], v[4:5], v[14:15]
	s_cbranch_execz .LBB233_39
	s_branch .LBB233_40
.LBB233_38:                             ;   in Loop: Header=BB233_21 Depth=1
                                        ; implicit-def: $vgpr4_vgpr5
.LBB233_39:                             ;   in Loop: Header=BB233_21 Depth=1
	v_div_scale_f64 v[2:3], s[10:11], v[6:7], v[6:7], v[8:9]
	v_rcp_f64_e32 v[4:5], v[2:3]
	v_div_scale_f64 v[14:15], vcc, v[8:9], v[6:7], v[8:9]
	v_fma_f64 v[16:17], -v[2:3], v[4:5], 1.0
	v_fmac_f64_e32 v[4:5], v[4:5], v[16:17]
	v_fma_f64 v[16:17], -v[2:3], v[4:5], 1.0
	v_fmac_f64_e32 v[4:5], v[4:5], v[16:17]
	v_mul_f64 v[16:17], v[14:15], v[4:5]
	v_fma_f64 v[2:3], -v[2:3], v[16:17], v[14:15]
	v_div_fmas_f64 v[2:3], v[2:3], v[4:5], v[16:17]
	v_div_fixup_f64 v[4:5], v[2:3], v[6:7], v[8:9]
	v_fmac_f64_e32 v[6:7], v[8:9], v[4:5]
	v_div_scale_f64 v[2:3], s[10:11], v[6:7], v[6:7], 1.0
	v_rcp_f64_e32 v[8:9], v[2:3]
	v_fma_f64 v[14:15], -v[2:3], v[8:9], 1.0
	v_fmac_f64_e32 v[8:9], v[8:9], v[14:15]
	v_fma_f64 v[14:15], -v[2:3], v[8:9], 1.0
	v_fmac_f64_e32 v[8:9], v[8:9], v[14:15]
	v_div_scale_f64 v[14:15], vcc, 1.0, v[6:7], 1.0
	v_mul_f64 v[16:17], v[14:15], v[8:9]
	v_fma_f64 v[2:3], -v[2:3], v[16:17], v[14:15]
	s_nop 1
	v_div_fmas_f64 v[2:3], v[2:3], v[8:9], v[16:17]
	v_div_fixup_f64 v[6:7], v[2:3], v[6:7], 1.0
	v_fma_f64 v[2:3], v[4:5], v[12:13], v[10:11]
	v_fma_f64 v[4:5], -v[4:5], v[10:11], v[12:13]
	v_mul_f64 v[2:3], v[2:3], v[6:7]
	v_mul_f64 v[4:5], v[4:5], v[6:7]
.LBB233_40:                             ;   in Loop: Header=BB233_21 Depth=1
	s_add_i32 s15, s14, 4
	s_add_i32 s10, s14, 7
	;; [unrolled: 1-line block ×3, first 2 shown]
	s_cmp_ge_i32 s10, s34
	ds_write_b128 v26, v[2:5] offset:448
	s_cbranch_scc1 .LBB233_42
; %bb.41:                               ;   in Loop: Header=BB233_21 Depth=1
	s_mov_b32 s14, s15
	s_branch .LBB233_21
.LBB233_42:
	s_cmp_ge_i32 s15, s34
	s_cbranch_scc1 .LBB233_57
; %bb.43:
	v_mov_b32_e32 v1, 0x3100
	s_add_i32 s1, s15, -1
	s_lshl_b32 s14, s15, 4
	v_lshl_add_u32 v1, v0, 4, v1
	s_mov_b32 s16, 0
	s_mov_b32 s17, s15
	s_branch .LBB233_45
.LBB233_44:                             ;   in Loop: Header=BB233_45 Depth=1
	s_add_i32 s15, s15, 1
	s_add_i32 s16, s16, 1
	;; [unrolled: 1-line block ×3, first 2 shown]
	v_add_u16_e64 v2, s17, 1
	s_cmp_ge_i32 s15, s34
	v_readfirstlane_b32 s17, v2
	ds_write_b128 v14, v[10:13]
	s_cbranch_scc1 .LBB233_57
.LBB233_45:                             ; =>This Loop Header: Depth=1
                                        ;     Child Loop BB233_48 Depth 2
                                        ;     Child Loop BB233_52 Depth 2
	s_mul_i32 s10, s15, 28
	v_add_lshl_u32 v6, s10, v0, 4
	ds_read_b128 v[2:5], v6 offset:12544
	s_cmp_eq_u32 s15, 0
	s_cbranch_scc1 .LBB233_53
; %bb.46:                               ;   in Loop: Header=BB233_45 Depth=1
	s_add_i32 s10, s1, s16
	s_cmp_lt_u32 s10, 7
	s_cbranch_scc1 .LBB233_50
; %bb.47:                               ;   in Loop: Header=BB233_45 Depth=1
	s_and_b32 s10, s15, -8
	s_mov_b32 s11, 0
	v_mov_b32_e32 v7, v1
	s_mov_b32 s18, s14
.LBB233_48:                             ;   Parent Loop BB233_45 Depth=1
                                        ; =>  This Inner Loop Header: Depth=2
	v_mov_b32_e32 v68, s18
	ds_read_b128 v[8:11], v7
	ds_read_b128 v[12:15], v7 offset:448
	ds_read_b128 v[16:19], v7 offset:896
	ds_read_b128 v[20:23], v7 offset:1344
	ds_read_b128 v[24:27], v7 offset:1792
	ds_read_b128 v[28:31], v7 offset:2240
	ds_read_b128 v[32:35], v7 offset:2688
	ds_read_b128 v[36:39], v7 offset:3136
	ds_read_b128 v[40:43], v68
	ds_read_b128 v[44:47], v68 offset:448
	ds_read_b128 v[48:51], v68 offset:896
	;; [unrolled: 1-line block ×7, first 2 shown]
	s_waitcnt lgkmcnt(7)
	v_mul_f64 v[72:73], v[42:43], v[10:11]
	v_mul_f64 v[10:11], v[40:41], v[10:11]
	s_waitcnt lgkmcnt(6)
	v_mul_f64 v[74:75], v[46:47], v[14:15]
	v_mul_f64 v[14:15], v[44:45], v[14:15]
	v_fma_f64 v[40:41], v[40:41], v[8:9], -v[72:73]
	v_fmac_f64_e32 v[10:11], v[42:43], v[8:9]
	s_waitcnt lgkmcnt(5)
	v_mul_f64 v[76:77], v[50:51], v[18:19]
	v_mul_f64 v[18:19], v[48:49], v[18:19]
	v_fma_f64 v[8:9], v[44:45], v[12:13], -v[74:75]
	v_fmac_f64_e32 v[14:15], v[46:47], v[12:13]
	v_add_f64 v[2:3], v[2:3], -v[40:41]
	v_add_f64 v[4:5], v[4:5], -v[10:11]
	s_waitcnt lgkmcnt(4)
	v_mul_f64 v[78:79], v[54:55], v[22:23]
	v_mul_f64 v[22:23], v[52:53], v[22:23]
	v_fma_f64 v[12:13], v[48:49], v[16:17], -v[76:77]
	v_fmac_f64_e32 v[18:19], v[50:51], v[16:17]
	v_add_f64 v[2:3], v[2:3], -v[8:9]
	v_add_f64 v[4:5], v[4:5], -v[14:15]
	;; [unrolled: 7-line block ×6, first 2 shown]
	s_add_i32 s11, s11, 8
	s_addk_i32 s18, 0xe00
	v_fma_f64 v[32:33], v[68:69], v[36:37], -v[86:87]
	v_fmac_f64_e32 v[38:39], v[70:71], v[36:37]
	v_add_f64 v[2:3], v[2:3], -v[28:29]
	v_add_f64 v[4:5], v[4:5], -v[34:35]
	v_add_u32_e32 v7, 0xe00, v7
	s_cmp_eq_u32 s10, s11
	v_add_f64 v[2:3], v[2:3], -v[32:33]
	v_add_f64 v[4:5], v[4:5], -v[38:39]
	s_cbranch_scc0 .LBB233_48
; %bb.49:                               ;   in Loop: Header=BB233_45 Depth=1
	s_and_b32 s11, s15, 7
	s_cmp_eq_u32 s11, 0
	s_cbranch_scc0 .LBB233_51
	s_branch .LBB233_53
.LBB233_50:                             ;   in Loop: Header=BB233_45 Depth=1
	s_mov_b32 s10, 0
	s_and_b32 s11, s15, 7
	s_cmp_eq_u32 s11, 0
	s_cbranch_scc1 .LBB233_53
.LBB233_51:                             ;   in Loop: Header=BB233_45 Depth=1
	s_and_b32 s11, s17, 7
	s_mulk_i32 s10, 0x1c0
.LBB233_52:                             ;   Parent Loop BB233_45 Depth=1
                                        ; =>  This Inner Loop Header: Depth=2
	s_add_i32 s18, s14, s10
	v_add_u32_e32 v7, s10, v1
	v_mov_b32_e32 v12, s18
	ds_read_b128 v[8:11], v7
	ds_read_b128 v[12:15], v12
	s_add_i32 s11, s11, -1
	s_addk_i32 s10, 0x1c0
	s_cmp_lg_u32 s11, 0
	s_waitcnt lgkmcnt(0)
	v_mul_f64 v[16:17], v[14:15], v[10:11]
	v_mul_f64 v[10:11], v[12:13], v[10:11]
	v_fma_f64 v[12:13], v[12:13], v[8:9], -v[16:17]
	v_fmac_f64_e32 v[10:11], v[14:15], v[8:9]
	v_add_f64 v[2:3], v[2:3], -v[12:13]
	v_add_f64 v[4:5], v[4:5], -v[10:11]
	s_cbranch_scc1 .LBB233_52
.LBB233_53:                             ;   in Loop: Header=BB233_45 Depth=1
	s_mul_i32 s10, s15, 0x1d0
	v_add_u32_e32 v14, 0x3100, v6
	v_mov_b32_e32 v6, s10
	ds_read_b128 v[6:9], v6
	s_waitcnt lgkmcnt(0)
	v_xor_b32_e32 v11, 0x80000000, v7
	v_cmp_gt_f64_e32 vcc, 0, v[6:7]
	v_xor_b32_e32 v12, 0x80000000, v9
	v_cndmask_b32_e32 v11, v7, v11, vcc
	v_cmp_gt_f64_e32 vcc, 0, v[8:9]
	v_mov_b32_e32 v10, v6
	v_cndmask_b32_e32 v13, v9, v12, vcc
	v_mov_b32_e32 v12, v8
	v_cmp_ngt_f64_e32 vcc, v[10:11], v[12:13]
	s_cbranch_vccz .LBB233_55
; %bb.54:                               ;   in Loop: Header=BB233_45 Depth=1
	v_div_scale_f64 v[10:11], s[10:11], v[8:9], v[8:9], v[6:7]
	v_rcp_f64_e32 v[12:13], v[10:11]
	v_div_scale_f64 v[16:17], vcc, v[6:7], v[8:9], v[6:7]
	v_fma_f64 v[18:19], -v[10:11], v[12:13], 1.0
	v_fmac_f64_e32 v[12:13], v[12:13], v[18:19]
	v_fma_f64 v[18:19], -v[10:11], v[12:13], 1.0
	v_fmac_f64_e32 v[12:13], v[12:13], v[18:19]
	v_mul_f64 v[18:19], v[16:17], v[12:13]
	v_fma_f64 v[10:11], -v[10:11], v[18:19], v[16:17]
	v_div_fmas_f64 v[10:11], v[10:11], v[12:13], v[18:19]
	v_div_fixup_f64 v[12:13], v[10:11], v[8:9], v[6:7]
	v_fma_f64 v[10:11], v[6:7], v[12:13], v[8:9]
	v_div_scale_f64 v[16:17], s[10:11], v[10:11], v[10:11], 1.0
	v_rcp_f64_e32 v[18:19], v[16:17]
	v_fma_f64 v[20:21], -v[16:17], v[18:19], 1.0
	v_fmac_f64_e32 v[18:19], v[18:19], v[20:21]
	v_fma_f64 v[20:21], -v[16:17], v[18:19], 1.0
	v_fmac_f64_e32 v[18:19], v[18:19], v[20:21]
	v_div_scale_f64 v[20:21], vcc, 1.0, v[10:11], 1.0
	v_mul_f64 v[22:23], v[20:21], v[18:19]
	v_fma_f64 v[16:17], -v[16:17], v[22:23], v[20:21]
	s_nop 1
	v_div_fmas_f64 v[16:17], v[16:17], v[18:19], v[22:23]
	v_div_fixup_f64 v[16:17], v[16:17], v[10:11], 1.0
	v_fma_f64 v[10:11], v[2:3], v[12:13], v[4:5]
	v_fma_f64 v[12:13], v[4:5], v[12:13], -v[2:3]
	v_mul_f64 v[10:11], v[10:11], v[16:17]
	v_mul_f64 v[12:13], v[12:13], v[16:17]
	s_cbranch_execnz .LBB233_44
	s_branch .LBB233_56
.LBB233_55:                             ;   in Loop: Header=BB233_45 Depth=1
                                        ; implicit-def: $vgpr10_vgpr11
.LBB233_56:                             ;   in Loop: Header=BB233_45 Depth=1
	v_div_scale_f64 v[10:11], s[10:11], v[6:7], v[6:7], v[8:9]
	v_rcp_f64_e32 v[12:13], v[10:11]
	v_div_scale_f64 v[16:17], vcc, v[8:9], v[6:7], v[8:9]
	v_fma_f64 v[18:19], -v[10:11], v[12:13], 1.0
	v_fmac_f64_e32 v[12:13], v[12:13], v[18:19]
	v_fma_f64 v[18:19], -v[10:11], v[12:13], 1.0
	v_fmac_f64_e32 v[12:13], v[12:13], v[18:19]
	v_mul_f64 v[18:19], v[16:17], v[12:13]
	v_fma_f64 v[10:11], -v[10:11], v[18:19], v[16:17]
	v_div_fmas_f64 v[10:11], v[10:11], v[12:13], v[18:19]
	v_div_fixup_f64 v[12:13], v[10:11], v[6:7], v[8:9]
	v_fmac_f64_e32 v[6:7], v[8:9], v[12:13]
	v_div_scale_f64 v[8:9], s[10:11], v[6:7], v[6:7], 1.0
	v_rcp_f64_e32 v[10:11], v[8:9]
	v_fma_f64 v[16:17], -v[8:9], v[10:11], 1.0
	v_fmac_f64_e32 v[10:11], v[10:11], v[16:17]
	v_fma_f64 v[16:17], -v[8:9], v[10:11], 1.0
	v_fmac_f64_e32 v[10:11], v[10:11], v[16:17]
	v_div_scale_f64 v[16:17], vcc, 1.0, v[6:7], 1.0
	v_mul_f64 v[18:19], v[16:17], v[10:11]
	v_fma_f64 v[8:9], -v[8:9], v[18:19], v[16:17]
	s_nop 1
	v_div_fmas_f64 v[8:9], v[8:9], v[10:11], v[18:19]
	v_div_fixup_f64 v[6:7], v[8:9], v[6:7], 1.0
	v_fma_f64 v[8:9], v[4:5], v[12:13], v[2:3]
	v_fma_f64 v[2:3], -v[2:3], v[12:13], v[4:5]
	v_mul_f64 v[10:11], v[8:9], v[6:7]
	v_mul_f64 v[12:13], v[2:3], v[6:7]
	s_branch .LBB233_44
.LBB233_57:
	s_mov_b64 s[10:11], 0
.LBB233_58:
	s_and_b64 vcc, exec, s[10:11]
	s_cbranch_vccz .LBB233_90
; %bb.59:
	s_andn2_b64 vcc, exec, s[8:9]
	s_mov_b32 s15, s35
	s_cbranch_vccnz .LBB233_81
; %bb.60:
	s_mul_i32 s1, s34, 0x1c0
	v_lshl_add_u32 v1, v0, 4, s1
	s_mul_i32 s1, s34, 0x1d0
	v_add_u32_e32 v1, 0x2d80, v1
	s_addk_i32 s1, 0xfc40
	s_mov_b32 s14, s35
.LBB233_61:                             ; =>This Loop Header: Depth=1
                                        ;     Child Loop BB233_62 Depth 2
	s_mul_i32 s17, s14, 28
	s_sub_i32 s15, s17, 56
	v_add_lshl_u32 v18, s17, v0, 4
	s_sub_i32 s16, s17, 28
	v_add_lshl_u32 v20, s15, v0, 4
	v_add_lshl_u32 v19, s16, v0, 4
	ds_read_b128 v[14:17], v18 offset:12544
	ds_read_b128 v[10:13], v19 offset:12544
	;; [unrolled: 1-line block ×4, first 2 shown]
	s_cmp_le_i32 s35, s14
	s_mov_b32 s10, s1
	v_mov_b32_e32 v21, v1
	s_mov_b32 s11, s35
	s_cbranch_scc1 .LBB233_63
.LBB233_62:                             ;   Parent Loop BB233_61 Depth=1
                                        ; =>  This Inner Loop Header: Depth=2
	v_mov_b32_e32 v58, s10
	ds_read_b128 v[22:25], v21 offset:448
	ds_read_b128 v[26:29], v21
	ds_read_b128 v[30:33], v58 offset:496
	ds_read_b128 v[34:37], v58 offset:480
	;; [unrolled: 1-line block ×4, first 2 shown]
	ds_read_b128 v[46:49], v58
	ds_read_b128 v[50:53], v58 offset:16
	ds_read_b128 v[54:57], v58 offset:32
	;; [unrolled: 1-line block ×3, first 2 shown]
	s_add_i32 s11, s11, -2
	s_addk_i32 s10, 0xfc80
	s_waitcnt lgkmcnt(7)
	v_mul_f64 v[62:63], v[24:25], v[32:33]
	v_mul_f64 v[32:33], v[22:23], v[32:33]
	s_waitcnt lgkmcnt(6)
	v_mul_f64 v[64:65], v[24:25], v[36:37]
	v_mul_f64 v[36:37], v[22:23], v[36:37]
	;; [unrolled: 3-line block ×5, first 2 shown]
	v_mul_f64 v[72:73], v[28:29], v[56:57]
	v_mul_f64 v[56:57], v[26:27], v[56:57]
	;; [unrolled: 1-line block ×6, first 2 shown]
	v_fma_f64 v[62:63], v[22:23], v[30:31], -v[62:63]
	v_fmac_f64_e32 v[32:33], v[24:25], v[30:31]
	v_fma_f64 v[30:31], v[22:23], v[34:35], -v[64:65]
	v_fmac_f64_e32 v[36:37], v[24:25], v[34:35]
	;; [unrolled: 2-line block ×8, first 2 shown]
	v_add_f64 v[14:15], v[14:15], -v[62:63]
	v_add_f64 v[16:17], v[16:17], -v[32:33]
	v_add_f64 v[10:11], v[10:11], -v[30:31]
	v_add_f64 v[12:13], v[12:13], -v[36:37]
	v_add_f64 v[6:7], v[6:7], -v[34:35]
	v_add_f64 v[8:9], v[8:9], -v[40:41]
	v_add_f64 v[2:3], v[2:3], -v[22:23]
	v_add_f64 v[4:5], v[4:5], -v[44:45]
	v_add_u32_e32 v21, 0xfffffc80, v21
	s_cmp_le_i32 s11, s14
	v_add_f64 v[14:15], v[14:15], -v[24:25]
	v_add_f64 v[16:17], v[16:17], -v[60:61]
	;; [unrolled: 1-line block ×8, first 2 shown]
	s_cbranch_scc0 .LBB233_62
.LBB233_63:                             ;   in Loop: Header=BB233_61 Depth=1
	s_mul_i32 s18, s14, 0x1d0
	v_add_u32_e32 v29, 0x3100, v18
	v_mov_b32_e32 v18, s18
	ds_read_b128 v[22:25], v18
	v_add_u32_e32 v28, 0x3100, v19
	v_add_u32_e32 v27, 0x3100, v20
	;; [unrolled: 1-line block ×3, first 2 shown]
	s_waitcnt lgkmcnt(0)
	v_xor_b32_e32 v19, 0x80000000, v23
	v_cmp_gt_f64_e32 vcc, 0, v[22:23]
	v_xor_b32_e32 v20, 0x80000000, v25
	v_cndmask_b32_e32 v19, v23, v19, vcc
	v_cmp_gt_f64_e32 vcc, 0, v[24:25]
	v_mov_b32_e32 v18, v22
	v_cndmask_b32_e32 v21, v25, v20, vcc
	v_mov_b32_e32 v20, v24
	v_cmp_ngt_f64_e32 vcc, v[18:19], v[20:21]
	s_cbranch_vccz .LBB233_65
; %bb.64:                               ;   in Loop: Header=BB233_61 Depth=1
	v_div_scale_f64 v[18:19], s[10:11], v[24:25], v[24:25], v[22:23]
	v_rcp_f64_e32 v[20:21], v[18:19]
	v_div_scale_f64 v[30:31], vcc, v[22:23], v[24:25], v[22:23]
	v_fma_f64 v[32:33], -v[18:19], v[20:21], 1.0
	v_fmac_f64_e32 v[20:21], v[20:21], v[32:33]
	v_fma_f64 v[32:33], -v[18:19], v[20:21], 1.0
	v_fmac_f64_e32 v[20:21], v[20:21], v[32:33]
	v_mul_f64 v[32:33], v[30:31], v[20:21]
	v_fma_f64 v[18:19], -v[18:19], v[32:33], v[30:31]
	v_div_fmas_f64 v[18:19], v[18:19], v[20:21], v[32:33]
	v_div_fixup_f64 v[20:21], v[18:19], v[24:25], v[22:23]
	v_fma_f64 v[18:19], v[22:23], v[20:21], v[24:25]
	v_div_scale_f64 v[30:31], s[10:11], v[18:19], v[18:19], 1.0
	v_rcp_f64_e32 v[32:33], v[30:31]
	v_fma_f64 v[34:35], -v[30:31], v[32:33], 1.0
	v_fmac_f64_e32 v[32:33], v[32:33], v[34:35]
	v_fma_f64 v[34:35], -v[30:31], v[32:33], 1.0
	v_fmac_f64_e32 v[32:33], v[32:33], v[34:35]
	v_div_scale_f64 v[34:35], vcc, 1.0, v[18:19], 1.0
	v_mul_f64 v[36:37], v[34:35], v[32:33]
	v_fma_f64 v[30:31], -v[30:31], v[36:37], v[34:35]
	s_nop 1
	v_div_fmas_f64 v[30:31], v[30:31], v[32:33], v[36:37]
	v_div_fixup_f64 v[30:31], v[30:31], v[18:19], 1.0
	v_fma_f64 v[18:19], v[14:15], v[20:21], v[16:17]
	v_fma_f64 v[20:21], v[16:17], v[20:21], -v[14:15]
	v_mul_f64 v[18:19], v[18:19], v[30:31]
	v_mul_f64 v[20:21], v[20:21], v[30:31]
	s_cbranch_execz .LBB233_66
	s_branch .LBB233_67
.LBB233_65:                             ;   in Loop: Header=BB233_61 Depth=1
                                        ; implicit-def: $vgpr20_vgpr21
.LBB233_66:                             ;   in Loop: Header=BB233_61 Depth=1
	v_div_scale_f64 v[18:19], s[10:11], v[22:23], v[22:23], v[24:25]
	v_rcp_f64_e32 v[20:21], v[18:19]
	v_div_scale_f64 v[30:31], vcc, v[24:25], v[22:23], v[24:25]
	v_fma_f64 v[32:33], -v[18:19], v[20:21], 1.0
	v_fmac_f64_e32 v[20:21], v[20:21], v[32:33]
	v_fma_f64 v[32:33], -v[18:19], v[20:21], 1.0
	v_fmac_f64_e32 v[20:21], v[20:21], v[32:33]
	v_mul_f64 v[32:33], v[30:31], v[20:21]
	v_fma_f64 v[18:19], -v[18:19], v[32:33], v[30:31]
	v_div_fmas_f64 v[18:19], v[18:19], v[20:21], v[32:33]
	v_div_fixup_f64 v[20:21], v[18:19], v[22:23], v[24:25]
	v_fmac_f64_e32 v[22:23], v[24:25], v[20:21]
	v_div_scale_f64 v[18:19], s[10:11], v[22:23], v[22:23], 1.0
	v_rcp_f64_e32 v[24:25], v[18:19]
	v_fma_f64 v[30:31], -v[18:19], v[24:25], 1.0
	v_fmac_f64_e32 v[24:25], v[24:25], v[30:31]
	v_fma_f64 v[30:31], -v[18:19], v[24:25], 1.0
	v_fmac_f64_e32 v[24:25], v[24:25], v[30:31]
	v_div_scale_f64 v[30:31], vcc, 1.0, v[22:23], 1.0
	v_mul_f64 v[32:33], v[30:31], v[24:25]
	v_fma_f64 v[18:19], -v[18:19], v[32:33], v[30:31]
	s_nop 1
	v_div_fmas_f64 v[18:19], v[18:19], v[24:25], v[32:33]
	v_div_fixup_f64 v[22:23], v[18:19], v[22:23], 1.0
	v_fma_f64 v[18:19], v[16:17], v[20:21], v[14:15]
	v_fma_f64 v[14:15], -v[14:15], v[20:21], v[16:17]
	v_mul_f64 v[18:19], v[18:19], v[22:23]
	v_mul_f64 v[20:21], v[14:15], v[22:23]
.LBB233_67:                             ;   in Loop: Header=BB233_61 Depth=1
	s_add_i32 s10, s14, s17
	s_lshl_b32 s10, s10, 4
	s_add_i32 s10, s10, -16
	v_mov_b32_e32 v14, s10
	ds_read_b128 v[22:25], v14
	s_addk_i32 s18, 0xfe30
	v_mov_b32_e32 v14, s18
	ds_read_b128 v[14:17], v14
	ds_write_b128 v29, v[18:21]
	s_waitcnt lgkmcnt(2)
	v_mul_f64 v[30:31], v[20:21], v[24:25]
	v_fma_f64 v[30:31], v[18:19], v[22:23], -v[30:31]
	v_mul_f64 v[24:25], v[18:19], v[24:25]
	v_fmac_f64_e32 v[24:25], v[20:21], v[22:23]
	v_add_f64 v[22:23], v[10:11], -v[30:31]
	s_waitcnt lgkmcnt(1)
	v_xor_b32_e32 v10, 0x80000000, v15
	v_cmp_gt_f64_e32 vcc, 0, v[14:15]
	v_add_f64 v[24:25], v[12:13], -v[24:25]
	v_cndmask_b32_e32 v11, v15, v10, vcc
	v_xor_b32_e32 v12, 0x80000000, v17
	v_cmp_gt_f64_e32 vcc, 0, v[16:17]
	v_mov_b32_e32 v10, v14
	v_cndmask_b32_e32 v13, v17, v12, vcc
	v_mov_b32_e32 v12, v16
	v_cmp_ngt_f64_e32 vcc, v[10:11], v[12:13]
	s_cbranch_vccz .LBB233_69
; %bb.68:                               ;   in Loop: Header=BB233_61 Depth=1
	v_div_scale_f64 v[10:11], s[10:11], v[16:17], v[16:17], v[14:15]
	v_rcp_f64_e32 v[12:13], v[10:11]
	v_div_scale_f64 v[30:31], vcc, v[14:15], v[16:17], v[14:15]
	v_fma_f64 v[32:33], -v[10:11], v[12:13], 1.0
	v_fmac_f64_e32 v[12:13], v[12:13], v[32:33]
	v_fma_f64 v[32:33], -v[10:11], v[12:13], 1.0
	v_fmac_f64_e32 v[12:13], v[12:13], v[32:33]
	v_mul_f64 v[32:33], v[30:31], v[12:13]
	v_fma_f64 v[10:11], -v[10:11], v[32:33], v[30:31]
	v_div_fmas_f64 v[10:11], v[10:11], v[12:13], v[32:33]
	v_div_fixup_f64 v[12:13], v[10:11], v[16:17], v[14:15]
	v_fma_f64 v[10:11], v[14:15], v[12:13], v[16:17]
	v_div_scale_f64 v[30:31], s[10:11], v[10:11], v[10:11], 1.0
	v_rcp_f64_e32 v[32:33], v[30:31]
	v_fma_f64 v[34:35], -v[30:31], v[32:33], 1.0
	v_fmac_f64_e32 v[32:33], v[32:33], v[34:35]
	v_fma_f64 v[34:35], -v[30:31], v[32:33], 1.0
	v_fmac_f64_e32 v[32:33], v[32:33], v[34:35]
	v_div_scale_f64 v[34:35], vcc, 1.0, v[10:11], 1.0
	v_mul_f64 v[36:37], v[34:35], v[32:33]
	v_fma_f64 v[30:31], -v[30:31], v[36:37], v[34:35]
	s_nop 1
	v_div_fmas_f64 v[30:31], v[30:31], v[32:33], v[36:37]
	v_div_fixup_f64 v[30:31], v[30:31], v[10:11], 1.0
	v_fma_f64 v[10:11], v[12:13], v[22:23], v[24:25]
	v_fma_f64 v[12:13], v[12:13], v[24:25], -v[22:23]
	v_mul_f64 v[10:11], v[10:11], v[30:31]
	v_mul_f64 v[12:13], v[12:13], v[30:31]
	s_cbranch_execz .LBB233_70
	s_branch .LBB233_71
.LBB233_69:                             ;   in Loop: Header=BB233_61 Depth=1
                                        ; implicit-def: $vgpr12_vgpr13
.LBB233_70:                             ;   in Loop: Header=BB233_61 Depth=1
	v_div_scale_f64 v[10:11], s[10:11], v[14:15], v[14:15], v[16:17]
	v_rcp_f64_e32 v[12:13], v[10:11]
	v_div_scale_f64 v[30:31], vcc, v[16:17], v[14:15], v[16:17]
	v_fma_f64 v[32:33], -v[10:11], v[12:13], 1.0
	v_fmac_f64_e32 v[12:13], v[12:13], v[32:33]
	v_fma_f64 v[32:33], -v[10:11], v[12:13], 1.0
	v_fmac_f64_e32 v[12:13], v[12:13], v[32:33]
	v_mul_f64 v[32:33], v[30:31], v[12:13]
	v_fma_f64 v[10:11], -v[10:11], v[32:33], v[30:31]
	v_div_fmas_f64 v[10:11], v[10:11], v[12:13], v[32:33]
	v_div_fixup_f64 v[12:13], v[10:11], v[14:15], v[16:17]
	v_fmac_f64_e32 v[14:15], v[16:17], v[12:13]
	v_div_scale_f64 v[10:11], s[10:11], v[14:15], v[14:15], 1.0
	v_rcp_f64_e32 v[16:17], v[10:11]
	v_fma_f64 v[30:31], -v[10:11], v[16:17], 1.0
	v_fmac_f64_e32 v[16:17], v[16:17], v[30:31]
	v_fma_f64 v[30:31], -v[10:11], v[16:17], 1.0
	v_fmac_f64_e32 v[16:17], v[16:17], v[30:31]
	v_div_scale_f64 v[30:31], vcc, 1.0, v[14:15], 1.0
	v_mul_f64 v[32:33], v[30:31], v[16:17]
	v_fma_f64 v[10:11], -v[10:11], v[32:33], v[30:31]
	s_nop 1
	v_div_fmas_f64 v[10:11], v[10:11], v[16:17], v[32:33]
	v_div_fixup_f64 v[14:15], v[10:11], v[14:15], 1.0
	v_fma_f64 v[10:11], v[12:13], v[24:25], v[22:23]
	v_fma_f64 v[12:13], -v[12:13], v[22:23], v[24:25]
	v_mul_f64 v[10:11], v[10:11], v[14:15]
	v_mul_f64 v[12:13], v[12:13], v[14:15]
.LBB233_71:                             ;   in Loop: Header=BB233_61 Depth=1
	s_add_i32 s10, s14, -2
	s_add_i32 s11, s17, s10
	s_lshl_b32 s11, s11, 4
	v_mov_b32_e32 v14, s11
	s_add_i32 s10, s16, s10
	ds_read_b128 v[14:17], v14
	s_lshl_b32 s10, s10, 4
	v_mov_b32_e32 v22, s10
	ds_read_b128 v[22:25], v22
	ds_write_b128 v28, v[10:13]
	s_waitcnt lgkmcnt(2)
	v_mul_f64 v[28:29], v[20:21], v[16:17]
	v_fma_f64 v[28:29], v[18:19], v[14:15], -v[28:29]
	v_mul_f64 v[16:17], v[18:19], v[16:17]
	v_fmac_f64_e32 v[16:17], v[20:21], v[14:15]
	v_add_f64 v[14:15], v[6:7], -v[28:29]
	s_waitcnt lgkmcnt(1)
	v_mul_f64 v[6:7], v[12:13], v[24:25]
	s_addk_i32 s18, 0xfe30
	v_fma_f64 v[28:29], v[10:11], v[22:23], -v[6:7]
	v_mov_b32_e32 v6, s18
	v_add_f64 v[16:17], v[8:9], -v[16:17]
	ds_read_b128 v[6:9], v6
	v_mul_f64 v[24:25], v[10:11], v[24:25]
	v_fmac_f64_e32 v[24:25], v[12:13], v[22:23]
	v_add_f64 v[22:23], v[14:15], -v[28:29]
	v_add_f64 v[24:25], v[16:17], -v[24:25]
	s_waitcnt lgkmcnt(0)
	v_xor_b32_e32 v14, 0x80000000, v7
	v_cmp_gt_f64_e32 vcc, 0, v[6:7]
	v_cndmask_b32_e32 v15, v7, v14, vcc
	v_xor_b32_e32 v16, 0x80000000, v9
	v_cmp_gt_f64_e32 vcc, 0, v[8:9]
	v_mov_b32_e32 v14, v6
	v_cndmask_b32_e32 v17, v9, v16, vcc
	v_mov_b32_e32 v16, v8
	v_cmp_ngt_f64_e32 vcc, v[14:15], v[16:17]
	s_cbranch_vccz .LBB233_73
; %bb.72:                               ;   in Loop: Header=BB233_61 Depth=1
	v_div_scale_f64 v[14:15], s[10:11], v[8:9], v[8:9], v[6:7]
	v_rcp_f64_e32 v[16:17], v[14:15]
	v_div_scale_f64 v[28:29], vcc, v[6:7], v[8:9], v[6:7]
	v_fma_f64 v[30:31], -v[14:15], v[16:17], 1.0
	v_fmac_f64_e32 v[16:17], v[16:17], v[30:31]
	v_fma_f64 v[30:31], -v[14:15], v[16:17], 1.0
	v_fmac_f64_e32 v[16:17], v[16:17], v[30:31]
	v_mul_f64 v[30:31], v[28:29], v[16:17]
	v_fma_f64 v[14:15], -v[14:15], v[30:31], v[28:29]
	v_div_fmas_f64 v[14:15], v[14:15], v[16:17], v[30:31]
	v_div_fixup_f64 v[16:17], v[14:15], v[8:9], v[6:7]
	v_fma_f64 v[14:15], v[6:7], v[16:17], v[8:9]
	v_div_scale_f64 v[28:29], s[10:11], v[14:15], v[14:15], 1.0
	v_rcp_f64_e32 v[30:31], v[28:29]
	v_fma_f64 v[32:33], -v[28:29], v[30:31], 1.0
	v_fmac_f64_e32 v[30:31], v[30:31], v[32:33]
	v_fma_f64 v[32:33], -v[28:29], v[30:31], 1.0
	v_fmac_f64_e32 v[30:31], v[30:31], v[32:33]
	v_div_scale_f64 v[32:33], vcc, 1.0, v[14:15], 1.0
	v_mul_f64 v[34:35], v[32:33], v[30:31]
	v_fma_f64 v[28:29], -v[28:29], v[34:35], v[32:33]
	s_nop 1
	v_div_fmas_f64 v[28:29], v[28:29], v[30:31], v[34:35]
	v_div_fixup_f64 v[28:29], v[28:29], v[14:15], 1.0
	v_fma_f64 v[14:15], v[16:17], v[22:23], v[24:25]
	v_fma_f64 v[16:17], v[16:17], v[24:25], -v[22:23]
	v_mul_f64 v[14:15], v[14:15], v[28:29]
	v_mul_f64 v[16:17], v[16:17], v[28:29]
	s_cbranch_execz .LBB233_74
	s_branch .LBB233_75
.LBB233_73:                             ;   in Loop: Header=BB233_61 Depth=1
                                        ; implicit-def: $vgpr16_vgpr17
.LBB233_74:                             ;   in Loop: Header=BB233_61 Depth=1
	v_div_scale_f64 v[14:15], s[10:11], v[6:7], v[6:7], v[8:9]
	v_rcp_f64_e32 v[16:17], v[14:15]
	v_div_scale_f64 v[28:29], vcc, v[8:9], v[6:7], v[8:9]
	v_fma_f64 v[30:31], -v[14:15], v[16:17], 1.0
	v_fmac_f64_e32 v[16:17], v[16:17], v[30:31]
	v_fma_f64 v[30:31], -v[14:15], v[16:17], 1.0
	v_fmac_f64_e32 v[16:17], v[16:17], v[30:31]
	v_mul_f64 v[30:31], v[28:29], v[16:17]
	v_fma_f64 v[14:15], -v[14:15], v[30:31], v[28:29]
	v_div_fmas_f64 v[14:15], v[14:15], v[16:17], v[30:31]
	v_div_fixup_f64 v[16:17], v[14:15], v[6:7], v[8:9]
	v_fmac_f64_e32 v[6:7], v[8:9], v[16:17]
	v_div_scale_f64 v[8:9], s[10:11], v[6:7], v[6:7], 1.0
	v_rcp_f64_e32 v[14:15], v[8:9]
	v_fma_f64 v[28:29], -v[8:9], v[14:15], 1.0
	v_fmac_f64_e32 v[14:15], v[14:15], v[28:29]
	v_fma_f64 v[28:29], -v[8:9], v[14:15], 1.0
	v_fmac_f64_e32 v[14:15], v[14:15], v[28:29]
	v_div_scale_f64 v[28:29], vcc, 1.0, v[6:7], 1.0
	v_mul_f64 v[30:31], v[28:29], v[14:15]
	v_fma_f64 v[8:9], -v[8:9], v[30:31], v[28:29]
	s_nop 1
	v_div_fmas_f64 v[8:9], v[8:9], v[14:15], v[30:31]
	v_div_fixup_f64 v[6:7], v[8:9], v[6:7], 1.0
	v_fma_f64 v[8:9], v[16:17], v[24:25], v[22:23]
	v_mul_f64 v[14:15], v[8:9], v[6:7]
	v_fma_f64 v[8:9], -v[16:17], v[22:23], v[24:25]
	v_mul_f64 v[16:17], v[8:9], v[6:7]
.LBB233_75:                             ;   in Loop: Header=BB233_61 Depth=1
	s_add_i32 s10, s14, -3
	s_add_i32 s17, s17, s10
	s_lshl_b32 s11, s17, 4
	s_add_i32 s16, s16, s10
	v_mov_b32_e32 v6, s11
	s_lshl_b32 s11, s16, 4
	ds_read_b128 v[6:9], v6
	v_mov_b32_e32 v22, s11
	ds_read_b128 v[22:25], v22
	s_add_i32 s15, s15, s10
	s_lshl_b32 s10, s15, 4
	s_waitcnt lgkmcnt(1)
	v_mul_f64 v[28:29], v[20:21], v[8:9]
	v_mul_f64 v[8:9], v[18:19], v[8:9]
	v_fma_f64 v[28:29], v[18:19], v[6:7], -v[28:29]
	v_fmac_f64_e32 v[8:9], v[20:21], v[6:7]
	s_waitcnt lgkmcnt(0)
	v_mul_f64 v[6:7], v[12:13], v[24:25]
	v_add_f64 v[2:3], v[2:3], -v[28:29]
	v_fma_f64 v[6:7], v[10:11], v[22:23], -v[6:7]
	v_mul_f64 v[10:11], v[10:11], v[24:25]
	v_fmac_f64_e32 v[10:11], v[12:13], v[22:23]
	v_add_f64 v[12:13], v[2:3], -v[6:7]
	v_mov_b32_e32 v2, s10
	s_add_i32 s10, s18, 0xfffffe30
	v_add_f64 v[4:5], v[4:5], -v[8:9]
	ds_read_b128 v[6:9], v2
	v_mov_b32_e32 v2, s10
	v_add_f64 v[18:19], v[4:5], -v[10:11]
	ds_read_b128 v[2:5], v2
	ds_write_b128 v27, v[14:17]
	s_waitcnt lgkmcnt(2)
	v_mul_f64 v[10:11], v[16:17], v[8:9]
	v_mul_f64 v[8:9], v[14:15], v[8:9]
	v_fma_f64 v[10:11], v[14:15], v[6:7], -v[10:11]
	v_fmac_f64_e32 v[8:9], v[16:17], v[6:7]
	s_waitcnt lgkmcnt(1)
	v_xor_b32_e32 v6, 0x80000000, v3
	v_cmp_gt_f64_e32 vcc, 0, v[2:3]
	v_add_f64 v[10:11], v[12:13], -v[10:11]
	v_add_f64 v[12:13], v[18:19], -v[8:9]
	v_cndmask_b32_e32 v7, v3, v6, vcc
	v_xor_b32_e32 v8, 0x80000000, v5
	v_cmp_gt_f64_e32 vcc, 0, v[4:5]
	v_mov_b32_e32 v6, v2
	v_cndmask_b32_e32 v9, v5, v8, vcc
	v_mov_b32_e32 v8, v4
	v_cmp_ngt_f64_e32 vcc, v[6:7], v[8:9]
	s_cbranch_vccz .LBB233_77
; %bb.76:                               ;   in Loop: Header=BB233_61 Depth=1
	v_div_scale_f64 v[6:7], s[10:11], v[4:5], v[4:5], v[2:3]
	v_rcp_f64_e32 v[8:9], v[6:7]
	v_div_scale_f64 v[14:15], vcc, v[2:3], v[4:5], v[2:3]
	v_fma_f64 v[16:17], -v[6:7], v[8:9], 1.0
	v_fmac_f64_e32 v[8:9], v[8:9], v[16:17]
	v_fma_f64 v[16:17], -v[6:7], v[8:9], 1.0
	v_fmac_f64_e32 v[8:9], v[8:9], v[16:17]
	v_mul_f64 v[16:17], v[14:15], v[8:9]
	v_fma_f64 v[6:7], -v[6:7], v[16:17], v[14:15]
	v_div_fmas_f64 v[6:7], v[6:7], v[8:9], v[16:17]
	v_div_fixup_f64 v[8:9], v[6:7], v[4:5], v[2:3]
	v_fma_f64 v[6:7], v[2:3], v[8:9], v[4:5]
	v_div_scale_f64 v[14:15], s[10:11], v[6:7], v[6:7], 1.0
	v_rcp_f64_e32 v[16:17], v[14:15]
	v_fma_f64 v[18:19], -v[14:15], v[16:17], 1.0
	v_fmac_f64_e32 v[16:17], v[16:17], v[18:19]
	v_fma_f64 v[18:19], -v[14:15], v[16:17], 1.0
	v_fmac_f64_e32 v[16:17], v[16:17], v[18:19]
	v_div_scale_f64 v[18:19], vcc, 1.0, v[6:7], 1.0
	v_mul_f64 v[20:21], v[18:19], v[16:17]
	v_fma_f64 v[14:15], -v[14:15], v[20:21], v[18:19]
	s_nop 1
	v_div_fmas_f64 v[14:15], v[14:15], v[16:17], v[20:21]
	v_div_fixup_f64 v[14:15], v[14:15], v[6:7], 1.0
	v_fma_f64 v[6:7], v[8:9], v[10:11], v[12:13]
	v_fma_f64 v[8:9], v[8:9], v[12:13], -v[10:11]
	v_mul_f64 v[6:7], v[6:7], v[14:15]
	v_mul_f64 v[8:9], v[8:9], v[14:15]
	s_cbranch_execz .LBB233_78
	s_branch .LBB233_79
.LBB233_77:                             ;   in Loop: Header=BB233_61 Depth=1
                                        ; implicit-def: $vgpr8_vgpr9
.LBB233_78:                             ;   in Loop: Header=BB233_61 Depth=1
	v_div_scale_f64 v[6:7], s[10:11], v[2:3], v[2:3], v[4:5]
	v_rcp_f64_e32 v[8:9], v[6:7]
	v_div_scale_f64 v[14:15], vcc, v[4:5], v[2:3], v[4:5]
	v_fma_f64 v[16:17], -v[6:7], v[8:9], 1.0
	v_fmac_f64_e32 v[8:9], v[8:9], v[16:17]
	v_fma_f64 v[16:17], -v[6:7], v[8:9], 1.0
	v_fmac_f64_e32 v[8:9], v[8:9], v[16:17]
	v_mul_f64 v[16:17], v[14:15], v[8:9]
	v_fma_f64 v[6:7], -v[6:7], v[16:17], v[14:15]
	v_div_fmas_f64 v[6:7], v[6:7], v[8:9], v[16:17]
	v_div_fixup_f64 v[8:9], v[6:7], v[2:3], v[4:5]
	v_fmac_f64_e32 v[2:3], v[4:5], v[8:9]
	v_div_scale_f64 v[4:5], s[10:11], v[2:3], v[2:3], 1.0
	v_rcp_f64_e32 v[6:7], v[4:5]
	v_fma_f64 v[14:15], -v[4:5], v[6:7], 1.0
	v_fmac_f64_e32 v[6:7], v[6:7], v[14:15]
	v_fma_f64 v[14:15], -v[4:5], v[6:7], 1.0
	v_fmac_f64_e32 v[6:7], v[6:7], v[14:15]
	v_div_scale_f64 v[14:15], vcc, 1.0, v[2:3], 1.0
	v_mul_f64 v[16:17], v[14:15], v[6:7]
	v_fma_f64 v[4:5], -v[4:5], v[16:17], v[14:15]
	s_nop 1
	v_div_fmas_f64 v[4:5], v[4:5], v[6:7], v[16:17]
	v_div_fixup_f64 v[2:3], v[4:5], v[2:3], 1.0
	v_fma_f64 v[4:5], v[8:9], v[12:13], v[10:11]
	v_mul_f64 v[6:7], v[4:5], v[2:3]
	v_fma_f64 v[4:5], -v[8:9], v[10:11], v[12:13]
	v_mul_f64 v[8:9], v[4:5], v[2:3]
.LBB233_79:                             ;   in Loop: Header=BB233_61 Depth=1
	s_add_i32 s15, s14, -4
	s_sub_i32 s1, s1, 64
	s_cmp_lt_i32 s14, 7
	ds_write_b128 v26, v[6:9]
	s_cbranch_scc1 .LBB233_81
; %bb.80:                               ;   in Loop: Header=BB233_61 Depth=1
	s_mov_b32 s14, s15
	s_branch .LBB233_61
.LBB233_81:
	s_cmp_lt_i32 s15, 0
	s_cbranch_scc1 .LBB233_90
; %bb.82:
	s_mul_i32 s10, s34, 0x1c0
	s_lshl_b32 s1, s15, 4
	s_add_i32 s1, s10, s1
	v_lshl_add_u32 v1, v0, 4, s10
	s_addk_i32 s1, 0xfe40
	v_add_u32_e32 v1, 0x2f40, v1
	s_branch .LBB233_84
.LBB233_83:                             ;   in Loop: Header=BB233_84 Depth=1
	s_add_i32 s10, s15, -1
	s_add_i32 s1, s1, -16
	s_cmp_lt_i32 s15, 1
	s_mov_b32 s15, s10
	ds_write_b128 v14, v[10:13]
	s_cbranch_scc1 .LBB233_90
.LBB233_84:                             ; =>This Loop Header: Depth=1
                                        ;     Child Loop BB233_85 Depth 2
	s_mul_i32 s10, s15, 28
	v_add_lshl_u32 v6, s10, v0, 4
	ds_read_b128 v[2:5], v6 offset:12544
	s_cmp_le_i32 s35, s15
	v_mov_b32_e32 v7, v1
	s_mov_b32 s10, s1
	s_mov_b32 s11, s35
	s_cbranch_scc1 .LBB233_86
.LBB233_85:                             ;   Parent Loop BB233_84 Depth=1
                                        ; =>  This Inner Loop Header: Depth=2
	v_mov_b32_e32 v12, s10
	ds_read_b128 v[8:11], v7
	ds_read_b128 v[12:15], v12
	s_add_i32 s11, s11, -1
	s_addk_i32 s10, 0xfe40
	v_add_u32_e32 v7, 0xfffffe40, v7
	s_cmp_le_i32 s11, s15
	s_waitcnt lgkmcnt(0)
	v_mul_f64 v[16:17], v[14:15], v[10:11]
	v_mul_f64 v[10:11], v[12:13], v[10:11]
	v_fma_f64 v[12:13], v[12:13], v[8:9], -v[16:17]
	v_fmac_f64_e32 v[10:11], v[14:15], v[8:9]
	v_add_f64 v[2:3], v[2:3], -v[12:13]
	v_add_f64 v[4:5], v[4:5], -v[10:11]
	s_cbranch_scc0 .LBB233_85
.LBB233_86:                             ;   in Loop: Header=BB233_84 Depth=1
	s_mul_i32 s10, s15, 0x1d0
	v_add_u32_e32 v14, 0x3100, v6
	v_mov_b32_e32 v6, s10
	ds_read_b128 v[6:9], v6
	s_waitcnt lgkmcnt(0)
	v_xor_b32_e32 v11, 0x80000000, v7
	v_cmp_gt_f64_e32 vcc, 0, v[6:7]
	v_xor_b32_e32 v12, 0x80000000, v9
	v_cndmask_b32_e32 v11, v7, v11, vcc
	v_cmp_gt_f64_e32 vcc, 0, v[8:9]
	v_mov_b32_e32 v10, v6
	v_cndmask_b32_e32 v13, v9, v12, vcc
	v_mov_b32_e32 v12, v8
	v_cmp_ngt_f64_e32 vcc, v[10:11], v[12:13]
	s_cbranch_vccz .LBB233_88
; %bb.87:                               ;   in Loop: Header=BB233_84 Depth=1
	v_div_scale_f64 v[10:11], s[10:11], v[8:9], v[8:9], v[6:7]
	v_rcp_f64_e32 v[12:13], v[10:11]
	v_div_scale_f64 v[16:17], vcc, v[6:7], v[8:9], v[6:7]
	v_fma_f64 v[18:19], -v[10:11], v[12:13], 1.0
	v_fmac_f64_e32 v[12:13], v[12:13], v[18:19]
	v_fma_f64 v[18:19], -v[10:11], v[12:13], 1.0
	v_fmac_f64_e32 v[12:13], v[12:13], v[18:19]
	v_mul_f64 v[18:19], v[16:17], v[12:13]
	v_fma_f64 v[10:11], -v[10:11], v[18:19], v[16:17]
	v_div_fmas_f64 v[10:11], v[10:11], v[12:13], v[18:19]
	v_div_fixup_f64 v[12:13], v[10:11], v[8:9], v[6:7]
	v_fma_f64 v[10:11], v[6:7], v[12:13], v[8:9]
	v_div_scale_f64 v[16:17], s[10:11], v[10:11], v[10:11], 1.0
	v_rcp_f64_e32 v[18:19], v[16:17]
	v_fma_f64 v[20:21], -v[16:17], v[18:19], 1.0
	v_fmac_f64_e32 v[18:19], v[18:19], v[20:21]
	v_fma_f64 v[20:21], -v[16:17], v[18:19], 1.0
	v_fmac_f64_e32 v[18:19], v[18:19], v[20:21]
	v_div_scale_f64 v[20:21], vcc, 1.0, v[10:11], 1.0
	v_mul_f64 v[22:23], v[20:21], v[18:19]
	v_fma_f64 v[16:17], -v[16:17], v[22:23], v[20:21]
	s_nop 1
	v_div_fmas_f64 v[16:17], v[16:17], v[18:19], v[22:23]
	v_div_fixup_f64 v[16:17], v[16:17], v[10:11], 1.0
	v_fma_f64 v[10:11], v[2:3], v[12:13], v[4:5]
	v_fma_f64 v[12:13], v[4:5], v[12:13], -v[2:3]
	v_mul_f64 v[10:11], v[10:11], v[16:17]
	v_mul_f64 v[12:13], v[12:13], v[16:17]
	s_cbranch_execnz .LBB233_83
	s_branch .LBB233_89
.LBB233_88:                             ;   in Loop: Header=BB233_84 Depth=1
                                        ; implicit-def: $vgpr10_vgpr11
.LBB233_89:                             ;   in Loop: Header=BB233_84 Depth=1
	v_div_scale_f64 v[10:11], s[10:11], v[6:7], v[6:7], v[8:9]
	v_rcp_f64_e32 v[12:13], v[10:11]
	v_div_scale_f64 v[16:17], vcc, v[8:9], v[6:7], v[8:9]
	v_fma_f64 v[18:19], -v[10:11], v[12:13], 1.0
	v_fmac_f64_e32 v[12:13], v[12:13], v[18:19]
	v_fma_f64 v[18:19], -v[10:11], v[12:13], 1.0
	v_fmac_f64_e32 v[12:13], v[12:13], v[18:19]
	v_mul_f64 v[18:19], v[16:17], v[12:13]
	v_fma_f64 v[10:11], -v[10:11], v[18:19], v[16:17]
	v_div_fmas_f64 v[10:11], v[10:11], v[12:13], v[18:19]
	v_div_fixup_f64 v[12:13], v[10:11], v[6:7], v[8:9]
	v_fmac_f64_e32 v[6:7], v[8:9], v[12:13]
	v_div_scale_f64 v[8:9], s[10:11], v[6:7], v[6:7], 1.0
	v_rcp_f64_e32 v[10:11], v[8:9]
	v_fma_f64 v[16:17], -v[8:9], v[10:11], 1.0
	v_fmac_f64_e32 v[10:11], v[10:11], v[16:17]
	v_fma_f64 v[16:17], -v[8:9], v[10:11], 1.0
	v_fmac_f64_e32 v[10:11], v[10:11], v[16:17]
	v_div_scale_f64 v[16:17], vcc, 1.0, v[6:7], 1.0
	v_mul_f64 v[18:19], v[16:17], v[10:11]
	v_fma_f64 v[8:9], -v[8:9], v[18:19], v[16:17]
	s_nop 1
	v_div_fmas_f64 v[8:9], v[8:9], v[10:11], v[18:19]
	v_div_fixup_f64 v[6:7], v[8:9], v[6:7], 1.0
	v_fma_f64 v[8:9], v[4:5], v[12:13], v[2:3]
	v_fma_f64 v[2:3], -v[2:3], v[12:13], v[4:5]
	v_mul_f64 v[10:11], v[8:9], v[6:7]
	v_mul_f64 v[12:13], v[2:3], v[6:7]
	s_branch .LBB233_83
.LBB233_90:
	s_mov_b64 s[14:15], 0
.LBB233_91:
	s_andn2_b64 vcc, exec, s[14:15]
	s_cbranch_vccnz .LBB233_123
; %bb.92:
	s_andn2_b64 vcc, exec, s[8:9]
	s_mul_i32 s1, s34, 0x1c0
	s_mov_b32 s14, s35
	s_cbranch_vccnz .LBB233_114
; %bb.93:
	v_lshl_add_u32 v1, v0, 4, s1
	s_mul_i32 s8, s34, 0x1d0
	v_add_u32_e32 v1, 0x2d80, v1
	s_add_i32 s10, s8, 0xfffff8e0
	s_mov_b32 s11, s35
.LBB233_94:                             ; =>This Loop Header: Depth=1
                                        ;     Child Loop BB233_95 Depth 2
	s_mul_i32 s14, s11, 28
	s_sub_i32 s15, s14, 56
	v_add_lshl_u32 v18, s14, v0, 4
	s_sub_i32 s16, s14, 28
	v_add_lshl_u32 v20, s15, v0, 4
	s_addk_i32 s14, 0xffac
	v_add_lshl_u32 v19, s16, v0, 4
	ds_read_b128 v[14:17], v18 offset:12544
	ds_read_b128 v[10:13], v19 offset:12544
	v_add_lshl_u32 v21, s14, v0, 4
	ds_read_b128 v[6:9], v20 offset:12544
	ds_read_b128 v[2:5], v21 offset:12544
	s_cmp_le_i32 s35, s11
	s_mov_b32 s8, s10
	v_mov_b32_e32 v22, v1
	s_mov_b32 s9, s35
	s_cbranch_scc1 .LBB233_96
.LBB233_95:                             ;   Parent Loop BB233_94 Depth=1
                                        ; =>  This Inner Loop Header: Depth=2
	v_mov_b32_e32 v23, s8
	ds_read_b128 v[24:27], v22 offset:448
	ds_read_b128 v[28:31], v22
	ds_read_b128 v[32:35], v23
	ds_read_b128 v[36:39], v23 offset:16
	ds_read_b128 v[40:43], v23 offset:1360
	;; [unrolled: 1-line block ×7, first 2 shown]
	s_add_i32 s9, s9, -2
	s_sub_i32 s8, s8, 32
	s_waitcnt lgkmcnt(5)
	v_mul_f64 v[64:65], v[26:27], v[42:43]
	v_mul_f64 v[42:43], v[24:25], v[42:43]
	s_waitcnt lgkmcnt(3)
	v_mul_f64 v[66:67], v[26:27], v[50:51]
	v_mul_f64 v[50:51], v[24:25], v[50:51]
	s_waitcnt lgkmcnt(1)
	v_mul_f64 v[68:69], v[26:27], v[58:59]
	v_mul_f64 v[58:59], v[24:25], v[58:59]
	v_mul_f64 v[70:71], v[26:27], v[38:39]
	v_mul_f64 v[38:39], v[24:25], v[38:39]
	;; [unrolled: 1-line block ×6, first 2 shown]
	s_waitcnt lgkmcnt(0)
	v_mul_f64 v[76:77], v[30:31], v[62:63]
	v_mul_f64 v[62:63], v[28:29], v[62:63]
	;; [unrolled: 1-line block ×4, first 2 shown]
	v_fma_f64 v[64:65], v[24:25], v[40:41], -v[64:65]
	v_fmac_f64_e32 v[42:43], v[26:27], v[40:41]
	v_fma_f64 v[40:41], v[24:25], v[48:49], -v[66:67]
	v_fmac_f64_e32 v[50:51], v[26:27], v[48:49]
	;; [unrolled: 2-line block ×8, first 2 shown]
	v_add_f64 v[14:15], v[14:15], -v[64:65]
	v_add_f64 v[16:17], v[16:17], -v[42:43]
	;; [unrolled: 1-line block ×8, first 2 shown]
	v_add_u32_e32 v22, 0xfffffc80, v22
	s_cmp_le_i32 s9, s11
	v_add_f64 v[14:15], v[14:15], -v[26:27]
	v_add_f64 v[16:17], v[16:17], -v[46:47]
	;; [unrolled: 1-line block ×8, first 2 shown]
	s_cbranch_scc0 .LBB233_95
.LBB233_96:                             ;   in Loop: Header=BB233_94 Depth=1
	s_mul_i32 s17, s11, 0x1d0
	v_add_u32_e32 v29, 0x3100, v18
	v_mov_b32_e32 v18, s17
	ds_read_b128 v[22:25], v18
	v_add_u32_e32 v28, 0x3100, v19
	v_add_u32_e32 v27, 0x3100, v20
	;; [unrolled: 1-line block ×3, first 2 shown]
	s_waitcnt lgkmcnt(0)
	v_xor_b32_e32 v19, 0x80000000, v23
	v_cmp_gt_f64_e32 vcc, 0, v[22:23]
	v_xor_b32_e32 v20, 0x80000000, v25
	v_cndmask_b32_e32 v19, v23, v19, vcc
	v_cmp_gt_f64_e32 vcc, 0, v[24:25]
	v_mov_b32_e32 v18, v22
	v_cndmask_b32_e32 v21, v25, v20, vcc
	v_mov_b32_e32 v20, v24
	v_cmp_ngt_f64_e32 vcc, v[18:19], v[20:21]
	s_cbranch_vccz .LBB233_98
; %bb.97:                               ;   in Loop: Header=BB233_94 Depth=1
	v_div_scale_f64 v[18:19], s[8:9], v[24:25], v[24:25], v[22:23]
	v_rcp_f64_e32 v[20:21], v[18:19]
	v_div_scale_f64 v[30:31], vcc, v[22:23], v[24:25], v[22:23]
	v_fma_f64 v[32:33], -v[18:19], v[20:21], 1.0
	v_fmac_f64_e32 v[20:21], v[20:21], v[32:33]
	v_fma_f64 v[32:33], -v[18:19], v[20:21], 1.0
	v_fmac_f64_e32 v[20:21], v[20:21], v[32:33]
	v_mul_f64 v[32:33], v[30:31], v[20:21]
	v_fma_f64 v[18:19], -v[18:19], v[32:33], v[30:31]
	v_div_fmas_f64 v[18:19], v[18:19], v[20:21], v[32:33]
	v_div_fixup_f64 v[20:21], v[18:19], v[24:25], v[22:23]
	v_fma_f64 v[18:19], v[22:23], v[20:21], v[24:25]
	v_div_scale_f64 v[30:31], s[8:9], v[18:19], v[18:19], 1.0
	v_rcp_f64_e32 v[32:33], v[30:31]
	v_fma_f64 v[34:35], -v[30:31], v[32:33], 1.0
	v_fmac_f64_e32 v[32:33], v[32:33], v[34:35]
	v_fma_f64 v[34:35], -v[30:31], v[32:33], 1.0
	v_fmac_f64_e32 v[32:33], v[32:33], v[34:35]
	v_div_scale_f64 v[34:35], vcc, 1.0, v[18:19], 1.0
	v_mul_f64 v[36:37], v[34:35], v[32:33]
	v_fma_f64 v[30:31], -v[30:31], v[36:37], v[34:35]
	s_nop 1
	v_div_fmas_f64 v[30:31], v[30:31], v[32:33], v[36:37]
	v_div_fixup_f64 v[30:31], v[30:31], v[18:19], 1.0
	v_fma_f64 v[18:19], v[14:15], v[20:21], v[16:17]
	v_fma_f64 v[20:21], v[16:17], v[20:21], -v[14:15]
	v_mul_f64 v[18:19], v[18:19], v[30:31]
	v_mul_f64 v[20:21], v[20:21], v[30:31]
	s_cbranch_execz .LBB233_99
	s_branch .LBB233_100
.LBB233_98:                             ;   in Loop: Header=BB233_94 Depth=1
                                        ; implicit-def: $vgpr20_vgpr21
.LBB233_99:                             ;   in Loop: Header=BB233_94 Depth=1
	v_div_scale_f64 v[18:19], s[8:9], v[22:23], v[22:23], v[24:25]
	v_rcp_f64_e32 v[20:21], v[18:19]
	v_div_scale_f64 v[30:31], vcc, v[24:25], v[22:23], v[24:25]
	v_fma_f64 v[32:33], -v[18:19], v[20:21], 1.0
	v_fmac_f64_e32 v[20:21], v[20:21], v[32:33]
	v_fma_f64 v[32:33], -v[18:19], v[20:21], 1.0
	v_fmac_f64_e32 v[20:21], v[20:21], v[32:33]
	v_mul_f64 v[32:33], v[30:31], v[20:21]
	v_fma_f64 v[18:19], -v[18:19], v[32:33], v[30:31]
	v_div_fmas_f64 v[18:19], v[18:19], v[20:21], v[32:33]
	v_div_fixup_f64 v[20:21], v[18:19], v[22:23], v[24:25]
	v_fmac_f64_e32 v[22:23], v[24:25], v[20:21]
	v_div_scale_f64 v[18:19], s[8:9], v[22:23], v[22:23], 1.0
	v_rcp_f64_e32 v[24:25], v[18:19]
	v_fma_f64 v[30:31], -v[18:19], v[24:25], 1.0
	v_fmac_f64_e32 v[24:25], v[24:25], v[30:31]
	v_fma_f64 v[30:31], -v[18:19], v[24:25], 1.0
	v_fmac_f64_e32 v[24:25], v[24:25], v[30:31]
	v_div_scale_f64 v[30:31], vcc, 1.0, v[22:23], 1.0
	v_mul_f64 v[32:33], v[30:31], v[24:25]
	v_fma_f64 v[18:19], -v[18:19], v[32:33], v[30:31]
	s_nop 1
	v_div_fmas_f64 v[18:19], v[18:19], v[24:25], v[32:33]
	v_div_fixup_f64 v[22:23], v[18:19], v[22:23], 1.0
	v_fma_f64 v[18:19], v[16:17], v[20:21], v[14:15]
	v_fma_f64 v[14:15], -v[14:15], v[20:21], v[16:17]
	v_mul_f64 v[18:19], v[18:19], v[22:23]
	v_mul_f64 v[20:21], v[14:15], v[22:23]
.LBB233_100:                            ;   in Loop: Header=BB233_94 Depth=1
	s_add_i32 s16, s16, s11
	s_lshl_b32 s8, s16, 4
	v_mov_b32_e32 v14, s8
	ds_read_b128 v[22:25], v14
	s_addk_i32 s17, 0xfe30
	v_mov_b32_e32 v14, s17
	ds_read_b128 v[14:17], v14
	ds_write_b128 v29, v[18:21]
	s_waitcnt lgkmcnt(2)
	v_mul_f64 v[30:31], v[20:21], v[24:25]
	v_fma_f64 v[30:31], v[18:19], v[22:23], -v[30:31]
	v_mul_f64 v[24:25], v[18:19], v[24:25]
	v_fmac_f64_e32 v[24:25], v[20:21], v[22:23]
	v_add_f64 v[22:23], v[10:11], -v[30:31]
	s_waitcnt lgkmcnt(1)
	v_xor_b32_e32 v10, 0x80000000, v15
	v_cmp_gt_f64_e32 vcc, 0, v[14:15]
	v_add_f64 v[24:25], v[12:13], -v[24:25]
	v_cndmask_b32_e32 v11, v15, v10, vcc
	v_xor_b32_e32 v12, 0x80000000, v17
	v_cmp_gt_f64_e32 vcc, 0, v[16:17]
	v_mov_b32_e32 v10, v14
	v_cndmask_b32_e32 v13, v17, v12, vcc
	v_mov_b32_e32 v12, v16
	v_cmp_ngt_f64_e32 vcc, v[10:11], v[12:13]
	s_cbranch_vccz .LBB233_102
; %bb.101:                              ;   in Loop: Header=BB233_94 Depth=1
	v_div_scale_f64 v[10:11], s[8:9], v[16:17], v[16:17], v[14:15]
	v_rcp_f64_e32 v[12:13], v[10:11]
	v_div_scale_f64 v[30:31], vcc, v[14:15], v[16:17], v[14:15]
	v_fma_f64 v[32:33], -v[10:11], v[12:13], 1.0
	v_fmac_f64_e32 v[12:13], v[12:13], v[32:33]
	v_fma_f64 v[32:33], -v[10:11], v[12:13], 1.0
	v_fmac_f64_e32 v[12:13], v[12:13], v[32:33]
	v_mul_f64 v[32:33], v[30:31], v[12:13]
	v_fma_f64 v[10:11], -v[10:11], v[32:33], v[30:31]
	v_div_fmas_f64 v[10:11], v[10:11], v[12:13], v[32:33]
	v_div_fixup_f64 v[12:13], v[10:11], v[16:17], v[14:15]
	v_fma_f64 v[10:11], v[14:15], v[12:13], v[16:17]
	v_div_scale_f64 v[30:31], s[8:9], v[10:11], v[10:11], 1.0
	v_rcp_f64_e32 v[32:33], v[30:31]
	v_fma_f64 v[34:35], -v[30:31], v[32:33], 1.0
	v_fmac_f64_e32 v[32:33], v[32:33], v[34:35]
	v_fma_f64 v[34:35], -v[30:31], v[32:33], 1.0
	v_fmac_f64_e32 v[32:33], v[32:33], v[34:35]
	v_div_scale_f64 v[34:35], vcc, 1.0, v[10:11], 1.0
	v_mul_f64 v[36:37], v[34:35], v[32:33]
	v_fma_f64 v[30:31], -v[30:31], v[36:37], v[34:35]
	s_nop 1
	v_div_fmas_f64 v[30:31], v[30:31], v[32:33], v[36:37]
	v_div_fixup_f64 v[30:31], v[30:31], v[10:11], 1.0
	v_fma_f64 v[10:11], v[12:13], v[22:23], v[24:25]
	v_fma_f64 v[12:13], v[12:13], v[24:25], -v[22:23]
	v_mul_f64 v[10:11], v[10:11], v[30:31]
	v_mul_f64 v[12:13], v[12:13], v[30:31]
	s_cbranch_execz .LBB233_103
	s_branch .LBB233_104
.LBB233_102:                            ;   in Loop: Header=BB233_94 Depth=1
                                        ; implicit-def: $vgpr12_vgpr13
.LBB233_103:                            ;   in Loop: Header=BB233_94 Depth=1
	v_div_scale_f64 v[10:11], s[8:9], v[14:15], v[14:15], v[16:17]
	v_rcp_f64_e32 v[12:13], v[10:11]
	v_div_scale_f64 v[30:31], vcc, v[16:17], v[14:15], v[16:17]
	v_fma_f64 v[32:33], -v[10:11], v[12:13], 1.0
	v_fmac_f64_e32 v[12:13], v[12:13], v[32:33]
	v_fma_f64 v[32:33], -v[10:11], v[12:13], 1.0
	v_fmac_f64_e32 v[12:13], v[12:13], v[32:33]
	v_mul_f64 v[32:33], v[30:31], v[12:13]
	v_fma_f64 v[10:11], -v[10:11], v[32:33], v[30:31]
	v_div_fmas_f64 v[10:11], v[10:11], v[12:13], v[32:33]
	v_div_fixup_f64 v[12:13], v[10:11], v[14:15], v[16:17]
	v_fmac_f64_e32 v[14:15], v[16:17], v[12:13]
	v_div_scale_f64 v[10:11], s[8:9], v[14:15], v[14:15], 1.0
	v_rcp_f64_e32 v[16:17], v[10:11]
	v_fma_f64 v[30:31], -v[10:11], v[16:17], 1.0
	v_fmac_f64_e32 v[16:17], v[16:17], v[30:31]
	v_fma_f64 v[30:31], -v[10:11], v[16:17], 1.0
	v_fmac_f64_e32 v[16:17], v[16:17], v[30:31]
	v_div_scale_f64 v[30:31], vcc, 1.0, v[14:15], 1.0
	v_mul_f64 v[32:33], v[30:31], v[16:17]
	v_fma_f64 v[10:11], -v[10:11], v[32:33], v[30:31]
	s_nop 1
	v_div_fmas_f64 v[10:11], v[10:11], v[16:17], v[32:33]
	v_div_fixup_f64 v[14:15], v[10:11], v[14:15], 1.0
	v_fma_f64 v[10:11], v[12:13], v[24:25], v[22:23]
	v_fma_f64 v[12:13], -v[12:13], v[22:23], v[24:25]
	v_mul_f64 v[10:11], v[10:11], v[14:15]
	v_mul_f64 v[12:13], v[12:13], v[14:15]
.LBB233_104:                            ;   in Loop: Header=BB233_94 Depth=1
	s_add_i32 s8, s15, s11
	s_add_i32 s16, s11, -1
	s_lshl_b32 s8, s8, 4
	v_mov_b32_e32 v14, s8
	s_add_i32 s15, s15, s16
	ds_read_b128 v[14:17], v14
	s_lshl_b32 s8, s15, 4
	v_mov_b32_e32 v22, s8
	ds_read_b128 v[22:25], v22
	ds_write_b128 v28, v[10:13]
	s_waitcnt lgkmcnt(2)
	v_mul_f64 v[28:29], v[20:21], v[16:17]
	v_fma_f64 v[28:29], v[18:19], v[14:15], -v[28:29]
	v_mul_f64 v[16:17], v[18:19], v[16:17]
	v_fmac_f64_e32 v[16:17], v[20:21], v[14:15]
	v_add_f64 v[14:15], v[6:7], -v[28:29]
	s_waitcnt lgkmcnt(1)
	v_mul_f64 v[6:7], v[12:13], v[24:25]
	s_add_i32 s15, s17, 0xfffffe30
	v_fma_f64 v[28:29], v[10:11], v[22:23], -v[6:7]
	v_mov_b32_e32 v6, s15
	v_add_f64 v[16:17], v[8:9], -v[16:17]
	ds_read_b128 v[6:9], v6
	v_mul_f64 v[24:25], v[10:11], v[24:25]
	v_fmac_f64_e32 v[24:25], v[12:13], v[22:23]
	v_add_f64 v[22:23], v[14:15], -v[28:29]
	v_add_f64 v[24:25], v[16:17], -v[24:25]
	s_waitcnt lgkmcnt(0)
	v_xor_b32_e32 v14, 0x80000000, v7
	v_cmp_gt_f64_e32 vcc, 0, v[6:7]
	v_cndmask_b32_e32 v15, v7, v14, vcc
	v_xor_b32_e32 v16, 0x80000000, v9
	v_cmp_gt_f64_e32 vcc, 0, v[8:9]
	v_mov_b32_e32 v14, v6
	v_cndmask_b32_e32 v17, v9, v16, vcc
	v_mov_b32_e32 v16, v8
	v_cmp_ngt_f64_e32 vcc, v[14:15], v[16:17]
	s_cbranch_vccz .LBB233_106
; %bb.105:                              ;   in Loop: Header=BB233_94 Depth=1
	v_div_scale_f64 v[14:15], s[8:9], v[8:9], v[8:9], v[6:7]
	v_rcp_f64_e32 v[16:17], v[14:15]
	v_div_scale_f64 v[28:29], vcc, v[6:7], v[8:9], v[6:7]
	v_fma_f64 v[30:31], -v[14:15], v[16:17], 1.0
	v_fmac_f64_e32 v[16:17], v[16:17], v[30:31]
	v_fma_f64 v[30:31], -v[14:15], v[16:17], 1.0
	v_fmac_f64_e32 v[16:17], v[16:17], v[30:31]
	v_mul_f64 v[30:31], v[28:29], v[16:17]
	v_fma_f64 v[14:15], -v[14:15], v[30:31], v[28:29]
	v_div_fmas_f64 v[14:15], v[14:15], v[16:17], v[30:31]
	v_div_fixup_f64 v[16:17], v[14:15], v[8:9], v[6:7]
	v_fma_f64 v[14:15], v[6:7], v[16:17], v[8:9]
	v_div_scale_f64 v[28:29], s[8:9], v[14:15], v[14:15], 1.0
	v_rcp_f64_e32 v[30:31], v[28:29]
	v_fma_f64 v[32:33], -v[28:29], v[30:31], 1.0
	v_fmac_f64_e32 v[30:31], v[30:31], v[32:33]
	v_fma_f64 v[32:33], -v[28:29], v[30:31], 1.0
	v_fmac_f64_e32 v[30:31], v[30:31], v[32:33]
	v_div_scale_f64 v[32:33], vcc, 1.0, v[14:15], 1.0
	v_mul_f64 v[34:35], v[32:33], v[30:31]
	v_fma_f64 v[28:29], -v[28:29], v[34:35], v[32:33]
	s_nop 1
	v_div_fmas_f64 v[28:29], v[28:29], v[30:31], v[34:35]
	v_div_fixup_f64 v[28:29], v[28:29], v[14:15], 1.0
	v_fma_f64 v[14:15], v[16:17], v[22:23], v[24:25]
	v_fma_f64 v[16:17], v[16:17], v[24:25], -v[22:23]
	v_mul_f64 v[14:15], v[14:15], v[28:29]
	v_mul_f64 v[16:17], v[16:17], v[28:29]
	s_cbranch_execz .LBB233_107
	s_branch .LBB233_108
.LBB233_106:                            ;   in Loop: Header=BB233_94 Depth=1
                                        ; implicit-def: $vgpr16_vgpr17
.LBB233_107:                            ;   in Loop: Header=BB233_94 Depth=1
	v_div_scale_f64 v[14:15], s[8:9], v[6:7], v[6:7], v[8:9]
	v_rcp_f64_e32 v[16:17], v[14:15]
	v_div_scale_f64 v[28:29], vcc, v[8:9], v[6:7], v[8:9]
	v_fma_f64 v[30:31], -v[14:15], v[16:17], 1.0
	v_fmac_f64_e32 v[16:17], v[16:17], v[30:31]
	v_fma_f64 v[30:31], -v[14:15], v[16:17], 1.0
	v_fmac_f64_e32 v[16:17], v[16:17], v[30:31]
	v_mul_f64 v[30:31], v[28:29], v[16:17]
	v_fma_f64 v[14:15], -v[14:15], v[30:31], v[28:29]
	v_div_fmas_f64 v[14:15], v[14:15], v[16:17], v[30:31]
	v_div_fixup_f64 v[16:17], v[14:15], v[6:7], v[8:9]
	v_fmac_f64_e32 v[6:7], v[8:9], v[16:17]
	v_div_scale_f64 v[8:9], s[8:9], v[6:7], v[6:7], 1.0
	v_rcp_f64_e32 v[14:15], v[8:9]
	v_fma_f64 v[28:29], -v[8:9], v[14:15], 1.0
	v_fmac_f64_e32 v[14:15], v[14:15], v[28:29]
	v_fma_f64 v[28:29], -v[8:9], v[14:15], 1.0
	v_fmac_f64_e32 v[14:15], v[14:15], v[28:29]
	v_div_scale_f64 v[28:29], vcc, 1.0, v[6:7], 1.0
	v_mul_f64 v[30:31], v[28:29], v[14:15]
	v_fma_f64 v[8:9], -v[8:9], v[30:31], v[28:29]
	s_nop 1
	v_div_fmas_f64 v[8:9], v[8:9], v[14:15], v[30:31]
	v_div_fixup_f64 v[6:7], v[8:9], v[6:7], 1.0
	v_fma_f64 v[8:9], v[16:17], v[24:25], v[22:23]
	v_mul_f64 v[14:15], v[8:9], v[6:7]
	v_fma_f64 v[8:9], -v[16:17], v[22:23], v[24:25]
	v_mul_f64 v[16:17], v[8:9], v[6:7]
.LBB233_108:                            ;   in Loop: Header=BB233_94 Depth=1
	s_add_i32 s8, s14, s11
	s_lshl_b32 s8, s8, 4
	s_add_i32 s14, s14, s16
	v_mov_b32_e32 v6, s8
	s_lshl_b32 s9, s14, 4
	ds_read_b128 v[6:9], v6
	v_mov_b32_e32 v22, s9
	ds_read_b128 v[22:25], v22
	s_sub_i32 s8, s8, 32
	ds_write_b128 v27, v[14:17]
	s_waitcnt lgkmcnt(2)
	v_mul_f64 v[28:29], v[20:21], v[8:9]
	v_mul_f64 v[8:9], v[18:19], v[8:9]
	v_fma_f64 v[28:29], v[18:19], v[6:7], -v[28:29]
	v_fmac_f64_e32 v[8:9], v[20:21], v[6:7]
	s_waitcnt lgkmcnt(1)
	v_mul_f64 v[6:7], v[12:13], v[24:25]
	v_add_f64 v[2:3], v[2:3], -v[28:29]
	v_fma_f64 v[6:7], v[10:11], v[22:23], -v[6:7]
	v_mul_f64 v[10:11], v[10:11], v[24:25]
	v_fmac_f64_e32 v[10:11], v[12:13], v[22:23]
	v_add_f64 v[12:13], v[2:3], -v[6:7]
	v_mov_b32_e32 v2, s8
	s_add_i32 s8, s15, 0xfffffe30
	v_add_f64 v[4:5], v[4:5], -v[8:9]
	ds_read_b128 v[6:9], v2
	v_mov_b32_e32 v2, s8
	v_add_f64 v[18:19], v[4:5], -v[10:11]
	ds_read_b128 v[2:5], v2
	s_waitcnt lgkmcnt(1)
	v_mul_f64 v[10:11], v[16:17], v[8:9]
	v_mul_f64 v[8:9], v[14:15], v[8:9]
	v_fma_f64 v[10:11], v[14:15], v[6:7], -v[10:11]
	v_fmac_f64_e32 v[8:9], v[16:17], v[6:7]
	s_waitcnt lgkmcnt(0)
	v_xor_b32_e32 v6, 0x80000000, v3
	v_cmp_gt_f64_e32 vcc, 0, v[2:3]
	v_add_f64 v[10:11], v[12:13], -v[10:11]
	v_add_f64 v[12:13], v[18:19], -v[8:9]
	v_cndmask_b32_e32 v7, v3, v6, vcc
	v_xor_b32_e32 v8, 0x80000000, v5
	v_cmp_gt_f64_e32 vcc, 0, v[4:5]
	v_mov_b32_e32 v6, v2
	v_cndmask_b32_e32 v9, v5, v8, vcc
	v_mov_b32_e32 v8, v4
	v_cmp_ngt_f64_e32 vcc, v[6:7], v[8:9]
	s_cbranch_vccz .LBB233_110
; %bb.109:                              ;   in Loop: Header=BB233_94 Depth=1
	v_div_scale_f64 v[6:7], s[8:9], v[4:5], v[4:5], v[2:3]
	v_rcp_f64_e32 v[8:9], v[6:7]
	v_div_scale_f64 v[14:15], vcc, v[2:3], v[4:5], v[2:3]
	v_fma_f64 v[16:17], -v[6:7], v[8:9], 1.0
	v_fmac_f64_e32 v[8:9], v[8:9], v[16:17]
	v_fma_f64 v[16:17], -v[6:7], v[8:9], 1.0
	v_fmac_f64_e32 v[8:9], v[8:9], v[16:17]
	v_mul_f64 v[16:17], v[14:15], v[8:9]
	v_fma_f64 v[6:7], -v[6:7], v[16:17], v[14:15]
	v_div_fmas_f64 v[6:7], v[6:7], v[8:9], v[16:17]
	v_div_fixup_f64 v[8:9], v[6:7], v[4:5], v[2:3]
	v_fma_f64 v[6:7], v[2:3], v[8:9], v[4:5]
	v_div_scale_f64 v[14:15], s[8:9], v[6:7], v[6:7], 1.0
	v_rcp_f64_e32 v[16:17], v[14:15]
	v_fma_f64 v[18:19], -v[14:15], v[16:17], 1.0
	v_fmac_f64_e32 v[16:17], v[16:17], v[18:19]
	v_fma_f64 v[18:19], -v[14:15], v[16:17], 1.0
	v_fmac_f64_e32 v[16:17], v[16:17], v[18:19]
	v_div_scale_f64 v[18:19], vcc, 1.0, v[6:7], 1.0
	v_mul_f64 v[20:21], v[18:19], v[16:17]
	v_fma_f64 v[14:15], -v[14:15], v[20:21], v[18:19]
	s_nop 1
	v_div_fmas_f64 v[14:15], v[14:15], v[16:17], v[20:21]
	v_div_fixup_f64 v[14:15], v[14:15], v[6:7], 1.0
	v_fma_f64 v[6:7], v[8:9], v[10:11], v[12:13]
	v_fma_f64 v[8:9], v[8:9], v[12:13], -v[10:11]
	v_mul_f64 v[6:7], v[6:7], v[14:15]
	v_mul_f64 v[8:9], v[8:9], v[14:15]
	s_cbranch_execz .LBB233_111
	s_branch .LBB233_112
.LBB233_110:                            ;   in Loop: Header=BB233_94 Depth=1
                                        ; implicit-def: $vgpr8_vgpr9
.LBB233_111:                            ;   in Loop: Header=BB233_94 Depth=1
	v_div_scale_f64 v[6:7], s[8:9], v[2:3], v[2:3], v[4:5]
	v_rcp_f64_e32 v[8:9], v[6:7]
	v_div_scale_f64 v[14:15], vcc, v[4:5], v[2:3], v[4:5]
	v_fma_f64 v[16:17], -v[6:7], v[8:9], 1.0
	v_fmac_f64_e32 v[8:9], v[8:9], v[16:17]
	v_fma_f64 v[16:17], -v[6:7], v[8:9], 1.0
	v_fmac_f64_e32 v[8:9], v[8:9], v[16:17]
	v_mul_f64 v[16:17], v[14:15], v[8:9]
	v_fma_f64 v[6:7], -v[6:7], v[16:17], v[14:15]
	v_div_fmas_f64 v[6:7], v[6:7], v[8:9], v[16:17]
	v_div_fixup_f64 v[8:9], v[6:7], v[2:3], v[4:5]
	v_fmac_f64_e32 v[2:3], v[4:5], v[8:9]
	v_div_scale_f64 v[4:5], s[8:9], v[2:3], v[2:3], 1.0
	v_rcp_f64_e32 v[6:7], v[4:5]
	v_fma_f64 v[14:15], -v[4:5], v[6:7], 1.0
	v_fmac_f64_e32 v[6:7], v[6:7], v[14:15]
	v_fma_f64 v[14:15], -v[4:5], v[6:7], 1.0
	v_fmac_f64_e32 v[6:7], v[6:7], v[14:15]
	v_div_scale_f64 v[14:15], vcc, 1.0, v[2:3], 1.0
	v_mul_f64 v[16:17], v[14:15], v[6:7]
	v_fma_f64 v[4:5], -v[4:5], v[16:17], v[14:15]
	s_nop 1
	v_div_fmas_f64 v[4:5], v[4:5], v[6:7], v[16:17]
	v_div_fixup_f64 v[2:3], v[4:5], v[2:3], 1.0
	v_fma_f64 v[4:5], v[8:9], v[12:13], v[10:11]
	v_mul_f64 v[6:7], v[4:5], v[2:3]
	v_fma_f64 v[4:5], -v[8:9], v[10:11], v[12:13]
	v_mul_f64 v[8:9], v[4:5], v[2:3]
.LBB233_112:                            ;   in Loop: Header=BB233_94 Depth=1
	s_add_i32 s14, s11, -4
	s_addk_i32 s10, 0xf900
	s_cmp_lt_i32 s11, 7
	ds_write_b128 v26, v[6:9]
	s_cbranch_scc1 .LBB233_114
; %bb.113:                              ;   in Loop: Header=BB233_94 Depth=1
	s_mov_b32 s11, s14
	s_branch .LBB233_94
.LBB233_114:
	s_cmp_lt_i32 s14, 0
	s_cbranch_scc1 .LBB233_123
; %bb.115:
	s_mul_i32 s8, s14, 0x1c0
	s_lshl_b32 s9, s34, 4
	s_add_i32 s8, s8, s9
	v_lshl_add_u32 v1, v0, 4, s1
	s_add_i32 s10, s8, -16
	v_add_u32_e32 v1, 0x2f40, v1
	s_branch .LBB233_117
.LBB233_116:                            ;   in Loop: Header=BB233_117 Depth=1
	s_add_i32 s1, s14, -1
	s_addk_i32 s10, 0xfe40
	s_cmp_lt_i32 s14, 1
	s_mov_b32 s14, s1
	ds_write_b128 v14, v[10:13]
	s_cbranch_scc1 .LBB233_123
.LBB233_117:                            ; =>This Loop Header: Depth=1
                                        ;     Child Loop BB233_118 Depth 2
	s_mul_i32 s1, s14, 28
	v_add_lshl_u32 v6, s1, v0, 4
	ds_read_b128 v[2:5], v6 offset:12544
	s_cmp_le_i32 s35, s14
	v_mov_b32_e32 v7, v1
	s_mov_b32 s1, s10
	s_mov_b32 s8, s35
	s_cbranch_scc1 .LBB233_119
.LBB233_118:                            ;   Parent Loop BB233_117 Depth=1
                                        ; =>  This Inner Loop Header: Depth=2
	v_mov_b32_e32 v12, s1
	ds_read_b128 v[8:11], v7
	ds_read_b128 v[12:15], v12
	s_add_i32 s8, s8, -1
	s_add_i32 s1, s1, -16
	v_add_u32_e32 v7, 0xfffffe40, v7
	s_cmp_le_i32 s8, s14
	s_waitcnt lgkmcnt(0)
	v_mul_f64 v[16:17], v[14:15], v[10:11]
	v_mul_f64 v[10:11], v[12:13], v[10:11]
	v_fma_f64 v[12:13], v[12:13], v[8:9], -v[16:17]
	v_fmac_f64_e32 v[10:11], v[14:15], v[8:9]
	v_add_f64 v[2:3], v[2:3], -v[12:13]
	v_add_f64 v[4:5], v[4:5], -v[10:11]
	s_cbranch_scc0 .LBB233_118
.LBB233_119:                            ;   in Loop: Header=BB233_117 Depth=1
	s_mul_i32 s1, s14, 0x1d0
	v_add_u32_e32 v14, 0x3100, v6
	v_mov_b32_e32 v6, s1
	ds_read_b128 v[6:9], v6
	s_waitcnt lgkmcnt(0)
	v_xor_b32_e32 v11, 0x80000000, v7
	v_cmp_gt_f64_e32 vcc, 0, v[6:7]
	v_xor_b32_e32 v12, 0x80000000, v9
	v_cndmask_b32_e32 v11, v7, v11, vcc
	v_cmp_gt_f64_e32 vcc, 0, v[8:9]
	v_mov_b32_e32 v10, v6
	v_cndmask_b32_e32 v13, v9, v12, vcc
	v_mov_b32_e32 v12, v8
	v_cmp_ngt_f64_e32 vcc, v[10:11], v[12:13]
	s_cbranch_vccz .LBB233_121
; %bb.120:                              ;   in Loop: Header=BB233_117 Depth=1
	v_div_scale_f64 v[10:11], s[8:9], v[8:9], v[8:9], v[6:7]
	v_rcp_f64_e32 v[12:13], v[10:11]
	v_div_scale_f64 v[16:17], vcc, v[6:7], v[8:9], v[6:7]
	v_fma_f64 v[18:19], -v[10:11], v[12:13], 1.0
	v_fmac_f64_e32 v[12:13], v[12:13], v[18:19]
	v_fma_f64 v[18:19], -v[10:11], v[12:13], 1.0
	v_fmac_f64_e32 v[12:13], v[12:13], v[18:19]
	v_mul_f64 v[18:19], v[16:17], v[12:13]
	v_fma_f64 v[10:11], -v[10:11], v[18:19], v[16:17]
	v_div_fmas_f64 v[10:11], v[10:11], v[12:13], v[18:19]
	v_div_fixup_f64 v[12:13], v[10:11], v[8:9], v[6:7]
	v_fma_f64 v[10:11], v[6:7], v[12:13], v[8:9]
	v_div_scale_f64 v[16:17], s[8:9], v[10:11], v[10:11], 1.0
	v_rcp_f64_e32 v[18:19], v[16:17]
	v_fma_f64 v[20:21], -v[16:17], v[18:19], 1.0
	v_fmac_f64_e32 v[18:19], v[18:19], v[20:21]
	v_fma_f64 v[20:21], -v[16:17], v[18:19], 1.0
	v_fmac_f64_e32 v[18:19], v[18:19], v[20:21]
	v_div_scale_f64 v[20:21], vcc, 1.0, v[10:11], 1.0
	v_mul_f64 v[22:23], v[20:21], v[18:19]
	v_fma_f64 v[16:17], -v[16:17], v[22:23], v[20:21]
	s_nop 1
	v_div_fmas_f64 v[16:17], v[16:17], v[18:19], v[22:23]
	v_div_fixup_f64 v[16:17], v[16:17], v[10:11], 1.0
	v_fma_f64 v[10:11], v[2:3], v[12:13], v[4:5]
	v_fma_f64 v[12:13], v[4:5], v[12:13], -v[2:3]
	v_mul_f64 v[10:11], v[10:11], v[16:17]
	v_mul_f64 v[12:13], v[12:13], v[16:17]
	s_cbranch_execnz .LBB233_116
	s_branch .LBB233_122
.LBB233_121:                            ;   in Loop: Header=BB233_117 Depth=1
                                        ; implicit-def: $vgpr10_vgpr11
.LBB233_122:                            ;   in Loop: Header=BB233_117 Depth=1
	v_div_scale_f64 v[10:11], s[8:9], v[6:7], v[6:7], v[8:9]
	v_rcp_f64_e32 v[12:13], v[10:11]
	v_div_scale_f64 v[16:17], vcc, v[8:9], v[6:7], v[8:9]
	v_fma_f64 v[18:19], -v[10:11], v[12:13], 1.0
	v_fmac_f64_e32 v[12:13], v[12:13], v[18:19]
	v_fma_f64 v[18:19], -v[10:11], v[12:13], 1.0
	v_fmac_f64_e32 v[12:13], v[12:13], v[18:19]
	v_mul_f64 v[18:19], v[16:17], v[12:13]
	v_fma_f64 v[10:11], -v[10:11], v[18:19], v[16:17]
	v_div_fmas_f64 v[10:11], v[10:11], v[12:13], v[18:19]
	v_div_fixup_f64 v[12:13], v[10:11], v[6:7], v[8:9]
	v_fmac_f64_e32 v[6:7], v[8:9], v[12:13]
	v_div_scale_f64 v[8:9], s[8:9], v[6:7], v[6:7], 1.0
	v_rcp_f64_e32 v[10:11], v[8:9]
	v_fma_f64 v[16:17], -v[8:9], v[10:11], 1.0
	v_fmac_f64_e32 v[10:11], v[10:11], v[16:17]
	v_fma_f64 v[16:17], -v[8:9], v[10:11], 1.0
	v_fmac_f64_e32 v[10:11], v[10:11], v[16:17]
	v_div_scale_f64 v[16:17], vcc, 1.0, v[6:7], 1.0
	v_mul_f64 v[18:19], v[16:17], v[10:11]
	v_fma_f64 v[8:9], -v[8:9], v[18:19], v[16:17]
	s_nop 1
	v_div_fmas_f64 v[8:9], v[8:9], v[10:11], v[18:19]
	v_div_fixup_f64 v[6:7], v[8:9], v[6:7], 1.0
	v_fma_f64 v[8:9], v[4:5], v[12:13], v[2:3]
	v_fma_f64 v[2:3], -v[2:3], v[12:13], v[4:5]
	v_mul_f64 v[10:11], v[8:9], v[6:7]
	v_mul_f64 v[12:13], v[2:3], v[6:7]
	s_branch .LBB233_116
.LBB233_123:
	s_mov_b64 s[14:15], 0
.LBB233_124:
	s_andn2_b64 vcc, exec, s[14:15]
	s_cbranch_vccnz .LBB233_163
; %bb.125:
	s_cmp_lt_i32 s33, 4
	s_mov_b32 s11, 0
	s_cbranch_scc1 .LBB233_148
; %bb.126:
	v_mov_b32_e32 v1, 0x3100
	v_lshl_add_u32 v1, v0, 4, v1
	s_mov_b32 s1, 0
	s_mov_b32 s10, 0
.LBB233_127:                            ; =>This Loop Header: Depth=1
                                        ;     Child Loop BB233_129 Depth 2
	s_mul_i32 s11, s10, 28
	s_add_i32 s14, s11, 56
	v_add_lshl_u32 v18, s11, v0, 4
	s_add_i32 s16, s11, 28
	v_add_lshl_u32 v20, s14, v0, 4
	s_addk_i32 s11, 0x54
	v_add_lshl_u32 v19, s16, v0, 4
	ds_read_b128 v[14:17], v18 offset:12544
	ds_read_b128 v[10:13], v19 offset:12544
	v_add_lshl_u32 v21, s11, v0, 4
	ds_read_b128 v[6:9], v20 offset:12544
	ds_read_b128 v[2:5], v21 offset:12544
	s_cmp_eq_u32 s10, 0
	s_cbranch_scc1 .LBB233_130
; %bb.128:                              ;   in Loop: Header=BB233_127 Depth=1
	s_mov_b32 s8, 0
	v_mov_b32_e32 v22, v1
	s_mov_b32 s9, s1
.LBB233_129:                            ;   Parent Loop BB233_127 Depth=1
                                        ; =>  This Inner Loop Header: Depth=2
	v_mov_b32_e32 v23, s9
	ds_read_b128 v[24:27], v22
	ds_read_b128 v[28:31], v22 offset:448
	ds_read_b128 v[32:35], v23
	ds_read_b128 v[36:39], v23 offset:16
	ds_read_b128 v[40:43], v23 offset:448
	;; [unrolled: 1-line block ×7, first 2 shown]
	s_add_i32 s8, s8, 2
	s_add_i32 s9, s9, 32
	s_waitcnt lgkmcnt(7)
	v_mul_f64 v[64:65], v[26:27], v[34:35]
	v_mul_f64 v[34:35], v[24:25], v[34:35]
	s_waitcnt lgkmcnt(5)
	v_mul_f64 v[66:67], v[26:27], v[42:43]
	v_mul_f64 v[42:43], v[24:25], v[42:43]
	;; [unrolled: 3-line block ×4, first 2 shown]
	v_mul_f64 v[72:73], v[30:31], v[38:39]
	v_mul_f64 v[38:39], v[28:29], v[38:39]
	;; [unrolled: 1-line block ×6, first 2 shown]
	s_waitcnt lgkmcnt(0)
	v_mul_f64 v[78:79], v[30:31], v[62:63]
	v_mul_f64 v[62:63], v[28:29], v[62:63]
	v_fma_f64 v[64:65], v[24:25], v[32:33], -v[64:65]
	v_fmac_f64_e32 v[34:35], v[26:27], v[32:33]
	v_fma_f64 v[32:33], v[24:25], v[40:41], -v[66:67]
	v_fmac_f64_e32 v[42:43], v[26:27], v[40:41]
	v_fma_f64 v[40:41], v[24:25], v[48:49], -v[68:69]
	v_fmac_f64_e32 v[50:51], v[26:27], v[48:49]
	v_fma_f64 v[24:25], v[24:25], v[56:57], -v[70:71]
	v_fmac_f64_e32 v[58:59], v[26:27], v[56:57]
	v_fma_f64 v[26:27], v[28:29], v[36:37], -v[72:73]
	v_fmac_f64_e32 v[38:39], v[30:31], v[36:37]
	v_fma_f64 v[36:37], v[28:29], v[44:45], -v[74:75]
	v_fmac_f64_e32 v[46:47], v[30:31], v[44:45]
	v_fma_f64 v[44:45], v[28:29], v[52:53], -v[76:77]
	v_fmac_f64_e32 v[54:55], v[30:31], v[52:53]
	v_fma_f64 v[28:29], v[28:29], v[60:61], -v[78:79]
	v_fmac_f64_e32 v[62:63], v[30:31], v[60:61]
	v_add_f64 v[14:15], v[14:15], -v[64:65]
	v_add_f64 v[16:17], v[16:17], -v[34:35]
	;; [unrolled: 1-line block ×8, first 2 shown]
	v_add_u32_e32 v22, 0x380, v22
	s_cmp_ge_u32 s8, s10
	v_add_f64 v[14:15], v[14:15], -v[26:27]
	v_add_f64 v[16:17], v[16:17], -v[38:39]
	;; [unrolled: 1-line block ×8, first 2 shown]
	s_cbranch_scc0 .LBB233_129
.LBB233_130:                            ;   in Loop: Header=BB233_127 Depth=1
	s_mul_i32 s15, s10, 0x1d0
	v_add_u32_e32 v29, 0x3100, v18
	v_mov_b32_e32 v18, s15
	ds_read_b128 v[22:25], v18
	v_add_u32_e32 v28, 0x3100, v19
	v_add_u32_e32 v27, 0x3100, v20
	;; [unrolled: 1-line block ×3, first 2 shown]
	s_waitcnt lgkmcnt(0)
	v_xor_b32_e32 v19, 0x80000000, v23
	v_cmp_gt_f64_e32 vcc, 0, v[22:23]
	v_xor_b32_e32 v20, 0x80000000, v25
	v_cndmask_b32_e32 v19, v23, v19, vcc
	v_cmp_gt_f64_e32 vcc, 0, v[24:25]
	v_mov_b32_e32 v18, v22
	v_cndmask_b32_e32 v21, v25, v20, vcc
	v_mov_b32_e32 v20, v24
	v_cmp_ngt_f64_e32 vcc, v[18:19], v[20:21]
	s_cbranch_vccz .LBB233_132
; %bb.131:                              ;   in Loop: Header=BB233_127 Depth=1
	v_div_scale_f64 v[18:19], s[8:9], v[24:25], v[24:25], v[22:23]
	v_rcp_f64_e32 v[20:21], v[18:19]
	v_div_scale_f64 v[30:31], vcc, v[22:23], v[24:25], v[22:23]
	v_fma_f64 v[32:33], -v[18:19], v[20:21], 1.0
	v_fmac_f64_e32 v[20:21], v[20:21], v[32:33]
	v_fma_f64 v[32:33], -v[18:19], v[20:21], 1.0
	v_fmac_f64_e32 v[20:21], v[20:21], v[32:33]
	v_mul_f64 v[32:33], v[30:31], v[20:21]
	v_fma_f64 v[18:19], -v[18:19], v[32:33], v[30:31]
	v_div_fmas_f64 v[18:19], v[18:19], v[20:21], v[32:33]
	v_div_fixup_f64 v[20:21], v[18:19], v[24:25], v[22:23]
	v_fma_f64 v[18:19], v[22:23], v[20:21], v[24:25]
	v_div_scale_f64 v[30:31], s[8:9], v[18:19], v[18:19], 1.0
	v_rcp_f64_e32 v[32:33], v[30:31]
	v_fma_f64 v[34:35], -v[30:31], v[32:33], 1.0
	v_fmac_f64_e32 v[32:33], v[32:33], v[34:35]
	v_fma_f64 v[34:35], -v[30:31], v[32:33], 1.0
	v_fmac_f64_e32 v[32:33], v[32:33], v[34:35]
	v_div_scale_f64 v[34:35], vcc, 1.0, v[18:19], 1.0
	v_mul_f64 v[36:37], v[34:35], v[32:33]
	v_fma_f64 v[30:31], -v[30:31], v[36:37], v[34:35]
	s_nop 1
	v_div_fmas_f64 v[30:31], v[30:31], v[32:33], v[36:37]
	v_div_fixup_f64 v[30:31], v[30:31], v[18:19], 1.0
	v_fma_f64 v[18:19], v[14:15], v[20:21], v[16:17]
	v_fma_f64 v[20:21], v[16:17], v[20:21], -v[14:15]
	v_mul_f64 v[18:19], v[18:19], v[30:31]
	v_mul_f64 v[20:21], v[20:21], v[30:31]
	s_cbranch_execz .LBB233_133
	s_branch .LBB233_134
.LBB233_132:                            ;   in Loop: Header=BB233_127 Depth=1
                                        ; implicit-def: $vgpr20_vgpr21
.LBB233_133:                            ;   in Loop: Header=BB233_127 Depth=1
	v_div_scale_f64 v[18:19], s[8:9], v[22:23], v[22:23], v[24:25]
	v_rcp_f64_e32 v[20:21], v[18:19]
	v_div_scale_f64 v[30:31], vcc, v[24:25], v[22:23], v[24:25]
	v_fma_f64 v[32:33], -v[18:19], v[20:21], 1.0
	v_fmac_f64_e32 v[20:21], v[20:21], v[32:33]
	v_fma_f64 v[32:33], -v[18:19], v[20:21], 1.0
	v_fmac_f64_e32 v[20:21], v[20:21], v[32:33]
	v_mul_f64 v[32:33], v[30:31], v[20:21]
	v_fma_f64 v[18:19], -v[18:19], v[32:33], v[30:31]
	v_div_fmas_f64 v[18:19], v[18:19], v[20:21], v[32:33]
	v_div_fixup_f64 v[20:21], v[18:19], v[22:23], v[24:25]
	v_fmac_f64_e32 v[22:23], v[24:25], v[20:21]
	v_div_scale_f64 v[18:19], s[8:9], v[22:23], v[22:23], 1.0
	v_rcp_f64_e32 v[24:25], v[18:19]
	v_fma_f64 v[30:31], -v[18:19], v[24:25], 1.0
	v_fmac_f64_e32 v[24:25], v[24:25], v[30:31]
	v_fma_f64 v[30:31], -v[18:19], v[24:25], 1.0
	v_fmac_f64_e32 v[24:25], v[24:25], v[30:31]
	v_div_scale_f64 v[30:31], vcc, 1.0, v[22:23], 1.0
	v_mul_f64 v[32:33], v[30:31], v[24:25]
	v_fma_f64 v[18:19], -v[18:19], v[32:33], v[30:31]
	s_nop 1
	v_div_fmas_f64 v[18:19], v[18:19], v[24:25], v[32:33]
	v_div_fixup_f64 v[22:23], v[18:19], v[22:23], 1.0
	v_fma_f64 v[18:19], v[16:17], v[20:21], v[14:15]
	v_fma_f64 v[14:15], -v[14:15], v[20:21], v[16:17]
	v_mul_f64 v[18:19], v[18:19], v[22:23]
	v_mul_f64 v[20:21], v[14:15], v[22:23]
.LBB233_134:                            ;   in Loop: Header=BB233_127 Depth=1
	s_add_i32 s16, s16, s10
	s_lshl_b32 s8, s16, 4
	v_mov_b32_e32 v14, s8
	ds_read_b128 v[22:25], v14
	v_mov_b32_e32 v14, s15
	ds_read_b128 v[14:17], v14 offset:464
	ds_write_b128 v29, v[18:21]
	s_waitcnt lgkmcnt(2)
	v_mul_f64 v[30:31], v[20:21], v[24:25]
	v_mul_f64 v[24:25], v[18:19], v[24:25]
	v_fma_f64 v[30:31], v[18:19], v[22:23], -v[30:31]
	v_fmac_f64_e32 v[24:25], v[20:21], v[22:23]
	v_add_f64 v[22:23], v[10:11], -v[30:31]
	s_waitcnt lgkmcnt(1)
	v_xor_b32_e32 v10, 0x80000000, v15
	v_cmp_gt_f64_e32 vcc, 0, v[14:15]
	v_add_f64 v[24:25], v[12:13], -v[24:25]
	v_cndmask_b32_e32 v11, v15, v10, vcc
	v_xor_b32_e32 v12, 0x80000000, v17
	v_cmp_gt_f64_e32 vcc, 0, v[16:17]
	v_mov_b32_e32 v10, v14
	v_cndmask_b32_e32 v13, v17, v12, vcc
	v_mov_b32_e32 v12, v16
	v_cmp_ngt_f64_e32 vcc, v[10:11], v[12:13]
	s_cbranch_vccz .LBB233_136
; %bb.135:                              ;   in Loop: Header=BB233_127 Depth=1
	v_div_scale_f64 v[10:11], s[8:9], v[16:17], v[16:17], v[14:15]
	v_rcp_f64_e32 v[12:13], v[10:11]
	v_div_scale_f64 v[30:31], vcc, v[14:15], v[16:17], v[14:15]
	v_fma_f64 v[32:33], -v[10:11], v[12:13], 1.0
	v_fmac_f64_e32 v[12:13], v[12:13], v[32:33]
	v_fma_f64 v[32:33], -v[10:11], v[12:13], 1.0
	v_fmac_f64_e32 v[12:13], v[12:13], v[32:33]
	v_mul_f64 v[32:33], v[30:31], v[12:13]
	v_fma_f64 v[10:11], -v[10:11], v[32:33], v[30:31]
	v_div_fmas_f64 v[10:11], v[10:11], v[12:13], v[32:33]
	v_div_fixup_f64 v[12:13], v[10:11], v[16:17], v[14:15]
	v_fma_f64 v[10:11], v[14:15], v[12:13], v[16:17]
	v_div_scale_f64 v[30:31], s[8:9], v[10:11], v[10:11], 1.0
	v_rcp_f64_e32 v[32:33], v[30:31]
	v_fma_f64 v[34:35], -v[30:31], v[32:33], 1.0
	v_fmac_f64_e32 v[32:33], v[32:33], v[34:35]
	v_fma_f64 v[34:35], -v[30:31], v[32:33], 1.0
	v_fmac_f64_e32 v[32:33], v[32:33], v[34:35]
	v_div_scale_f64 v[34:35], vcc, 1.0, v[10:11], 1.0
	v_mul_f64 v[36:37], v[34:35], v[32:33]
	v_fma_f64 v[30:31], -v[30:31], v[36:37], v[34:35]
	s_nop 1
	v_div_fmas_f64 v[30:31], v[30:31], v[32:33], v[36:37]
	v_div_fixup_f64 v[30:31], v[30:31], v[10:11], 1.0
	v_fma_f64 v[10:11], v[12:13], v[22:23], v[24:25]
	v_fma_f64 v[12:13], v[12:13], v[24:25], -v[22:23]
	v_mul_f64 v[10:11], v[10:11], v[30:31]
	v_mul_f64 v[12:13], v[12:13], v[30:31]
	s_cbranch_execz .LBB233_137
	s_branch .LBB233_138
.LBB233_136:                            ;   in Loop: Header=BB233_127 Depth=1
                                        ; implicit-def: $vgpr12_vgpr13
.LBB233_137:                            ;   in Loop: Header=BB233_127 Depth=1
	v_div_scale_f64 v[10:11], s[8:9], v[14:15], v[14:15], v[16:17]
	v_rcp_f64_e32 v[12:13], v[10:11]
	v_div_scale_f64 v[30:31], vcc, v[16:17], v[14:15], v[16:17]
	v_fma_f64 v[32:33], -v[10:11], v[12:13], 1.0
	v_fmac_f64_e32 v[12:13], v[12:13], v[32:33]
	v_fma_f64 v[32:33], -v[10:11], v[12:13], 1.0
	v_fmac_f64_e32 v[12:13], v[12:13], v[32:33]
	v_mul_f64 v[32:33], v[30:31], v[12:13]
	v_fma_f64 v[10:11], -v[10:11], v[32:33], v[30:31]
	v_div_fmas_f64 v[10:11], v[10:11], v[12:13], v[32:33]
	v_div_fixup_f64 v[12:13], v[10:11], v[14:15], v[16:17]
	v_fmac_f64_e32 v[14:15], v[16:17], v[12:13]
	v_div_scale_f64 v[10:11], s[8:9], v[14:15], v[14:15], 1.0
	v_rcp_f64_e32 v[16:17], v[10:11]
	v_fma_f64 v[30:31], -v[10:11], v[16:17], 1.0
	v_fmac_f64_e32 v[16:17], v[16:17], v[30:31]
	v_fma_f64 v[30:31], -v[10:11], v[16:17], 1.0
	v_fmac_f64_e32 v[16:17], v[16:17], v[30:31]
	v_div_scale_f64 v[30:31], vcc, 1.0, v[14:15], 1.0
	v_mul_f64 v[32:33], v[30:31], v[16:17]
	v_fma_f64 v[10:11], -v[10:11], v[32:33], v[30:31]
	s_nop 1
	v_div_fmas_f64 v[10:11], v[10:11], v[16:17], v[32:33]
	v_div_fixup_f64 v[14:15], v[10:11], v[14:15], 1.0
	v_fma_f64 v[10:11], v[12:13], v[24:25], v[22:23]
	v_fma_f64 v[12:13], -v[12:13], v[22:23], v[24:25]
	v_mul_f64 v[10:11], v[10:11], v[14:15]
	v_mul_f64 v[12:13], v[12:13], v[14:15]
.LBB233_138:                            ;   in Loop: Header=BB233_127 Depth=1
	s_add_i32 s14, s14, s10
	s_lshl_b32 s8, s14, 4
	v_mov_b32_e32 v22, s8
	ds_read_b128 v[14:17], v22
	ds_read_b128 v[22:25], v22 offset:16
	ds_write_b128 v28, v[10:13]
	s_waitcnt lgkmcnt(2)
	v_mul_f64 v[28:29], v[20:21], v[16:17]
	v_mul_f64 v[16:17], v[18:19], v[16:17]
	v_fma_f64 v[28:29], v[18:19], v[14:15], -v[28:29]
	v_fmac_f64_e32 v[16:17], v[20:21], v[14:15]
	v_add_f64 v[14:15], v[6:7], -v[28:29]
	s_waitcnt lgkmcnt(1)
	v_mul_f64 v[6:7], v[12:13], v[24:25]
	v_fma_f64 v[28:29], v[10:11], v[22:23], -v[6:7]
	v_mov_b32_e32 v6, s15
	v_add_f64 v[16:17], v[8:9], -v[16:17]
	ds_read_b128 v[6:9], v6 offset:928
	v_mul_f64 v[24:25], v[10:11], v[24:25]
	v_fmac_f64_e32 v[24:25], v[12:13], v[22:23]
	v_add_f64 v[22:23], v[14:15], -v[28:29]
	v_add_f64 v[24:25], v[16:17], -v[24:25]
	s_waitcnt lgkmcnt(0)
	v_xor_b32_e32 v14, 0x80000000, v7
	v_cmp_gt_f64_e32 vcc, 0, v[6:7]
	v_cndmask_b32_e32 v15, v7, v14, vcc
	v_xor_b32_e32 v16, 0x80000000, v9
	v_cmp_gt_f64_e32 vcc, 0, v[8:9]
	v_mov_b32_e32 v14, v6
	v_cndmask_b32_e32 v17, v9, v16, vcc
	v_mov_b32_e32 v16, v8
	v_cmp_ngt_f64_e32 vcc, v[14:15], v[16:17]
	s_cbranch_vccz .LBB233_140
; %bb.139:                              ;   in Loop: Header=BB233_127 Depth=1
	v_div_scale_f64 v[14:15], s[8:9], v[8:9], v[8:9], v[6:7]
	v_rcp_f64_e32 v[16:17], v[14:15]
	v_div_scale_f64 v[28:29], vcc, v[6:7], v[8:9], v[6:7]
	v_fma_f64 v[30:31], -v[14:15], v[16:17], 1.0
	v_fmac_f64_e32 v[16:17], v[16:17], v[30:31]
	v_fma_f64 v[30:31], -v[14:15], v[16:17], 1.0
	v_fmac_f64_e32 v[16:17], v[16:17], v[30:31]
	v_mul_f64 v[30:31], v[28:29], v[16:17]
	v_fma_f64 v[14:15], -v[14:15], v[30:31], v[28:29]
	v_div_fmas_f64 v[14:15], v[14:15], v[16:17], v[30:31]
	v_div_fixup_f64 v[16:17], v[14:15], v[8:9], v[6:7]
	v_fma_f64 v[14:15], v[6:7], v[16:17], v[8:9]
	v_div_scale_f64 v[28:29], s[8:9], v[14:15], v[14:15], 1.0
	v_rcp_f64_e32 v[30:31], v[28:29]
	v_fma_f64 v[32:33], -v[28:29], v[30:31], 1.0
	v_fmac_f64_e32 v[30:31], v[30:31], v[32:33]
	v_fma_f64 v[32:33], -v[28:29], v[30:31], 1.0
	v_fmac_f64_e32 v[30:31], v[30:31], v[32:33]
	v_div_scale_f64 v[32:33], vcc, 1.0, v[14:15], 1.0
	v_mul_f64 v[34:35], v[32:33], v[30:31]
	v_fma_f64 v[28:29], -v[28:29], v[34:35], v[32:33]
	s_nop 1
	v_div_fmas_f64 v[28:29], v[28:29], v[30:31], v[34:35]
	v_div_fixup_f64 v[28:29], v[28:29], v[14:15], 1.0
	v_fma_f64 v[14:15], v[16:17], v[22:23], v[24:25]
	v_fma_f64 v[16:17], v[16:17], v[24:25], -v[22:23]
	v_mul_f64 v[14:15], v[14:15], v[28:29]
	v_mul_f64 v[16:17], v[16:17], v[28:29]
	s_cbranch_execz .LBB233_141
	s_branch .LBB233_142
.LBB233_140:                            ;   in Loop: Header=BB233_127 Depth=1
                                        ; implicit-def: $vgpr16_vgpr17
.LBB233_141:                            ;   in Loop: Header=BB233_127 Depth=1
	v_div_scale_f64 v[14:15], s[8:9], v[6:7], v[6:7], v[8:9]
	v_rcp_f64_e32 v[16:17], v[14:15]
	v_div_scale_f64 v[28:29], vcc, v[8:9], v[6:7], v[8:9]
	v_fma_f64 v[30:31], -v[14:15], v[16:17], 1.0
	v_fmac_f64_e32 v[16:17], v[16:17], v[30:31]
	v_fma_f64 v[30:31], -v[14:15], v[16:17], 1.0
	v_fmac_f64_e32 v[16:17], v[16:17], v[30:31]
	v_mul_f64 v[30:31], v[28:29], v[16:17]
	v_fma_f64 v[14:15], -v[14:15], v[30:31], v[28:29]
	v_div_fmas_f64 v[14:15], v[14:15], v[16:17], v[30:31]
	v_div_fixup_f64 v[16:17], v[14:15], v[6:7], v[8:9]
	v_fmac_f64_e32 v[6:7], v[8:9], v[16:17]
	v_div_scale_f64 v[8:9], s[8:9], v[6:7], v[6:7], 1.0
	v_rcp_f64_e32 v[14:15], v[8:9]
	v_fma_f64 v[28:29], -v[8:9], v[14:15], 1.0
	v_fmac_f64_e32 v[14:15], v[14:15], v[28:29]
	v_fma_f64 v[28:29], -v[8:9], v[14:15], 1.0
	v_fmac_f64_e32 v[14:15], v[14:15], v[28:29]
	v_div_scale_f64 v[28:29], vcc, 1.0, v[6:7], 1.0
	v_mul_f64 v[30:31], v[28:29], v[14:15]
	v_fma_f64 v[8:9], -v[8:9], v[30:31], v[28:29]
	s_nop 1
	v_div_fmas_f64 v[8:9], v[8:9], v[14:15], v[30:31]
	v_div_fixup_f64 v[6:7], v[8:9], v[6:7], 1.0
	v_fma_f64 v[8:9], v[16:17], v[24:25], v[22:23]
	v_mul_f64 v[14:15], v[8:9], v[6:7]
	v_fma_f64 v[8:9], -v[16:17], v[22:23], v[24:25]
	v_mul_f64 v[16:17], v[8:9], v[6:7]
.LBB233_142:                            ;   in Loop: Header=BB233_127 Depth=1
	s_add_i32 s11, s11, s10
	s_lshl_b32 s8, s11, 4
	v_mov_b32_e32 v30, s8
	ds_read_b128 v[6:9], v30
	ds_read_b128 v[22:25], v30 offset:16
	ds_write_b128 v27, v[14:17]
	s_waitcnt lgkmcnt(2)
	v_mul_f64 v[28:29], v[20:21], v[8:9]
	v_mul_f64 v[8:9], v[18:19], v[8:9]
	v_fma_f64 v[18:19], v[18:19], v[6:7], -v[28:29]
	v_fmac_f64_e32 v[8:9], v[20:21], v[6:7]
	s_waitcnt lgkmcnt(1)
	v_mul_f64 v[6:7], v[12:13], v[24:25]
	v_add_f64 v[2:3], v[2:3], -v[18:19]
	v_fma_f64 v[18:19], v[10:11], v[22:23], -v[6:7]
	v_mul_f64 v[10:11], v[10:11], v[24:25]
	v_add_f64 v[4:5], v[4:5], -v[8:9]
	v_fmac_f64_e32 v[10:11], v[12:13], v[22:23]
	ds_read_b128 v[6:9], v30 offset:32
	v_add_f64 v[12:13], v[2:3], -v[18:19]
	v_mov_b32_e32 v2, s15
	v_add_f64 v[18:19], v[4:5], -v[10:11]
	ds_read_b128 v[2:5], v2 offset:1392
	s_waitcnt lgkmcnt(1)
	v_mul_f64 v[10:11], v[16:17], v[8:9]
	v_mul_f64 v[8:9], v[14:15], v[8:9]
	v_fma_f64 v[10:11], v[14:15], v[6:7], -v[10:11]
	v_fmac_f64_e32 v[8:9], v[16:17], v[6:7]
	s_waitcnt lgkmcnt(0)
	v_xor_b32_e32 v6, 0x80000000, v3
	v_cmp_gt_f64_e32 vcc, 0, v[2:3]
	v_add_f64 v[10:11], v[12:13], -v[10:11]
	v_add_f64 v[12:13], v[18:19], -v[8:9]
	v_cndmask_b32_e32 v7, v3, v6, vcc
	v_xor_b32_e32 v8, 0x80000000, v5
	v_cmp_gt_f64_e32 vcc, 0, v[4:5]
	v_mov_b32_e32 v6, v2
	v_cndmask_b32_e32 v9, v5, v8, vcc
	v_mov_b32_e32 v8, v4
	v_cmp_ngt_f64_e32 vcc, v[6:7], v[8:9]
	s_cbranch_vccz .LBB233_144
; %bb.143:                              ;   in Loop: Header=BB233_127 Depth=1
	v_div_scale_f64 v[6:7], s[8:9], v[4:5], v[4:5], v[2:3]
	v_rcp_f64_e32 v[8:9], v[6:7]
	v_div_scale_f64 v[14:15], vcc, v[2:3], v[4:5], v[2:3]
	v_fma_f64 v[16:17], -v[6:7], v[8:9], 1.0
	v_fmac_f64_e32 v[8:9], v[8:9], v[16:17]
	v_fma_f64 v[16:17], -v[6:7], v[8:9], 1.0
	v_fmac_f64_e32 v[8:9], v[8:9], v[16:17]
	v_mul_f64 v[16:17], v[14:15], v[8:9]
	v_fma_f64 v[6:7], -v[6:7], v[16:17], v[14:15]
	v_div_fmas_f64 v[6:7], v[6:7], v[8:9], v[16:17]
	v_div_fixup_f64 v[8:9], v[6:7], v[4:5], v[2:3]
	v_fma_f64 v[6:7], v[2:3], v[8:9], v[4:5]
	v_div_scale_f64 v[14:15], s[8:9], v[6:7], v[6:7], 1.0
	v_rcp_f64_e32 v[16:17], v[14:15]
	v_fma_f64 v[18:19], -v[14:15], v[16:17], 1.0
	v_fmac_f64_e32 v[16:17], v[16:17], v[18:19]
	v_fma_f64 v[18:19], -v[14:15], v[16:17], 1.0
	v_fmac_f64_e32 v[16:17], v[16:17], v[18:19]
	v_div_scale_f64 v[18:19], vcc, 1.0, v[6:7], 1.0
	v_mul_f64 v[20:21], v[18:19], v[16:17]
	v_fma_f64 v[14:15], -v[14:15], v[20:21], v[18:19]
	s_nop 1
	v_div_fmas_f64 v[14:15], v[14:15], v[16:17], v[20:21]
	v_div_fixup_f64 v[14:15], v[14:15], v[6:7], 1.0
	v_fma_f64 v[6:7], v[8:9], v[10:11], v[12:13]
	v_fma_f64 v[8:9], v[8:9], v[12:13], -v[10:11]
	v_mul_f64 v[6:7], v[6:7], v[14:15]
	v_mul_f64 v[8:9], v[8:9], v[14:15]
	s_cbranch_execz .LBB233_145
	s_branch .LBB233_146
.LBB233_144:                            ;   in Loop: Header=BB233_127 Depth=1
                                        ; implicit-def: $vgpr8_vgpr9
.LBB233_145:                            ;   in Loop: Header=BB233_127 Depth=1
	v_div_scale_f64 v[6:7], s[8:9], v[2:3], v[2:3], v[4:5]
	v_rcp_f64_e32 v[8:9], v[6:7]
	v_div_scale_f64 v[14:15], vcc, v[4:5], v[2:3], v[4:5]
	v_fma_f64 v[16:17], -v[6:7], v[8:9], 1.0
	v_fmac_f64_e32 v[8:9], v[8:9], v[16:17]
	v_fma_f64 v[16:17], -v[6:7], v[8:9], 1.0
	v_fmac_f64_e32 v[8:9], v[8:9], v[16:17]
	v_mul_f64 v[16:17], v[14:15], v[8:9]
	v_fma_f64 v[6:7], -v[6:7], v[16:17], v[14:15]
	v_div_fmas_f64 v[6:7], v[6:7], v[8:9], v[16:17]
	v_div_fixup_f64 v[8:9], v[6:7], v[2:3], v[4:5]
	v_fmac_f64_e32 v[2:3], v[4:5], v[8:9]
	v_div_scale_f64 v[4:5], s[8:9], v[2:3], v[2:3], 1.0
	v_rcp_f64_e32 v[6:7], v[4:5]
	v_fma_f64 v[14:15], -v[4:5], v[6:7], 1.0
	v_fmac_f64_e32 v[6:7], v[6:7], v[14:15]
	v_fma_f64 v[14:15], -v[4:5], v[6:7], 1.0
	v_fmac_f64_e32 v[6:7], v[6:7], v[14:15]
	v_div_scale_f64 v[14:15], vcc, 1.0, v[2:3], 1.0
	v_mul_f64 v[16:17], v[14:15], v[6:7]
	v_fma_f64 v[4:5], -v[4:5], v[16:17], v[14:15]
	s_nop 1
	v_div_fmas_f64 v[4:5], v[4:5], v[6:7], v[16:17]
	v_div_fixup_f64 v[2:3], v[4:5], v[2:3], 1.0
	v_fma_f64 v[4:5], v[8:9], v[12:13], v[10:11]
	v_mul_f64 v[6:7], v[4:5], v[2:3]
	v_fma_f64 v[4:5], -v[8:9], v[10:11], v[12:13]
	v_mul_f64 v[8:9], v[4:5], v[2:3]
.LBB233_146:                            ;   in Loop: Header=BB233_127 Depth=1
	s_add_i32 s11, s10, 4
	s_add_i32 s8, s10, 7
	s_addk_i32 s1, 0x700
	s_cmp_ge_i32 s8, s34
	ds_write_b128 v26, v[6:9]
	s_cbranch_scc1 .LBB233_148
; %bb.147:                              ;   in Loop: Header=BB233_127 Depth=1
	s_mov_b32 s10, s11
	s_branch .LBB233_127
.LBB233_148:
	s_cmp_ge_i32 s11, s34
	s_cbranch_scc1 .LBB233_163
; %bb.149:
	v_mov_b32_e32 v1, 0x3100
	s_add_i32 s1, s11, -1
	s_mul_i32 s10, s11, 0x1c0
	v_lshl_add_u32 v1, v0, 4, v1
	s_mov_b32 s14, 0
	s_mov_b32 s15, s11
	s_branch .LBB233_151
.LBB233_150:                            ;   in Loop: Header=BB233_151 Depth=1
	s_add_i32 s11, s11, 1
	s_add_i32 s14, s14, 1
	s_addk_i32 s10, 0x1c0
	v_add_u16_e64 v2, s15, 1
	s_cmp_ge_i32 s11, s34
	v_readfirstlane_b32 s15, v2
	ds_write_b128 v14, v[10:13]
	s_cbranch_scc1 .LBB233_163
.LBB233_151:                            ; =>This Loop Header: Depth=1
                                        ;     Child Loop BB233_154 Depth 2
                                        ;     Child Loop BB233_158 Depth 2
	s_mul_i32 s8, s11, 28
	v_add_lshl_u32 v6, s8, v0, 4
	ds_read_b128 v[2:5], v6 offset:12544
	s_cmp_eq_u32 s11, 0
	s_cbranch_scc1 .LBB233_159
; %bb.152:                              ;   in Loop: Header=BB233_151 Depth=1
	s_add_i32 s8, s1, s14
	s_cmp_lt_u32 s8, 7
	s_cbranch_scc1 .LBB233_156
; %bb.153:                              ;   in Loop: Header=BB233_151 Depth=1
	s_and_b32 s8, s11, -8
	s_mov_b32 s9, 0
	v_mov_b32_e32 v7, v1
	s_mov_b32 s16, s10
.LBB233_154:                            ;   Parent Loop BB233_151 Depth=1
                                        ; =>  This Inner Loop Header: Depth=2
	v_mov_b32_e32 v68, s16
	ds_read_b128 v[8:11], v7
	ds_read_b128 v[12:15], v7 offset:448
	ds_read_b128 v[16:19], v7 offset:896
	;; [unrolled: 1-line block ×7, first 2 shown]
	ds_read_b128 v[40:43], v68
	ds_read_b128 v[44:47], v68 offset:16
	ds_read_b128 v[48:51], v68 offset:32
	;; [unrolled: 1-line block ×7, first 2 shown]
	s_waitcnt lgkmcnt(7)
	v_mul_f64 v[72:73], v[42:43], v[10:11]
	v_mul_f64 v[10:11], v[40:41], v[10:11]
	s_waitcnt lgkmcnt(6)
	v_mul_f64 v[74:75], v[46:47], v[14:15]
	v_mul_f64 v[14:15], v[44:45], v[14:15]
	v_fma_f64 v[40:41], v[40:41], v[8:9], -v[72:73]
	v_fmac_f64_e32 v[10:11], v[42:43], v[8:9]
	s_waitcnt lgkmcnt(5)
	v_mul_f64 v[76:77], v[50:51], v[18:19]
	v_mul_f64 v[18:19], v[48:49], v[18:19]
	v_fma_f64 v[8:9], v[44:45], v[12:13], -v[74:75]
	v_fmac_f64_e32 v[14:15], v[46:47], v[12:13]
	v_add_f64 v[2:3], v[2:3], -v[40:41]
	v_add_f64 v[4:5], v[4:5], -v[10:11]
	s_waitcnt lgkmcnt(4)
	v_mul_f64 v[78:79], v[54:55], v[22:23]
	v_mul_f64 v[22:23], v[52:53], v[22:23]
	v_fma_f64 v[12:13], v[48:49], v[16:17], -v[76:77]
	v_fmac_f64_e32 v[18:19], v[50:51], v[16:17]
	v_add_f64 v[2:3], v[2:3], -v[8:9]
	v_add_f64 v[4:5], v[4:5], -v[14:15]
	;; [unrolled: 7-line block ×6, first 2 shown]
	s_add_i32 s9, s9, 8
	s_addk_i32 s16, 0x80
	v_fma_f64 v[32:33], v[68:69], v[36:37], -v[86:87]
	v_fmac_f64_e32 v[38:39], v[70:71], v[36:37]
	v_add_f64 v[2:3], v[2:3], -v[28:29]
	v_add_f64 v[4:5], v[4:5], -v[34:35]
	v_add_u32_e32 v7, 0xe00, v7
	s_cmp_eq_u32 s8, s9
	v_add_f64 v[2:3], v[2:3], -v[32:33]
	v_add_f64 v[4:5], v[4:5], -v[38:39]
	s_cbranch_scc0 .LBB233_154
; %bb.155:                              ;   in Loop: Header=BB233_151 Depth=1
	s_and_b32 s9, s11, 7
	s_cmp_eq_u32 s9, 0
	s_cbranch_scc0 .LBB233_157
	s_branch .LBB233_159
.LBB233_156:                            ;   in Loop: Header=BB233_151 Depth=1
	s_mov_b32 s8, 0
	s_and_b32 s9, s11, 7
	s_cmp_eq_u32 s9, 0
	s_cbranch_scc1 .LBB233_159
.LBB233_157:                            ;   in Loop: Header=BB233_151 Depth=1
	s_lshl_b32 s16, s8, 4
	s_mulk_i32 s8, 0x1c0
	s_and_b32 s9, s15, 7
	v_add_u32_e32 v7, s8, v1
.LBB233_158:                            ;   Parent Loop BB233_151 Depth=1
                                        ; =>  This Inner Loop Header: Depth=2
	s_add_i32 s8, s10, s16
	v_mov_b32_e32 v12, s8
	ds_read_b128 v[8:11], v7
	ds_read_b128 v[12:15], v12
	s_add_i32 s16, s16, 16
	s_add_i32 s9, s9, -1
	v_add_u32_e32 v7, 0x1c0, v7
	s_cmp_lg_u32 s9, 0
	s_waitcnt lgkmcnt(0)
	v_mul_f64 v[16:17], v[14:15], v[10:11]
	v_mul_f64 v[10:11], v[12:13], v[10:11]
	v_fma_f64 v[12:13], v[12:13], v[8:9], -v[16:17]
	v_fmac_f64_e32 v[10:11], v[14:15], v[8:9]
	v_add_f64 v[2:3], v[2:3], -v[12:13]
	v_add_f64 v[4:5], v[4:5], -v[10:11]
	s_cbranch_scc1 .LBB233_158
.LBB233_159:                            ;   in Loop: Header=BB233_151 Depth=1
	s_mul_i32 s8, s11, 0x1d0
	v_add_u32_e32 v14, 0x3100, v6
	v_mov_b32_e32 v6, s8
	ds_read_b128 v[6:9], v6
	s_waitcnt lgkmcnt(0)
	v_xor_b32_e32 v11, 0x80000000, v7
	v_cmp_gt_f64_e32 vcc, 0, v[6:7]
	v_xor_b32_e32 v12, 0x80000000, v9
	v_cndmask_b32_e32 v11, v7, v11, vcc
	v_cmp_gt_f64_e32 vcc, 0, v[8:9]
	v_mov_b32_e32 v10, v6
	v_cndmask_b32_e32 v13, v9, v12, vcc
	v_mov_b32_e32 v12, v8
	v_cmp_ngt_f64_e32 vcc, v[10:11], v[12:13]
	s_cbranch_vccz .LBB233_161
; %bb.160:                              ;   in Loop: Header=BB233_151 Depth=1
	v_div_scale_f64 v[10:11], s[8:9], v[8:9], v[8:9], v[6:7]
	v_rcp_f64_e32 v[12:13], v[10:11]
	v_div_scale_f64 v[16:17], vcc, v[6:7], v[8:9], v[6:7]
	v_fma_f64 v[18:19], -v[10:11], v[12:13], 1.0
	v_fmac_f64_e32 v[12:13], v[12:13], v[18:19]
	v_fma_f64 v[18:19], -v[10:11], v[12:13], 1.0
	v_fmac_f64_e32 v[12:13], v[12:13], v[18:19]
	v_mul_f64 v[18:19], v[16:17], v[12:13]
	v_fma_f64 v[10:11], -v[10:11], v[18:19], v[16:17]
	v_div_fmas_f64 v[10:11], v[10:11], v[12:13], v[18:19]
	v_div_fixup_f64 v[12:13], v[10:11], v[8:9], v[6:7]
	v_fma_f64 v[10:11], v[6:7], v[12:13], v[8:9]
	v_div_scale_f64 v[16:17], s[8:9], v[10:11], v[10:11], 1.0
	v_rcp_f64_e32 v[18:19], v[16:17]
	v_fma_f64 v[20:21], -v[16:17], v[18:19], 1.0
	v_fmac_f64_e32 v[18:19], v[18:19], v[20:21]
	v_fma_f64 v[20:21], -v[16:17], v[18:19], 1.0
	v_fmac_f64_e32 v[18:19], v[18:19], v[20:21]
	v_div_scale_f64 v[20:21], vcc, 1.0, v[10:11], 1.0
	v_mul_f64 v[22:23], v[20:21], v[18:19]
	v_fma_f64 v[16:17], -v[16:17], v[22:23], v[20:21]
	s_nop 1
	v_div_fmas_f64 v[16:17], v[16:17], v[18:19], v[22:23]
	v_div_fixup_f64 v[16:17], v[16:17], v[10:11], 1.0
	v_fma_f64 v[10:11], v[2:3], v[12:13], v[4:5]
	v_fma_f64 v[12:13], v[4:5], v[12:13], -v[2:3]
	v_mul_f64 v[10:11], v[10:11], v[16:17]
	v_mul_f64 v[12:13], v[12:13], v[16:17]
	s_cbranch_execnz .LBB233_150
	s_branch .LBB233_162
.LBB233_161:                            ;   in Loop: Header=BB233_151 Depth=1
                                        ; implicit-def: $vgpr10_vgpr11
.LBB233_162:                            ;   in Loop: Header=BB233_151 Depth=1
	v_div_scale_f64 v[10:11], s[8:9], v[6:7], v[6:7], v[8:9]
	v_rcp_f64_e32 v[12:13], v[10:11]
	v_div_scale_f64 v[16:17], vcc, v[8:9], v[6:7], v[8:9]
	v_fma_f64 v[18:19], -v[10:11], v[12:13], 1.0
	v_fmac_f64_e32 v[12:13], v[12:13], v[18:19]
	v_fma_f64 v[18:19], -v[10:11], v[12:13], 1.0
	v_fmac_f64_e32 v[12:13], v[12:13], v[18:19]
	v_mul_f64 v[18:19], v[16:17], v[12:13]
	v_fma_f64 v[10:11], -v[10:11], v[18:19], v[16:17]
	v_div_fmas_f64 v[10:11], v[10:11], v[12:13], v[18:19]
	v_div_fixup_f64 v[12:13], v[10:11], v[6:7], v[8:9]
	v_fmac_f64_e32 v[6:7], v[8:9], v[12:13]
	v_div_scale_f64 v[8:9], s[8:9], v[6:7], v[6:7], 1.0
	v_rcp_f64_e32 v[10:11], v[8:9]
	v_fma_f64 v[16:17], -v[8:9], v[10:11], 1.0
	v_fmac_f64_e32 v[10:11], v[10:11], v[16:17]
	v_fma_f64 v[16:17], -v[8:9], v[10:11], 1.0
	v_fmac_f64_e32 v[10:11], v[10:11], v[16:17]
	v_div_scale_f64 v[16:17], vcc, 1.0, v[6:7], 1.0
	v_mul_f64 v[18:19], v[16:17], v[10:11]
	v_fma_f64 v[8:9], -v[8:9], v[18:19], v[16:17]
	s_nop 1
	v_div_fmas_f64 v[8:9], v[8:9], v[10:11], v[18:19]
	v_div_fixup_f64 v[6:7], v[8:9], v[6:7], 1.0
	v_fma_f64 v[8:9], v[4:5], v[12:13], v[2:3]
	v_fma_f64 v[2:3], -v[2:3], v[12:13], v[4:5]
	v_mul_f64 v[10:11], v[8:9], v[6:7]
	v_mul_f64 v[12:13], v[2:3], v[6:7]
	s_branch .LBB233_150
.LBB233_163:
	s_and_saveexec_b64 s[8:9], s[6:7]
	s_cbranch_execz .LBB233_170
; %bb.164:
	s_ashr_i32 s1, s0, 31
	s_mov_b32 s14, 0
	s_cmp_lt_u32 s33, 4
	v_lshlrev_b32_e32 v1, 4, v0
	s_cbranch_scc1 .LBB233_167
; %bb.165:
	v_mov_b32_e32 v3, s25
	v_add_co_u32_e32 v2, vcc, s24, v1
	s_mul_hi_i32 s17, s0, 48
	s_lshl_b64 s[6:7], s[0:1], 6
	s_lshl_b64 s[8:9], s[0:1], 5
	;; [unrolled: 1-line block ×3, first 2 shown]
	v_mov_b32_e32 v4, 0x3100
	v_addc_co_u32_e32 v3, vcc, 0, v3, vcc
	s_and_b32 s14, s33, 0x7ffffffc
	s_mul_i32 s15, s0, 48
	v_lshl_add_u32 v4, v0, 4, v4
	s_mov_b32 s16, 0
	v_mov_b32_e32 v5, s11
	v_mov_b32_e32 v6, s9
	v_mov_b32_e32 v7, s17
	v_mov_b32_e32 v8, s7
.LBB233_166:                            ; =>This Inner Loop Header: Depth=1
	v_add_co_u32_e32 v26, vcc, s10, v2
	v_addc_co_u32_e32 v27, vcc, v3, v5, vcc
	ds_read2_b64 v[10:13], v4 offset1:1
	ds_read2_b64 v[14:17], v4 offset0:56 offset1:57
	ds_read2_b64 v[18:21], v4 offset0:112 offset1:113
	;; [unrolled: 1-line block ×3, first 2 shown]
	v_add_co_u32_e32 v28, vcc, s8, v2
	v_addc_co_u32_e32 v29, vcc, v3, v6, vcc
	v_add_co_u32_e32 v30, vcc, s15, v2
	v_addc_co_u32_e32 v31, vcc, v3, v7, vcc
	s_add_i32 s16, s16, 4
	s_waitcnt lgkmcnt(3)
	global_store_dwordx4 v[2:3], v[10:13], off
	s_waitcnt lgkmcnt(2)
	global_store_dwordx4 v[26:27], v[14:17], off
	;; [unrolled: 2-line block ×4, first 2 shown]
	v_add_co_u32_e32 v2, vcc, s6, v2
	v_add_u32_e32 v4, 0x700, v4
	s_cmp_lg_u32 s14, s16
	v_addc_co_u32_e32 v3, vcc, v3, v8, vcc
	s_cbranch_scc1 .LBB233_166
.LBB233_167:
	s_and_b32 s6, s33, 3
	s_cmp_eq_u32 s6, 0
	s_cbranch_scc1 .LBB233_170
; %bb.168:
	s_mul_hi_i32 s9, s0, s14
	s_mul_i32 s8, s0, s14
	s_lshl_b64 s[8:9], s[8:9], 4
	s_add_u32 s7, s12, s8
	s_addc_u32 s8, s13, s9
	s_add_u32 s7, s7, s23
	s_addc_u32 s8, s8, s22
	;; [unrolled: 2-line block ×4, first 2 shown]
	v_add_co_u32_e32 v2, vcc, s2, v1
	s_mul_i32 s2, s14, 0x1c0
	v_mov_b32_e32 v3, s3
	s_lshl_b64 s[0:1], s[0:1], 4
	v_lshl_add_u32 v0, v0, 4, s2
	v_addc_co_u32_e32 v3, vcc, 0, v3, vcc
	v_add_u32_e32 v0, 0x3100, v0
	v_mov_b32_e32 v1, s1
.LBB233_169:                            ; =>This Inner Loop Header: Depth=1
	ds_read2_b64 v[4:7], v0 offset1:1
	s_add_i32 s6, s6, -1
	v_add_u32_e32 v0, 0x1c0, v0
	s_cmp_lg_u32 s6, 0
	s_waitcnt lgkmcnt(0)
	global_store_dwordx4 v[2:3], v[4:7], off
	v_add_co_u32_e32 v2, vcc, s0, v2
	v_addc_co_u32_e32 v3, vcc, v3, v1, vcc
	s_cbranch_scc1 .LBB233_169
.LBB233_170:
	s_endpgm
	.section	.rodata,"a",@progbits
	.p2align	6, 0x0
	.amdhsa_kernel _ZL31rocblas_trsm_small_right_deviceI19rocblas_complex_numIdES1_PKS1_PS1_Li28EEv13rocblas_fill_18rocblas_operation_17rocblas_diagonal_iiT0_T1_lilT2_lili
		.amdhsa_group_segment_fixed_size 25088
		.amdhsa_private_segment_fixed_size 0
		.amdhsa_kernarg_size 368
		.amdhsa_user_sgpr_count 6
		.amdhsa_user_sgpr_private_segment_buffer 1
		.amdhsa_user_sgpr_dispatch_ptr 0
		.amdhsa_user_sgpr_queue_ptr 0
		.amdhsa_user_sgpr_kernarg_segment_ptr 1
		.amdhsa_user_sgpr_dispatch_id 0
		.amdhsa_user_sgpr_flat_scratch_init 0
		.amdhsa_user_sgpr_kernarg_preload_length 0
		.amdhsa_user_sgpr_kernarg_preload_offset 0
		.amdhsa_user_sgpr_private_segment_size 0
		.amdhsa_uses_dynamic_stack 0
		.amdhsa_system_sgpr_private_segment_wavefront_offset 0
		.amdhsa_system_sgpr_workgroup_id_x 1
		.amdhsa_system_sgpr_workgroup_id_y 0
		.amdhsa_system_sgpr_workgroup_id_z 1
		.amdhsa_system_sgpr_workgroup_info 0
		.amdhsa_system_vgpr_workitem_id 0
		.amdhsa_next_free_vgpr 88
		.amdhsa_next_free_sgpr 39
		.amdhsa_accum_offset 88
		.amdhsa_reserve_vcc 1
		.amdhsa_reserve_flat_scratch 0
		.amdhsa_float_round_mode_32 0
		.amdhsa_float_round_mode_16_64 0
		.amdhsa_float_denorm_mode_32 3
		.amdhsa_float_denorm_mode_16_64 3
		.amdhsa_dx10_clamp 1
		.amdhsa_ieee_mode 1
		.amdhsa_fp16_overflow 0
		.amdhsa_tg_split 0
		.amdhsa_exception_fp_ieee_invalid_op 0
		.amdhsa_exception_fp_denorm_src 0
		.amdhsa_exception_fp_ieee_div_zero 0
		.amdhsa_exception_fp_ieee_overflow 0
		.amdhsa_exception_fp_ieee_underflow 0
		.amdhsa_exception_fp_ieee_inexact 0
		.amdhsa_exception_int_div_zero 0
	.end_amdhsa_kernel
	.section	.text._ZL31rocblas_trsm_small_right_deviceI19rocblas_complex_numIdES1_PKS1_PS1_Li28EEv13rocblas_fill_18rocblas_operation_17rocblas_diagonal_iiT0_T1_lilT2_lili,"axG",@progbits,_ZL31rocblas_trsm_small_right_deviceI19rocblas_complex_numIdES1_PKS1_PS1_Li28EEv13rocblas_fill_18rocblas_operation_17rocblas_diagonal_iiT0_T1_lilT2_lili,comdat
.Lfunc_end233:
	.size	_ZL31rocblas_trsm_small_right_deviceI19rocblas_complex_numIdES1_PKS1_PS1_Li28EEv13rocblas_fill_18rocblas_operation_17rocblas_diagonal_iiT0_T1_lilT2_lili, .Lfunc_end233-_ZL31rocblas_trsm_small_right_deviceI19rocblas_complex_numIdES1_PKS1_PS1_Li28EEv13rocblas_fill_18rocblas_operation_17rocblas_diagonal_iiT0_T1_lilT2_lili
                                        ; -- End function
	.section	.AMDGPU.csdata,"",@progbits
; Kernel info:
; codeLenInByte = 17632
; NumSgprs: 43
; NumVgprs: 88
; NumAgprs: 0
; TotalNumVgprs: 88
; ScratchSize: 0
; MemoryBound: 0
; FloatMode: 240
; IeeeMode: 1
; LDSByteSize: 25088 bytes/workgroup (compile time only)
; SGPRBlocks: 5
; VGPRBlocks: 10
; NumSGPRsForWavesPerEU: 43
; NumVGPRsForWavesPerEU: 88
; AccumOffset: 88
; Occupancy: 1
; WaveLimiterHint : 0
; COMPUTE_PGM_RSRC2:SCRATCH_EN: 0
; COMPUTE_PGM_RSRC2:USER_SGPR: 6
; COMPUTE_PGM_RSRC2:TRAP_HANDLER: 0
; COMPUTE_PGM_RSRC2:TGID_X_EN: 1
; COMPUTE_PGM_RSRC2:TGID_Y_EN: 0
; COMPUTE_PGM_RSRC2:TGID_Z_EN: 1
; COMPUTE_PGM_RSRC2:TIDIG_COMP_CNT: 0
; COMPUTE_PGM_RSRC3_GFX90A:ACCUM_OFFSET: 21
; COMPUTE_PGM_RSRC3_GFX90A:TG_SPLIT: 0
	.section	.text._ZL38rocblas_trsm_small_left_device_sharedBILi32ELi32ELb0E19rocblas_complex_numIdES1_PKS1_PS1_Ev13rocblas_fill_18rocblas_operation_17rocblas_diagonal_iiT3_T4_lilT5_lili,"axG",@progbits,_ZL38rocblas_trsm_small_left_device_sharedBILi32ELi32ELb0E19rocblas_complex_numIdES1_PKS1_PS1_Ev13rocblas_fill_18rocblas_operation_17rocblas_diagonal_iiT3_T4_lilT5_lili,comdat
	.globl	_ZL38rocblas_trsm_small_left_device_sharedBILi32ELi32ELb0E19rocblas_complex_numIdES1_PKS1_PS1_Ev13rocblas_fill_18rocblas_operation_17rocblas_diagonal_iiT3_T4_lilT5_lili ; -- Begin function _ZL38rocblas_trsm_small_left_device_sharedBILi32ELi32ELb0E19rocblas_complex_numIdES1_PKS1_PS1_Ev13rocblas_fill_18rocblas_operation_17rocblas_diagonal_iiT3_T4_lilT5_lili
	.p2align	8
	.type	_ZL38rocblas_trsm_small_left_device_sharedBILi32ELi32ELb0E19rocblas_complex_numIdES1_PKS1_PS1_Ev13rocblas_fill_18rocblas_operation_17rocblas_diagonal_iiT3_T4_lilT5_lili,@function
_ZL38rocblas_trsm_small_left_device_sharedBILi32ELi32ELb0E19rocblas_complex_numIdES1_PKS1_PS1_Ev13rocblas_fill_18rocblas_operation_17rocblas_diagonal_iiT3_T4_lilT5_lili: ; @_ZL38rocblas_trsm_small_left_device_sharedBILi32ELi32ELb0E19rocblas_complex_numIdES1_PKS1_PS1_Ev13rocblas_fill_18rocblas_operation_17rocblas_diagonal_iiT3_T4_lilT5_lili
; %bb.0:
	s_add_u32 s0, s0, s10
	s_load_dwordx4 s[24:27], s[4:5], 0x4
	s_load_dwordx8 s[12:19], s[4:5], 0x18
	s_load_dwordx4 s[20:23], s[4:5], 0x40
	s_load_dwordx2 s[10:11], s[4:5], 0x50
	s_load_dword s39, s[4:5], 0x70
	s_addc_u32 s1, s1, 0
	s_waitcnt lgkmcnt(0)
	s_min_i32 s33, s26, 32
	s_mov_b32 s40, 0
	s_add_i32 s38, s33, -1
	v_cmp_gt_i32_e32 vcc, s33, v0
	s_and_saveexec_b64 s[28:29], vcc
	s_cbranch_execz .LBB234_15
; %bb.1:
	s_load_dword s30, s[4:5], 0x38
	s_mul_i32 s41, s21, s9
	s_mul_hi_u32 s42, s20, s9
	s_mul_i32 s20, s20, s9
	s_waitcnt lgkmcnt(0)
	s_ashr_i32 s31, s30, 31
	s_cmpk_eq_i32 s24, 0x71
	s_cselect_b64 vcc, -1, 0
	s_cmp_lt_u32 s38, 3
	s_cbranch_scc1 .LBB234_4
; %bb.2:
	s_add_i32 s21, s42, s41
	s_and_b32 s40, s33, -4
	s_lshl_b64 s[6:7], s[20:21], 4
	s_lshl_b64 s[34:35], s[18:19], 4
	s_add_u32 s6, s6, s34
	s_addc_u32 s7, s7, s35
	s_add_u32 s6, s16, s6
	v_lshlrev_b32_e32 v2, 4, v0
	s_addc_u32 s7, s17, s7
	v_mov_b32_e32 v3, s7
	v_add_co_u32_e64 v2, s[6:7], s6, v2
	v_addc_co_u32_e64 v3, s[6:7], 0, v3, s[6:7]
	v_add_co_u32_e64 v2, s[6:7], 8, v2
	s_lshl_b64 s[34:35], s[30:31], 6
	s_lshl_b64 s[36:37], s[30:31], 4
	v_lshlrev_b32_e32 v1, 4, v0
	v_addc_co_u32_e64 v3, s[6:7], 0, v3, s[6:7]
	s_mov_b32 s21, 0
	v_mov_b32_e32 v4, s37
	v_mov_b32_e32 v5, s35
.LBB234_3:                              ; =>This Inner Loop Header: Depth=1
	v_add_co_u32_e64 v18, s[6:7], s36, v2
	v_addc_co_u32_e64 v19, s[6:7], v3, v4, s[6:7]
	v_add_co_u32_e64 v20, s[6:7], s36, v18
	global_load_dwordx4 v[6:9], v[2:3], off offset:-8
	v_addc_co_u32_e64 v21, s[6:7], v19, v4, s[6:7]
	global_load_dwordx4 v[10:13], v[18:19], off offset:-8
	global_load_dwordx4 v[14:17], v[20:21], off offset:-8
	v_add_co_u32_e64 v18, s[6:7], s36, v20
	v_addc_co_u32_e64 v19, s[6:7], v21, v4, s[6:7]
	global_load_dwordx4 v[18:21], v[18:19], off offset:-8
	s_add_i32 s21, s21, 4
	v_add_co_u32_e64 v2, s[6:7], s34, v2
	s_cmp_eq_u32 s40, s21
	v_addc_co_u32_e64 v3, s[6:7], v3, v5, s[6:7]
	s_waitcnt vmcnt(3)
	v_xor_b32_e32 v22, 0x80000000, v9
	v_cndmask_b32_e32 v9, v9, v22, vcc
	ds_write_b128 v1, v[6:9]
	s_waitcnt vmcnt(1)
	v_xor_b32_e32 v6, 0x80000000, v17
	v_xor_b32_e32 v22, 0x80000000, v13
	v_cndmask_b32_e32 v17, v17, v6, vcc
	v_cndmask_b32_e32 v13, v13, v22, vcc
	ds_write_b128 v1, v[10:13] offset:512
	s_waitcnt vmcnt(0)
	v_xor_b32_e32 v6, 0x80000000, v21
	v_cndmask_b32_e32 v21, v21, v6, vcc
	ds_write_b128 v1, v[14:17] offset:1024
	ds_write_b128 v1, v[18:21] offset:1536
	v_add_u32_e32 v1, 0x800, v1
	s_cbranch_scc0 .LBB234_3
.LBB234_4:
	s_and_b32 s34, s33, 3
	s_cmp_eq_u32 s34, 0
	s_cbranch_scc1 .LBB234_7
; %bb.5:
	s_add_i32 s21, s42, s41
	s_lshl_b64 s[6:7], s[20:21], 4
	s_mul_i32 s20, s31, s40
	s_mul_hi_u32 s21, s30, s40
	s_add_i32 s21, s21, s20
	s_mul_i32 s20, s30, s40
	s_lshl_b64 s[20:21], s[20:21], 4
	s_add_u32 s20, s6, s20
	s_addc_u32 s21, s7, s21
	s_lshl_b64 s[6:7], s[18:19], 4
	s_add_u32 s6, s20, s6
	s_addc_u32 s7, s21, s7
	s_add_u32 s6, s16, s6
	v_lshlrev_b32_e32 v2, 4, v0
	s_addc_u32 s7, s17, s7
	v_lshl_or_b32 v1, s40, 9, v2
	v_mov_b32_e32 v3, s7
	v_add_co_u32_e64 v2, s[6:7], s6, v2
	v_addc_co_u32_e64 v3, s[6:7], 0, v3, s[6:7]
	v_add_co_u32_e64 v2, s[6:7], 8, v2
	s_lshl_b64 s[16:17], s[30:31], 4
	v_addc_co_u32_e64 v3, s[6:7], 0, v3, s[6:7]
	v_mov_b32_e32 v4, s17
.LBB234_6:                              ; =>This Inner Loop Header: Depth=1
	global_load_dwordx4 v[6:9], v[2:3], off offset:-8
	v_add_co_u32_e64 v2, s[6:7], s16, v2
	s_add_i32 s34, s34, -1
	v_addc_co_u32_e64 v3, s[6:7], v3, v4, s[6:7]
	s_cmp_lg_u32 s34, 0
	s_waitcnt vmcnt(0)
	v_xor_b32_e32 v5, 0x80000000, v9
	v_cndmask_b32_e32 v9, v9, v5, vcc
	ds_write_b128 v1, v[6:9]
	v_add_u32_e32 v1, 0x200, v1
	s_cbranch_scc1 .LBB234_6
.LBB234_7:
	v_mul_u32_u24_e32 v1, 33, v0
	s_cmpk_lg_i32 s25, 0x84
	v_lshlrev_b32_e32 v1, 4, v1
	s_cbranch_scc0 .LBB234_13
; %bb.8:
	ds_read_b128 v[2:5], v1
	s_waitcnt lgkmcnt(0)
	v_xor_b32_e32 v7, 0x80000000, v3
	v_cmp_gt_f64_e32 vcc, 0, v[2:3]
	v_xor_b32_e32 v8, 0x80000000, v5
	v_cndmask_b32_e32 v7, v3, v7, vcc
	v_cmp_gt_f64_e32 vcc, 0, v[4:5]
	v_mov_b32_e32 v6, v2
	v_cndmask_b32_e32 v9, v5, v8, vcc
	v_mov_b32_e32 v8, v4
	v_cmp_ngt_f64_e32 vcc, v[6:7], v[8:9]
                                        ; implicit-def: $vgpr8_vgpr9
	s_and_saveexec_b64 s[6:7], vcc
	s_xor_b64 s[6:7], exec, s[6:7]
	s_cbranch_execz .LBB234_10
; %bb.9:
	v_div_scale_f64 v[6:7], s[16:17], v[4:5], v[4:5], v[2:3]
	v_rcp_f64_e32 v[8:9], v[6:7]
	v_div_scale_f64 v[10:11], vcc, v[2:3], v[4:5], v[2:3]
	v_fma_f64 v[12:13], -v[6:7], v[8:9], 1.0
	v_fmac_f64_e32 v[8:9], v[8:9], v[12:13]
	v_fma_f64 v[12:13], -v[6:7], v[8:9], 1.0
	v_fmac_f64_e32 v[8:9], v[8:9], v[12:13]
	v_mul_f64 v[12:13], v[10:11], v[8:9]
	v_fma_f64 v[6:7], -v[6:7], v[12:13], v[10:11]
	v_div_fmas_f64 v[6:7], v[6:7], v[8:9], v[12:13]
	v_div_fixup_f64 v[8:9], v[6:7], v[4:5], v[2:3]
	v_fmac_f64_e32 v[4:5], v[2:3], v[8:9]
	v_div_scale_f64 v[2:3], s[16:17], v[4:5], v[4:5], 1.0
	v_rcp_f64_e32 v[6:7], v[2:3]
	v_fma_f64 v[10:11], -v[2:3], v[6:7], 1.0
	v_fmac_f64_e32 v[6:7], v[6:7], v[10:11]
	v_fma_f64 v[10:11], -v[2:3], v[6:7], 1.0
	v_fmac_f64_e32 v[6:7], v[6:7], v[10:11]
	v_div_scale_f64 v[10:11], vcc, 1.0, v[4:5], 1.0
	v_mul_f64 v[12:13], v[10:11], v[6:7]
	v_fma_f64 v[2:3], -v[2:3], v[12:13], v[10:11]
	s_nop 1
	v_div_fmas_f64 v[2:3], v[2:3], v[6:7], v[12:13]
	v_div_fixup_f64 v[2:3], v[2:3], v[4:5], 1.0
	v_add_f64 v[4:5], v[8:9], 0
	v_mul_f64 v[6:7], v[4:5], v[2:3]
	v_fma_f64 v[4:5], v[8:9], 0, -1.0
	v_mul_f64 v[8:9], v[4:5], v[2:3]
                                        ; implicit-def: $vgpr2_vgpr3
.LBB234_10:
	s_andn2_saveexec_b64 s[6:7], s[6:7]
	s_cbranch_execz .LBB234_12
; %bb.11:
	v_div_scale_f64 v[6:7], s[16:17], v[2:3], v[2:3], v[4:5]
	v_rcp_f64_e32 v[8:9], v[6:7]
	v_div_scale_f64 v[10:11], vcc, v[4:5], v[2:3], v[4:5]
	v_fma_f64 v[12:13], -v[6:7], v[8:9], 1.0
	v_fmac_f64_e32 v[8:9], v[8:9], v[12:13]
	v_fma_f64 v[12:13], -v[6:7], v[8:9], 1.0
	v_fmac_f64_e32 v[8:9], v[8:9], v[12:13]
	v_mul_f64 v[12:13], v[10:11], v[8:9]
	v_fma_f64 v[6:7], -v[6:7], v[12:13], v[10:11]
	v_div_fmas_f64 v[6:7], v[6:7], v[8:9], v[12:13]
	v_div_fixup_f64 v[8:9], v[6:7], v[2:3], v[4:5]
	v_fmac_f64_e32 v[2:3], v[4:5], v[8:9]
	v_div_scale_f64 v[4:5], s[16:17], v[2:3], v[2:3], 1.0
	v_rcp_f64_e32 v[6:7], v[4:5]
	v_fma_f64 v[10:11], -v[4:5], v[6:7], 1.0
	v_fmac_f64_e32 v[6:7], v[6:7], v[10:11]
	v_fma_f64 v[10:11], -v[4:5], v[6:7], 1.0
	v_fmac_f64_e32 v[6:7], v[6:7], v[10:11]
	v_div_scale_f64 v[10:11], vcc, 1.0, v[2:3], 1.0
	v_mul_f64 v[12:13], v[10:11], v[6:7]
	v_fma_f64 v[4:5], -v[4:5], v[12:13], v[10:11]
	s_nop 1
	v_div_fmas_f64 v[4:5], v[4:5], v[6:7], v[12:13]
	v_div_fixup_f64 v[2:3], v[4:5], v[2:3], 1.0
	v_fma_f64 v[4:5], v[8:9], 0, 1.0
	v_mul_f64 v[6:7], v[4:5], v[2:3]
	v_add_f64 v[4:5], -v[8:9], 0
	v_mul_f64 v[8:9], v[4:5], v[2:3]
.LBB234_12:
	s_or_b64 exec, exec, s[6:7]
	s_branch .LBB234_14
.LBB234_13:
	v_mov_b32_e32 v6, 0
	v_mov_b32_e32 v7, 0x3ff00000
	v_pk_mov_b32 v[8:9], 0, 0
.LBB234_14:
	ds_write_b128 v1, v[6:9]
.LBB234_15:
	s_or_b64 exec, exec, s[28:29]
	s_load_dword s25, s[4:5], 0x58
	s_load_dwordx2 s[6:7], s[4:5], 0x60
	s_waitcnt lgkmcnt(0)
	s_ashr_i32 s28, s25, 31
	s_mul_i32 s5, s9, s7
	s_mul_hi_u32 s7, s9, s6
	s_mul_i32 s4, s9, s6
	s_add_i32 s5, s7, s5
	s_lshl_b64 s[4:5], s[4:5], 4
	s_add_u32 s9, s22, s4
	s_addc_u32 s16, s23, s5
	s_lshl_b64 s[6:7], s[10:11], 4
	s_add_u32 s17, s9, s6
	s_addc_u32 s16, s16, s7
	s_lshl_b32 s10, s8, 5
	s_add_i32 s39, s39, -1
	s_sub_i32 s9, s27, s10
	s_cmp_ge_u32 s8, s39
	s_cselect_b32 s18, s9, 32
	s_mul_hi_i32 s9, s25, s10
	s_mul_i32 s8, s25, s10
	s_ashr_i32 s11, s10, 31
	s_lshl_b64 s[8:9], s[8:9], 4
	s_add_u32 s27, s17, s8
	s_addc_u32 s29, s16, s9
	s_cmp_gt_i32 s26, 0
	v_cmp_gt_i32_e32 vcc, s18, v0
	s_cselect_b64 s[8:9], -1, 0
	s_mov_b32 s18, 0
	s_and_b64 s[8:9], vcc, s[8:9]
	s_and_saveexec_b64 s[16:17], s[8:9]
	s_cbranch_execz .LBB234_22
; %bb.16:
	s_cmp_lt_i32 s26, 8
	s_cbranch_scc1 .LBB234_19
; %bb.17:
	v_mad_i64_i32 v[2:3], s[18:19], s25, v0, 0
	v_lshlrev_b64 v[2:3], 4, v[2:3]
	v_mov_b32_e32 v4, s29
	v_add_co_u32_e32 v1, vcc, s27, v2
	v_addc_co_u32_e32 v2, vcc, v4, v3, vcc
	v_mov_b32_e32 v3, 0x4000
	s_lshl_b32 s18, s33, 4
	v_lshl_or_b32 v3, v0, 4, v3
	s_and_b32 s19, s18, 0x380
	s_mov_b32 s18, 0
	s_mov_b64 s[20:21], 0
.LBB234_18:                             ; =>This Inner Loop Header: Depth=1
	v_mov_b32_e32 v4, s21
	v_add_co_u32_e32 v36, vcc, s20, v1
	v_addc_co_u32_e32 v37, vcc, v2, v4, vcc
	global_load_dwordx4 v[4:7], v[36:37], off
	global_load_dwordx4 v[8:11], v[36:37], off offset:16
	global_load_dwordx4 v[12:15], v[36:37], off offset:32
	;; [unrolled: 1-line block ×7, first 2 shown]
	s_add_i32 s18, s18, 8
	s_add_u32 s20, s20, 0x80
	s_addc_u32 s21, s21, 0
	s_cmp_lg_u32 s19, s20
	s_waitcnt vmcnt(7)
	v_mul_f64 v[38:39], s[14:15], v[6:7]
	v_mul_f64 v[36:37], s[12:13], v[6:7]
	s_waitcnt vmcnt(6)
	v_mul_f64 v[40:41], s[14:15], v[10:11]
	v_mul_f64 v[6:7], s[12:13], v[10:11]
	;; [unrolled: 3-line block ×8, first 2 shown]
	v_fma_f64 v[34:35], s[12:13], v[4:5], -v[38:39]
	v_fmac_f64_e32 v[36:37], s[14:15], v[4:5]
	v_fma_f64 v[4:5], s[12:13], v[8:9], -v[40:41]
	v_fmac_f64_e32 v[6:7], s[14:15], v[8:9]
	;; [unrolled: 2-line block ×8, first 2 shown]
	ds_write_b128 v3, v[34:37]
	ds_write_b128 v3, v[4:7] offset:512
	ds_write_b128 v3, v[8:11] offset:1024
	ds_write_b128 v3, v[12:15] offset:1536
	ds_write_b128 v3, v[16:19] offset:2048
	ds_write_b128 v3, v[20:23] offset:2560
	ds_write_b128 v3, v[24:27] offset:3072
	ds_write_b128 v3, v[28:31] offset:3584
	v_add_u32_e32 v3, 0x1000, v3
	s_cbranch_scc1 .LBB234_18
.LBB234_19:
	s_and_b32 s20, s33, 7
	s_cmp_eq_u32 s20, 0
	s_mov_b32 s19, 0
	s_cbranch_scc1 .LBB234_22
; %bb.20:
	v_lshlrev_b32_e32 v2, 4, v0
	v_lshl_or_b32 v1, s18, 9, v2
	s_lshl_b64 s[30:31], s[10:11], 4
	s_lshl_b64 s[18:19], s[18:19], 4
	s_add_u32 s18, s22, s18
	s_addc_u32 s19, s23, s19
	s_add_u32 s18, s18, s6
	s_addc_u32 s19, s19, s7
	s_add_u32 s18, s18, s4
	v_mov_b32_e32 v3, s31
	v_add_co_u32_e32 v4, vcc, s30, v2
	s_addc_u32 s19, s19, s5
	v_addc_co_u32_e32 v5, vcc, 0, v3, vcc
	v_pk_mov_b32 v[2:3], s[18:19], s[18:19] op_sel:[0,1]
	v_mad_u64_u32 v[2:3], s[18:19], v4, s25, v[2:3]
	v_mul_lo_u32 v4, v4, s28
	v_mul_lo_u32 v5, v5, s25
	v_add3_u32 v3, v5, v3, v4
	v_add_co_u32_e32 v2, vcc, 8, v2
	v_add_u32_e32 v1, 0x4000, v1
	v_addc_co_u32_e32 v3, vcc, 0, v3, vcc
.LBB234_21:                             ; =>This Inner Loop Header: Depth=1
	global_load_dwordx4 v[4:7], v[2:3], off offset:-8
	v_add_co_u32_e32 v2, vcc, 16, v2
	s_add_i32 s20, s20, -1
	v_addc_co_u32_e32 v3, vcc, 0, v3, vcc
	s_cmp_lg_u32 s20, 0
	s_waitcnt vmcnt(0)
	v_mul_f64 v[10:11], s[14:15], v[6:7]
	v_mul_f64 v[8:9], s[12:13], v[6:7]
	v_fma_f64 v[6:7], s[12:13], v[4:5], -v[10:11]
	v_fmac_f64_e32 v[8:9], s[14:15], v[4:5]
	ds_write_b128 v1, v[6:9]
	v_add_u32_e32 v1, 0x200, v1
	s_cbranch_scc1 .LBB234_21
.LBB234_22:
	s_or_b64 exec, exec, s[16:17]
	s_cmpk_eq_i32 s24, 0x6f
	s_mov_b64 s[12:13], -1
	s_waitcnt lgkmcnt(0)
	; wave barrier
	s_waitcnt lgkmcnt(0)
	s_cbranch_scc1 .LBB234_44
; %bb.23:
	v_mov_b32_e32 v1, 0x4000
	s_mov_b32 s13, 0
	v_lshl_or_b32 v1, v0, 4, v1
	v_lshlrev_b32_e32 v6, 4, v0
	v_mov_b32_e32 v7, 0
	s_mov_b32 s12, s13
	s_mov_b32 s16, s13
	s_branch .LBB234_25
.LBB234_24:                             ;   in Loop: Header=BB234_25 Depth=1
	s_cmp_ge_i32 s16, s33
	s_cselect_b64 s[14:15], -1, 0
	s_add_i32 s12, s12, 1
	s_cmp_eq_u32 s12, 3
	s_cselect_b64 s[18:19], -1, 0
	s_or_b64 s[14:15], s[14:15], s[18:19]
	s_andn2_b64 vcc, exec, s[14:15]
	s_cbranch_vccz .LBB234_43
.LBB234_25:                             ; =>This Loop Header: Depth=1
                                        ;     Child Loop BB234_28 Depth 2
                                        ;       Child Loop BB234_29 Depth 3
                                        ;       Child Loop BB234_32 Depth 3
                                        ;         Child Loop BB234_33 Depth 4
                                        ;       Child Loop BB234_37 Depth 3
                                        ;         Child Loop BB234_39 Depth 4
	s_lshl_b64 s[14:15], s[12:13], 2
	s_getpc_b64 s[18:19]
	s_add_u32 s18, s18, __const._ZL38rocblas_trsm_small_left_device_sharedBILi32ELi32ELb0E19rocblas_complex_numIdES1_PKS1_PS1_Ev13rocblas_fill_18rocblas_operation_17rocblas_diagonal_iiT3_T4_lilT5_lili.step_sizes@rel32@lo+4
	s_addc_u32 s19, s19, __const._ZL38rocblas_trsm_small_left_device_sharedBILi32ELi32ELb0E19rocblas_complex_numIdES1_PKS1_PS1_Ev13rocblas_fill_18rocblas_operation_17rocblas_diagonal_iiT3_T4_lilT5_lili.step_sizes@rel32@hi+12
	s_add_u32 s14, s14, s18
	s_addc_u32 s15, s15, s19
	s_load_dword s17, s[14:15], 0x0
	s_waitcnt lgkmcnt(0)
	s_add_i32 s18, s17, -1
	s_add_i32 s14, s18, s16
	s_cmp_ge_i32 s14, s33
	s_cbranch_scc1 .LBB234_24
; %bb.26:                               ;   in Loop: Header=BB234_25 Depth=1
	s_lshl_b32 s20, s16, 9
	s_max_i32 s19, s17, 1
	v_add_u32_e32 v8, s20, v1
	s_lshl_b32 s21, s17, 9
	s_mul_i32 s24, s16, 0x210
	s_mul_i32 s30, s17, 0x210
	s_branch .LBB234_28
.LBB234_27:                             ;   in Loop: Header=BB234_28 Depth=2
	s_add_i32 s16, s16, s17
	s_add_i32 s14, s18, s16
	s_add_i32 s20, s20, s21
	s_add_i32 s24, s24, s30
	s_cmp_ge_i32 s14, s33
	v_add_u32_e32 v8, s21, v8
	s_cbranch_scc1 .LBB234_24
.LBB234_28:                             ;   Parent Loop BB234_25 Depth=1
                                        ; =>  This Loop Header: Depth=2
                                        ;       Child Loop BB234_29 Depth 3
                                        ;       Child Loop BB234_32 Depth 3
                                        ;         Child Loop BB234_33 Depth 4
                                        ;       Child Loop BB234_37 Depth 3
                                        ;         Child Loop BB234_39 Depth 4
	v_mov_b32_e32 v2, 0
	v_mov_b32_e32 v3, v8
	s_mov_b32 s14, s19
.LBB234_29:                             ;   Parent Loop BB234_25 Depth=1
                                        ;     Parent Loop BB234_28 Depth=2
                                        ; =>    This Inner Loop Header: Depth=3
	ds_read_b128 v[10:13], v3
	s_add_i32 s14, s14, -1
	v_add_u32_e32 v3, 0x200, v3
	s_cmp_eq_u32 s14, 0
	s_waitcnt lgkmcnt(0)
	buffer_store_dword v13, v2, s[0:3], 0 offen offset:12
	buffer_store_dword v12, v2, s[0:3], 0 offen offset:8
	buffer_store_dword v11, v2, s[0:3], 0 offen offset:4
	buffer_store_dword v10, v2, s[0:3], 0 offen
	v_add_u32_e32 v2, 16, v2
	s_cbranch_scc0 .LBB234_29
; %bb.30:                               ;   in Loop: Header=BB234_28 Depth=2
	s_cmp_lt_i32 s16, 1
	s_cbranch_scc1 .LBB234_35
; %bb.31:                               ;   in Loop: Header=BB234_28 Depth=2
	s_mov_b32 s14, 0
	s_mov_b32 s15, s20
.LBB234_32:                             ;   Parent Loop BB234_25 Depth=1
                                        ;     Parent Loop BB234_28 Depth=2
                                        ; =>    This Loop Header: Depth=3
                                        ;         Child Loop BB234_33 Depth 4
	v_lshl_or_b32 v2, s14, 9, v6
	ds_read_b128 v[2:5], v2 offset:16384
	v_mov_b32_e32 v9, 0
	s_mov_b32 s31, s15
	s_mov_b32 s34, s19
.LBB234_33:                             ;   Parent Loop BB234_25 Depth=1
                                        ;     Parent Loop BB234_28 Depth=2
                                        ;       Parent Loop BB234_32 Depth=3
                                        ; =>      This Inner Loop Header: Depth=4
	buffer_load_dword v14, v9, s[0:3], 0 offen
	buffer_load_dword v15, v9, s[0:3], 0 offen offset:4
	buffer_load_dword v16, v9, s[0:3], 0 offen offset:8
	;; [unrolled: 1-line block ×3, first 2 shown]
	v_mov_b32_e32 v10, s31
	ds_read_b128 v[10:13], v10
	s_add_i32 s34, s34, -1
	s_addk_i32 s31, 0x200
	s_cmp_eq_u32 s34, 0
	s_waitcnt lgkmcnt(0)
	v_mul_f64 v[18:19], v[4:5], v[12:13]
	v_mul_f64 v[12:13], v[2:3], v[12:13]
	v_fma_f64 v[18:19], v[2:3], v[10:11], -v[18:19]
	v_fmac_f64_e32 v[12:13], v[4:5], v[10:11]
	s_waitcnt vmcnt(2)
	v_add_f64 v[10:11], v[14:15], -v[18:19]
	s_waitcnt vmcnt(0)
	v_add_f64 v[12:13], v[16:17], -v[12:13]
	buffer_store_dword v10, v9, s[0:3], 0 offen
	buffer_store_dword v11, v9, s[0:3], 0 offen offset:4
	buffer_store_dword v12, v9, s[0:3], 0 offen offset:8
	;; [unrolled: 1-line block ×3, first 2 shown]
	v_add_u32_e32 v9, 16, v9
	s_cbranch_scc0 .LBB234_33
; %bb.34:                               ;   in Loop: Header=BB234_32 Depth=3
	s_add_i32 s14, s14, 1
	s_add_i32 s15, s15, 16
	s_cmp_ge_i32 s14, s16
	s_cbranch_scc0 .LBB234_32
.LBB234_35:                             ;   in Loop: Header=BB234_28 Depth=2
	s_lshl_b32 s31, s16, 5
	s_mov_b32 s34, 0
	s_mov_b32 s35, s24
	s_branch .LBB234_37
.LBB234_36:                             ;   in Loop: Header=BB234_37 Depth=3
	s_mul_i32 s14, s37, 0x210
	v_mov_b32_e32 v9, s14
	ds_read_b128 v[10:13], v9
	s_lshl_b32 s14, s34, 4
	s_add_i32 s34, s34, 1
	s_addk_i32 s35, 0x200
	v_add_u32_e32 v9, s14, v7
	s_waitcnt vmcnt(0) lgkmcnt(0)
	v_mul_f64 v[14:15], v[12:13], v[4:5]
	v_mul_f64 v[16:17], v[10:11], v[4:5]
	v_fma_f64 v[14:15], v[10:11], v[2:3], -v[14:15]
	v_fmac_f64_e32 v[16:17], v[12:13], v[2:3]
	v_add_lshl_u32 v2, s36, v0, 4
	s_cmp_eq_u32 s34, s19
	buffer_store_dword v15, v9, s[0:3], 0 offen offset:4
	buffer_store_dword v14, v9, s[0:3], 0 offen
	buffer_store_dword v17, v9, s[0:3], 0 offen offset:12
	buffer_store_dword v16, v9, s[0:3], 0 offen offset:8
	ds_write_b128 v2, v[14:17] offset:16384
	s_cbranch_scc1 .LBB234_27
.LBB234_37:                             ;   Parent Loop BB234_25 Depth=1
                                        ;     Parent Loop BB234_28 Depth=2
                                        ; =>    This Loop Header: Depth=3
                                        ;         Child Loop BB234_39 Depth 4
	s_cmp_lg_u32 s34, 0
	s_cbranch_scc0 .LBB234_41
; %bb.38:                               ;   in Loop: Header=BB234_37 Depth=3
	s_lshl_b32 s14, s34, 4
	v_add_u32_e32 v9, s14, v7
	buffer_load_dword v2, v9, s[0:3], 0 offen
	buffer_load_dword v3, v9, s[0:3], 0 offen offset:4
	buffer_load_dword v4, v9, s[0:3], 0 offen offset:8
	;; [unrolled: 1-line block ×3, first 2 shown]
	s_add_i32 s37, s34, s16
	s_lshl_b32 s36, s37, 5
	v_mov_b32_e32 v10, 0
	s_mov_b32 s14, 0
	s_mov_b32 s15, s35
.LBB234_39:                             ;   Parent Loop BB234_25 Depth=1
                                        ;     Parent Loop BB234_28 Depth=2
                                        ;       Parent Loop BB234_37 Depth=3
                                        ; =>      This Inner Loop Header: Depth=4
	buffer_load_dword v16, v10, s[0:3], 0 offen offset:8
	buffer_load_dword v17, v10, s[0:3], 0 offen offset:12
	buffer_load_dword v18, v10, s[0:3], 0 offen
	buffer_load_dword v19, v10, s[0:3], 0 offen offset:4
	v_mov_b32_e32 v11, s15
	ds_read_b128 v[12:15], v11
	s_add_i32 s14, s14, 1
	s_add_i32 s15, s15, 16
	v_add_u32_e32 v10, 16, v10
	s_cmp_ge_u32 s14, s34
	s_waitcnt vmcnt(2) lgkmcnt(0)
	v_mul_f64 v[20:21], v[14:15], v[16:17]
	v_mul_f64 v[16:17], v[12:13], v[16:17]
	s_waitcnt vmcnt(0)
	v_fma_f64 v[12:13], v[12:13], v[18:19], -v[20:21]
	v_fmac_f64_e32 v[16:17], v[14:15], v[18:19]
	v_add_f64 v[2:3], v[2:3], -v[12:13]
	v_add_f64 v[4:5], v[4:5], -v[16:17]
	buffer_store_dword v2, v9, s[0:3], 0 offen
	buffer_store_dword v3, v9, s[0:3], 0 offen offset:4
	buffer_store_dword v4, v9, s[0:3], 0 offen offset:8
	;; [unrolled: 1-line block ×3, first 2 shown]
	s_cbranch_scc0 .LBB234_39
; %bb.40:                               ;   in Loop: Header=BB234_37 Depth=3
	s_branch .LBB234_36
.LBB234_41:                             ;   in Loop: Header=BB234_37 Depth=3
                                        ; implicit-def: $vgpr2_vgpr3
                                        ; implicit-def: $vgpr4_vgpr5
                                        ; implicit-def: $sgpr37
                                        ; implicit-def: $sgpr36
	s_cbranch_execz .LBB234_36
; %bb.42:                               ;   in Loop: Header=BB234_37 Depth=3
	buffer_load_dword v2, off, s[0:3], 0
	buffer_load_dword v3, off, s[0:3], 0 offset:4
	buffer_load_dword v4, off, s[0:3], 0 offset:8
	;; [unrolled: 1-line block ×3, first 2 shown]
	s_mov_b32 s36, s31
	s_mov_b32 s37, s16
	s_branch .LBB234_36
.LBB234_43:
	s_mov_b64 s[12:13], 0
.LBB234_44:
	s_and_b64 vcc, exec, s[12:13]
	s_cbranch_vccz .LBB234_64
; %bb.45:
	v_mov_b32_e32 v1, 0x4000
	s_lshl_b32 s16, s33, 9
	s_mov_b32 s13, 0
	v_lshl_or_b32 v1, v0, 4, v1
	s_addk_i32 s16, 0xfe00
	v_lshlrev_b32_e32 v6, 4, v0
	v_mov_b32_e32 v7, 0
	s_mov_b32 s12, s13
	s_mov_b32 s17, s38
	s_branch .LBB234_47
.LBB234_46:                             ;   in Loop: Header=BB234_47 Depth=1
	s_cmp_lt_i32 s17, 0
	s_cselect_b64 s[14:15], -1, 0
	s_add_i32 s12, s12, 1
	s_cmp_eq_u32 s12, 3
	s_cselect_b64 s[18:19], -1, 0
	s_or_b64 s[14:15], s[14:15], s[18:19]
	s_and_b64 vcc, exec, s[14:15]
	s_cbranch_vccnz .LBB234_64
.LBB234_47:                             ; =>This Loop Header: Depth=1
                                        ;     Child Loop BB234_50 Depth 2
                                        ;       Child Loop BB234_51 Depth 3
                                        ;       Child Loop BB234_53 Depth 3
                                        ;         Child Loop BB234_54 Depth 4
                                        ;       Child Loop BB234_58 Depth 3
                                        ;         Child Loop BB234_60 Depth 4
	s_lshl_b64 s[14:15], s[12:13], 2
	s_getpc_b64 s[18:19]
	s_add_u32 s18, s18, __const._ZL38rocblas_trsm_small_left_device_sharedBILi32ELi32ELb0E19rocblas_complex_numIdES1_PKS1_PS1_Ev13rocblas_fill_18rocblas_operation_17rocblas_diagonal_iiT3_T4_lilT5_lili.step_sizes@rel32@lo+4
	s_addc_u32 s19, s19, __const._ZL38rocblas_trsm_small_left_device_sharedBILi32ELi32ELb0E19rocblas_complex_numIdES1_PKS1_PS1_Ev13rocblas_fill_18rocblas_operation_17rocblas_diagonal_iiT3_T4_lilT5_lili.step_sizes@rel32@hi+12
	s_add_u32 s14, s14, s18
	s_addc_u32 s15, s15, s19
	s_load_dword s18, s[14:15], 0x0
	s_waitcnt lgkmcnt(0)
	s_add_i32 s19, s18, -1
	s_cmp_lt_i32 s17, s19
	s_cbranch_scc1 .LBB234_46
; %bb.48:                               ;   in Loop: Header=BB234_47 Depth=1
	s_lshl_b32 s14, s18, 9
	s_sub_i32 s21, 0, s14
	s_lshl_b32 s14, s17, 4
	s_add_i32 s24, s16, s14
	s_lshl_b32 s14, s18, 4
	s_max_i32 s20, s18, 1
	v_lshl_add_u32 v8, s17, 9, v1
	s_sub_i32 s30, 0, s14
	s_mul_i32 s31, s17, 0x210
	s_mul_i32 s34, s18, 0xfffffdf0
	s_branch .LBB234_50
.LBB234_49:                             ;   in Loop: Header=BB234_50 Depth=2
	s_sub_i32 s17, s17, s18
	s_add_i32 s24, s24, s30
	s_add_i32 s31, s31, s34
	s_cmp_lt_i32 s17, s19
	v_add_u32_e32 v8, s21, v8
	s_cbranch_scc1 .LBB234_46
.LBB234_50:                             ;   Parent Loop BB234_47 Depth=1
                                        ; =>  This Loop Header: Depth=2
                                        ;       Child Loop BB234_51 Depth 3
                                        ;       Child Loop BB234_53 Depth 3
                                        ;         Child Loop BB234_54 Depth 4
                                        ;       Child Loop BB234_58 Depth 3
                                        ;         Child Loop BB234_60 Depth 4
	v_mov_b32_e32 v2, 0
	v_mov_b32_e32 v3, v8
	s_mov_b32 s14, s20
.LBB234_51:                             ;   Parent Loop BB234_47 Depth=1
                                        ;     Parent Loop BB234_50 Depth=2
                                        ; =>    This Inner Loop Header: Depth=3
	ds_read_b128 v[10:13], v3
	s_add_i32 s14, s14, -1
	v_add_u32_e32 v3, 0xfffffe00, v3
	s_cmp_eq_u32 s14, 0
	s_waitcnt lgkmcnt(0)
	buffer_store_dword v13, v2, s[0:3], 0 offen offset:12
	buffer_store_dword v12, v2, s[0:3], 0 offen offset:8
	;; [unrolled: 1-line block ×3, first 2 shown]
	buffer_store_dword v10, v2, s[0:3], 0 offen
	v_add_u32_e32 v2, 16, v2
	s_cbranch_scc0 .LBB234_51
; %bb.52:                               ;   in Loop: Header=BB234_50 Depth=2
	s_cmp_le_i32 s38, s17
	s_mov_b32 s14, s24
	s_mov_b32 s15, s38
	s_cbranch_scc1 .LBB234_56
.LBB234_53:                             ;   Parent Loop BB234_47 Depth=1
                                        ;     Parent Loop BB234_50 Depth=2
                                        ; =>    This Loop Header: Depth=3
                                        ;         Child Loop BB234_54 Depth 4
	v_lshl_or_b32 v2, s15, 9, v6
	ds_read_b128 v[2:5], v2 offset:16384
	v_mov_b32_e32 v9, 0
	s_mov_b32 s35, s20
	s_mov_b32 s36, s14
.LBB234_54:                             ;   Parent Loop BB234_47 Depth=1
                                        ;     Parent Loop BB234_50 Depth=2
                                        ;       Parent Loop BB234_53 Depth=3
                                        ; =>      This Inner Loop Header: Depth=4
	buffer_load_dword v14, v9, s[0:3], 0 offen
	buffer_load_dword v15, v9, s[0:3], 0 offen offset:4
	buffer_load_dword v16, v9, s[0:3], 0 offen offset:8
	;; [unrolled: 1-line block ×3, first 2 shown]
	v_mov_b32_e32 v10, s36
	ds_read_b128 v[10:13], v10
	s_add_i32 s36, s36, -16
	s_add_i32 s35, s35, -1
	s_cmp_eq_u32 s35, 0
	s_waitcnt lgkmcnt(0)
	v_mul_f64 v[18:19], v[4:5], v[12:13]
	v_mul_f64 v[12:13], v[2:3], v[12:13]
	v_fma_f64 v[18:19], v[2:3], v[10:11], -v[18:19]
	v_fmac_f64_e32 v[12:13], v[4:5], v[10:11]
	s_waitcnt vmcnt(2)
	v_add_f64 v[10:11], v[14:15], -v[18:19]
	s_waitcnt vmcnt(0)
	v_add_f64 v[12:13], v[16:17], -v[12:13]
	buffer_store_dword v10, v9, s[0:3], 0 offen
	buffer_store_dword v11, v9, s[0:3], 0 offen offset:4
	buffer_store_dword v12, v9, s[0:3], 0 offen offset:8
	;; [unrolled: 1-line block ×3, first 2 shown]
	v_add_u32_e32 v9, 16, v9
	s_cbranch_scc0 .LBB234_54
; %bb.55:                               ;   in Loop: Header=BB234_53 Depth=3
	s_add_i32 s15, s15, -1
	s_addk_i32 s14, 0xfe00
	s_cmp_le_i32 s15, s17
	s_cbranch_scc0 .LBB234_53
.LBB234_56:                             ;   in Loop: Header=BB234_50 Depth=2
	s_mov_b32 s35, 0
	s_mov_b32 s36, s31
	s_branch .LBB234_58
.LBB234_57:                             ;   in Loop: Header=BB234_58 Depth=3
	s_mul_i32 s14, s37, 0x210
	v_mov_b32_e32 v9, s14
	ds_read_b128 v[10:13], v9
	s_lshl_b32 s14, s35, 4
	s_add_i32 s35, s35, 1
	s_add_i32 s36, s36, -16
	v_add_u32_e32 v9, s14, v7
	s_waitcnt vmcnt(0) lgkmcnt(0)
	v_mul_f64 v[14:15], v[12:13], v[4:5]
	v_mul_f64 v[16:17], v[10:11], v[4:5]
	v_fma_f64 v[14:15], v[10:11], v[2:3], -v[14:15]
	v_fmac_f64_e32 v[16:17], v[12:13], v[2:3]
	v_lshl_or_b32 v2, s37, 9, v6
	s_cmp_eq_u32 s35, s20
	buffer_store_dword v15, v9, s[0:3], 0 offen offset:4
	buffer_store_dword v14, v9, s[0:3], 0 offen
	buffer_store_dword v17, v9, s[0:3], 0 offen offset:12
	buffer_store_dword v16, v9, s[0:3], 0 offen offset:8
	ds_write_b128 v2, v[14:17] offset:16384
	s_cbranch_scc1 .LBB234_49
.LBB234_58:                             ;   Parent Loop BB234_47 Depth=1
                                        ;     Parent Loop BB234_50 Depth=2
                                        ; =>    This Loop Header: Depth=3
                                        ;         Child Loop BB234_60 Depth 4
	s_cmp_lg_u32 s35, 0
	s_cbranch_scc0 .LBB234_62
; %bb.59:                               ;   in Loop: Header=BB234_58 Depth=3
	s_lshl_b32 s14, s35, 4
	v_add_u32_e32 v9, s14, v7
	buffer_load_dword v2, v9, s[0:3], 0 offen
	buffer_load_dword v3, v9, s[0:3], 0 offen offset:4
	buffer_load_dword v4, v9, s[0:3], 0 offen offset:8
	;; [unrolled: 1-line block ×3, first 2 shown]
	s_sub_i32 s37, s17, s35
	v_mov_b32_e32 v10, 0
	s_mov_b32 s14, 0
	s_mov_b32 s15, s36
.LBB234_60:                             ;   Parent Loop BB234_47 Depth=1
                                        ;     Parent Loop BB234_50 Depth=2
                                        ;       Parent Loop BB234_58 Depth=3
                                        ; =>      This Inner Loop Header: Depth=4
	buffer_load_dword v16, v10, s[0:3], 0 offen offset:8
	buffer_load_dword v17, v10, s[0:3], 0 offen offset:12
	buffer_load_dword v18, v10, s[0:3], 0 offen
	buffer_load_dword v19, v10, s[0:3], 0 offen offset:4
	v_mov_b32_e32 v11, s15
	ds_read_b128 v[12:15], v11
	s_add_i32 s14, s14, 1
	s_addk_i32 s15, 0xfe00
	v_add_u32_e32 v10, 16, v10
	s_cmp_ge_u32 s14, s35
	s_waitcnt vmcnt(2) lgkmcnt(0)
	v_mul_f64 v[20:21], v[14:15], v[16:17]
	v_mul_f64 v[16:17], v[12:13], v[16:17]
	s_waitcnt vmcnt(0)
	v_fma_f64 v[12:13], v[12:13], v[18:19], -v[20:21]
	v_fmac_f64_e32 v[16:17], v[14:15], v[18:19]
	v_add_f64 v[2:3], v[2:3], -v[12:13]
	v_add_f64 v[4:5], v[4:5], -v[16:17]
	buffer_store_dword v2, v9, s[0:3], 0 offen
	buffer_store_dword v3, v9, s[0:3], 0 offen offset:4
	buffer_store_dword v4, v9, s[0:3], 0 offen offset:8
	;; [unrolled: 1-line block ×3, first 2 shown]
	s_cbranch_scc0 .LBB234_60
; %bb.61:                               ;   in Loop: Header=BB234_58 Depth=3
	s_branch .LBB234_57
.LBB234_62:                             ;   in Loop: Header=BB234_58 Depth=3
                                        ; implicit-def: $vgpr2_vgpr3
                                        ; implicit-def: $vgpr4_vgpr5
                                        ; implicit-def: $sgpr37
	s_cbranch_execz .LBB234_57
; %bb.63:                               ;   in Loop: Header=BB234_58 Depth=3
	buffer_load_dword v2, off, s[0:3], 0
	buffer_load_dword v3, off, s[0:3], 0 offset:4
	buffer_load_dword v4, off, s[0:3], 0 offset:8
	buffer_load_dword v5, off, s[0:3], 0 offset:12
	s_mov_b32 s37, s17
	s_branch .LBB234_57
.LBB234_64:
	s_waitcnt lgkmcnt(0)
	; wave barrier
	s_waitcnt lgkmcnt(0)
	s_and_saveexec_b64 s[12:13], s[8:9]
	s_cbranch_execz .LBB234_71
; %bb.65:
	s_cmp_lt_i32 s26, 8
	s_mov_b32 s8, 0
	s_cbranch_scc1 .LBB234_68
; %bb.66:
	v_mad_i64_i32 v[2:3], s[8:9], s25, v0, 0
	v_lshlrev_b64 v[2:3], 4, v[2:3]
	v_mov_b32_e32 v4, s29
	v_add_co_u32_e32 v1, vcc, s27, v2
	v_addc_co_u32_e32 v2, vcc, v4, v3, vcc
	v_mov_b32_e32 v3, 0x4000
	s_lshl_b32 s8, s33, 4
	v_lshl_or_b32 v3, v0, 4, v3
	s_and_b32 s9, s8, 0x380
	s_mov_b32 s8, 0
	s_mov_b64 s[12:13], 0
.LBB234_67:                             ; =>This Inner Loop Header: Depth=1
	v_mov_b32_e32 v20, s13
	v_add_u32_e32 v21, 0x800, v3
	v_add_u32_e32 v24, 0xa00, v3
	;; [unrolled: 1-line block ×4, first 2 shown]
	v_add_co_u32_e32 v36, vcc, s12, v1
	ds_read2_b64 v[4:7], v3 offset1:1
	ds_read2_b64 v[8:11], v3 offset0:64 offset1:65
	ds_read2_b64 v[12:15], v3 offset0:128 offset1:129
	;; [unrolled: 1-line block ×3, first 2 shown]
	v_addc_co_u32_e32 v37, vcc, v2, v20, vcc
	ds_read2_b64 v[20:23], v21 offset1:1
	ds_read2_b64 v[24:27], v24 offset1:1
	;; [unrolled: 1-line block ×4, first 2 shown]
	s_add_i32 s8, s8, 8
	s_add_u32 s12, s12, 0x80
	s_addc_u32 s13, s13, 0
	v_add_u32_e32 v3, 0x1000, v3
	s_cmp_lg_u32 s9, s12
	s_waitcnt lgkmcnt(7)
	global_store_dwordx4 v[36:37], v[4:7], off
	s_waitcnt lgkmcnt(6)
	global_store_dwordx4 v[36:37], v[8:11], off offset:16
	s_waitcnt lgkmcnt(5)
	global_store_dwordx4 v[36:37], v[12:15], off offset:32
	s_waitcnt lgkmcnt(4)
	global_store_dwordx4 v[36:37], v[16:19], off offset:48
	s_waitcnt lgkmcnt(3)
	global_store_dwordx4 v[36:37], v[20:23], off offset:64
	s_waitcnt lgkmcnt(2)
	global_store_dwordx4 v[36:37], v[24:27], off offset:80
	s_waitcnt lgkmcnt(1)
	global_store_dwordx4 v[36:37], v[28:31], off offset:96
	s_waitcnt lgkmcnt(0)
	global_store_dwordx4 v[36:37], v[32:35], off offset:112
	s_cbranch_scc1 .LBB234_67
.LBB234_68:
	s_and_b32 s12, s33, 7
	s_cmp_eq_u32 s12, 0
	s_mov_b32 s9, 0
	s_cbranch_scc1 .LBB234_71
; %bb.69:
	s_lshl_b64 s[10:11], s[10:11], 4
	v_lshlrev_b32_e32 v2, 4, v0
	v_mov_b32_e32 v0, s11
	v_add_co_u32_e32 v3, vcc, s10, v2
	s_lshl_b64 s[10:11], s[8:9], 4
	s_add_u32 s9, s22, s10
	s_addc_u32 s10, s23, s11
	s_add_u32 s6, s9, s6
	s_addc_u32 s7, s10, s7
	;; [unrolled: 2-line block ×3, first 2 shown]
	v_addc_co_u32_e32 v4, vcc, 0, v0, vcc
	v_pk_mov_b32 v[0:1], s[4:5], s[4:5] op_sel:[0,1]
	v_mad_u64_u32 v[0:1], s[4:5], v3, s25, v[0:1]
	v_mul_lo_u32 v3, v3, s28
	v_mul_lo_u32 v4, v4, s25
	v_lshl_or_b32 v2, s8, 9, v2
	v_add3_u32 v1, v4, v1, v3
	v_add_u32_e32 v2, 0x4000, v2
.LBB234_70:                             ; =>This Inner Loop Header: Depth=1
	ds_read2_b64 v[4:7], v2 offset1:1
	s_add_i32 s12, s12, -1
	v_add_u32_e32 v2, 0x200, v2
	s_cmp_lg_u32 s12, 0
	s_waitcnt lgkmcnt(0)
	global_store_dwordx4 v[0:1], v[4:7], off
	v_add_co_u32_e32 v0, vcc, 16, v0
	v_addc_co_u32_e32 v1, vcc, 0, v1, vcc
	s_cbranch_scc1 .LBB234_70
.LBB234_71:
	s_endpgm
	.section	.rodata,"a",@progbits
	.p2align	6, 0x0
	.amdhsa_kernel _ZL38rocblas_trsm_small_left_device_sharedBILi32ELi32ELb0E19rocblas_complex_numIdES1_PKS1_PS1_Ev13rocblas_fill_18rocblas_operation_17rocblas_diagonal_iiT3_T4_lilT5_lili
		.amdhsa_group_segment_fixed_size 32768
		.amdhsa_private_segment_fixed_size 528
		.amdhsa_kernarg_size 368
		.amdhsa_user_sgpr_count 8
		.amdhsa_user_sgpr_private_segment_buffer 1
		.amdhsa_user_sgpr_dispatch_ptr 0
		.amdhsa_user_sgpr_queue_ptr 0
		.amdhsa_user_sgpr_kernarg_segment_ptr 1
		.amdhsa_user_sgpr_dispatch_id 0
		.amdhsa_user_sgpr_flat_scratch_init 1
		.amdhsa_user_sgpr_kernarg_preload_length 0
		.amdhsa_user_sgpr_kernarg_preload_offset 0
		.amdhsa_user_sgpr_private_segment_size 0
		.amdhsa_uses_dynamic_stack 0
		.amdhsa_system_sgpr_private_segment_wavefront_offset 1
		.amdhsa_system_sgpr_workgroup_id_x 1
		.amdhsa_system_sgpr_workgroup_id_y 0
		.amdhsa_system_sgpr_workgroup_id_z 1
		.amdhsa_system_sgpr_workgroup_info 0
		.amdhsa_system_vgpr_workitem_id 0
		.amdhsa_next_free_vgpr 54
		.amdhsa_next_free_sgpr 43
		.amdhsa_accum_offset 56
		.amdhsa_reserve_vcc 1
		.amdhsa_reserve_flat_scratch 0
		.amdhsa_float_round_mode_32 0
		.amdhsa_float_round_mode_16_64 0
		.amdhsa_float_denorm_mode_32 3
		.amdhsa_float_denorm_mode_16_64 3
		.amdhsa_dx10_clamp 1
		.amdhsa_ieee_mode 1
		.amdhsa_fp16_overflow 0
		.amdhsa_tg_split 0
		.amdhsa_exception_fp_ieee_invalid_op 0
		.amdhsa_exception_fp_denorm_src 0
		.amdhsa_exception_fp_ieee_div_zero 0
		.amdhsa_exception_fp_ieee_overflow 0
		.amdhsa_exception_fp_ieee_underflow 0
		.amdhsa_exception_fp_ieee_inexact 0
		.amdhsa_exception_int_div_zero 0
	.end_amdhsa_kernel
	.section	.text._ZL38rocblas_trsm_small_left_device_sharedBILi32ELi32ELb0E19rocblas_complex_numIdES1_PKS1_PS1_Ev13rocblas_fill_18rocblas_operation_17rocblas_diagonal_iiT3_T4_lilT5_lili,"axG",@progbits,_ZL38rocblas_trsm_small_left_device_sharedBILi32ELi32ELb0E19rocblas_complex_numIdES1_PKS1_PS1_Ev13rocblas_fill_18rocblas_operation_17rocblas_diagonal_iiT3_T4_lilT5_lili,comdat
.Lfunc_end234:
	.size	_ZL38rocblas_trsm_small_left_device_sharedBILi32ELi32ELb0E19rocblas_complex_numIdES1_PKS1_PS1_Ev13rocblas_fill_18rocblas_operation_17rocblas_diagonal_iiT3_T4_lilT5_lili, .Lfunc_end234-_ZL38rocblas_trsm_small_left_device_sharedBILi32ELi32ELb0E19rocblas_complex_numIdES1_PKS1_PS1_Ev13rocblas_fill_18rocblas_operation_17rocblas_diagonal_iiT3_T4_lilT5_lili
                                        ; -- End function
	.section	.AMDGPU.csdata,"",@progbits
; Kernel info:
; codeLenInByte = 4308
; NumSgprs: 47
; NumVgprs: 54
; NumAgprs: 0
; TotalNumVgprs: 54
; ScratchSize: 528
; MemoryBound: 0
; FloatMode: 240
; IeeeMode: 1
; LDSByteSize: 32768 bytes/workgroup (compile time only)
; SGPRBlocks: 5
; VGPRBlocks: 6
; NumSGPRsForWavesPerEU: 47
; NumVGPRsForWavesPerEU: 54
; AccumOffset: 56
; Occupancy: 1
; WaveLimiterHint : 0
; COMPUTE_PGM_RSRC2:SCRATCH_EN: 1
; COMPUTE_PGM_RSRC2:USER_SGPR: 8
; COMPUTE_PGM_RSRC2:TRAP_HANDLER: 0
; COMPUTE_PGM_RSRC2:TGID_X_EN: 1
; COMPUTE_PGM_RSRC2:TGID_Y_EN: 0
; COMPUTE_PGM_RSRC2:TGID_Z_EN: 1
; COMPUTE_PGM_RSRC2:TIDIG_COMP_CNT: 0
; COMPUTE_PGM_RSRC3_GFX90A:ACCUM_OFFSET: 13
; COMPUTE_PGM_RSRC3_GFX90A:TG_SPLIT: 0
	.section	.text._ZL30rocblas_trsm_small_left_deviceILi32ELi32ELb0E19rocblas_complex_numIdES1_PKS1_PS1_Ev13rocblas_fill_18rocblas_operation_17rocblas_diagonal_iiT3_T4_lilT5_lili,"axG",@progbits,_ZL30rocblas_trsm_small_left_deviceILi32ELi32ELb0E19rocblas_complex_numIdES1_PKS1_PS1_Ev13rocblas_fill_18rocblas_operation_17rocblas_diagonal_iiT3_T4_lilT5_lili,comdat
	.globl	_ZL30rocblas_trsm_small_left_deviceILi32ELi32ELb0E19rocblas_complex_numIdES1_PKS1_PS1_Ev13rocblas_fill_18rocblas_operation_17rocblas_diagonal_iiT3_T4_lilT5_lili ; -- Begin function _ZL30rocblas_trsm_small_left_deviceILi32ELi32ELb0E19rocblas_complex_numIdES1_PKS1_PS1_Ev13rocblas_fill_18rocblas_operation_17rocblas_diagonal_iiT3_T4_lilT5_lili
	.p2align	8
	.type	_ZL30rocblas_trsm_small_left_deviceILi32ELi32ELb0E19rocblas_complex_numIdES1_PKS1_PS1_Ev13rocblas_fill_18rocblas_operation_17rocblas_diagonal_iiT3_T4_lilT5_lili,@function
_ZL30rocblas_trsm_small_left_deviceILi32ELi32ELb0E19rocblas_complex_numIdES1_PKS1_PS1_Ev13rocblas_fill_18rocblas_operation_17rocblas_diagonal_iiT3_T4_lilT5_lili: ; @_ZL30rocblas_trsm_small_left_deviceILi32ELi32ELb0E19rocblas_complex_numIdES1_PKS1_PS1_Ev13rocblas_fill_18rocblas_operation_17rocblas_diagonal_iiT3_T4_lilT5_lili
; %bb.0:
	s_add_u32 s0, s0, s10
	s_load_dwordx4 s[24:27], s[4:5], 0x4
	s_load_dwordx8 s[12:19], s[4:5], 0x18
	s_load_dwordx4 s[20:23], s[4:5], 0x40
	s_load_dwordx2 s[10:11], s[4:5], 0x50
	s_load_dword s39, s[4:5], 0x70
	s_addc_u32 s1, s1, 0
	s_waitcnt lgkmcnt(0)
	s_min_i32 s38, s26, 32
	s_mov_b32 s40, 0
	s_add_i32 s33, s38, -1
	v_cmp_gt_i32_e32 vcc, s38, v0
	s_and_saveexec_b64 s[28:29], vcc
	s_cbranch_execz .LBB235_15
; %bb.1:
	s_load_dword s30, s[4:5], 0x38
	v_lshlrev_b32_e32 v1, 4, v0
	s_mul_i32 s26, s21, s9
	s_mul_hi_u32 s41, s20, s9
	s_mul_i32 s20, s20, s9
	s_waitcnt lgkmcnt(0)
	s_ashr_i32 s31, s30, 31
	s_cmpk_eq_i32 s24, 0x71
	s_cselect_b64 vcc, -1, 0
	s_cmp_lt_u32 s33, 3
	s_cbranch_scc1 .LBB235_4
; %bb.2:
	s_add_i32 s21, s41, s26
	s_and_b32 s40, s38, -4
	s_lshl_b64 s[6:7], s[20:21], 4
	s_lshl_b64 s[34:35], s[18:19], 4
	s_add_u32 s6, s6, s34
	s_addc_u32 s7, s7, s35
	s_add_u32 s6, s16, s6
	v_lshlrev_b32_e32 v2, 4, v0
	s_addc_u32 s7, s17, s7
	v_mov_b32_e32 v3, s7
	v_add_co_u32_e64 v2, s[6:7], s6, v2
	v_addc_co_u32_e64 v3, s[6:7], 0, v3, s[6:7]
	v_add_co_u32_e64 v2, s[6:7], 8, v2
	s_lshl_b64 s[34:35], s[30:31], 6
	s_lshl_b64 s[36:37], s[30:31], 4
	v_addc_co_u32_e64 v3, s[6:7], 0, v3, s[6:7]
	s_mov_b32 s21, 0
	v_mov_b32_e32 v4, s37
	v_mov_b32_e32 v5, s35
	;; [unrolled: 1-line block ×3, first 2 shown]
.LBB235_3:                              ; =>This Inner Loop Header: Depth=1
	v_add_co_u32_e64 v20, s[6:7], s36, v2
	v_addc_co_u32_e64 v21, s[6:7], v3, v4, s[6:7]
	v_add_co_u32_e64 v22, s[6:7], s36, v20
	global_load_dwordx4 v[8:11], v[2:3], off offset:-8
	v_addc_co_u32_e64 v23, s[6:7], v21, v4, s[6:7]
	global_load_dwordx4 v[12:15], v[20:21], off offset:-8
	global_load_dwordx4 v[16:19], v[22:23], off offset:-8
	v_add_co_u32_e64 v20, s[6:7], s36, v22
	v_addc_co_u32_e64 v21, s[6:7], v23, v4, s[6:7]
	global_load_dwordx4 v[20:23], v[20:21], off offset:-8
	s_add_i32 s21, s21, 4
	v_add_co_u32_e64 v2, s[6:7], s34, v2
	s_cmp_eq_u32 s40, s21
	v_addc_co_u32_e64 v3, s[6:7], v3, v5, s[6:7]
	s_waitcnt vmcnt(3)
	v_xor_b32_e32 v7, 0x80000000, v11
	v_cndmask_b32_e32 v11, v11, v7, vcc
	s_waitcnt vmcnt(2)
	v_xor_b32_e32 v7, 0x80000000, v15
	v_cndmask_b32_e32 v15, v15, v7, vcc
	;; [unrolled: 3-line block ×3, first 2 shown]
	ds_write_b128 v6, v[8:11]
	ds_write_b128 v6, v[12:15] offset:512
	s_waitcnt vmcnt(0)
	v_xor_b32_e32 v7, 0x80000000, v23
	v_cndmask_b32_e32 v23, v23, v7, vcc
	ds_write_b128 v6, v[16:19] offset:1024
	ds_write_b128 v6, v[20:23] offset:1536
	v_add_u32_e32 v6, 0x800, v6
	s_cbranch_scc0 .LBB235_3
.LBB235_4:
	s_and_b32 s34, s38, 3
	s_cmp_eq_u32 s34, 0
	s_cbranch_scc1 .LBB235_7
; %bb.5:
	s_add_i32 s21, s41, s26
	s_lshl_b64 s[6:7], s[20:21], 4
	s_mul_i32 s20, s31, s40
	s_mul_hi_u32 s21, s30, s40
	s_add_i32 s21, s21, s20
	s_mul_i32 s20, s30, s40
	s_lshl_b64 s[20:21], s[20:21], 4
	s_add_u32 s20, s6, s20
	s_addc_u32 s21, s7, s21
	s_lshl_b64 s[6:7], s[18:19], 4
	s_add_u32 s6, s20, s6
	s_addc_u32 s7, s21, s7
	s_add_u32 s6, s16, s6
	s_addc_u32 s7, s17, s7
	v_lshl_or_b32 v4, s40, 9, v1
	v_mov_b32_e32 v2, s7
	v_add_co_u32_e64 v1, s[6:7], s6, v1
	v_addc_co_u32_e64 v3, s[6:7], 0, v2, s[6:7]
	v_add_co_u32_e64 v2, s[6:7], 8, v1
	s_lshl_b64 s[16:17], s[30:31], 4
	v_addc_co_u32_e64 v3, s[6:7], 0, v3, s[6:7]
	v_mov_b32_e32 v1, s17
.LBB235_6:                              ; =>This Inner Loop Header: Depth=1
	global_load_dwordx4 v[6:9], v[2:3], off offset:-8
	v_add_co_u32_e64 v2, s[6:7], s16, v2
	s_add_i32 s34, s34, -1
	v_addc_co_u32_e64 v3, s[6:7], v3, v1, s[6:7]
	s_cmp_lg_u32 s34, 0
	s_waitcnt vmcnt(0)
	v_xor_b32_e32 v5, 0x80000000, v9
	v_cndmask_b32_e32 v9, v9, v5, vcc
	ds_write_b128 v4, v[6:9]
	v_add_u32_e32 v4, 0x200, v4
	s_cbranch_scc1 .LBB235_6
.LBB235_7:
	v_mul_u32_u24_e32 v1, 33, v0
	s_cmpk_lg_i32 s25, 0x84
	v_lshlrev_b32_e32 v1, 4, v1
	s_cbranch_scc0 .LBB235_13
; %bb.8:
	ds_read_b128 v[2:5], v1
	s_waitcnt lgkmcnt(0)
	v_xor_b32_e32 v7, 0x80000000, v3
	v_cmp_gt_f64_e32 vcc, 0, v[2:3]
	v_xor_b32_e32 v8, 0x80000000, v5
	v_cndmask_b32_e32 v7, v3, v7, vcc
	v_cmp_gt_f64_e32 vcc, 0, v[4:5]
	v_mov_b32_e32 v6, v2
	v_cndmask_b32_e32 v9, v5, v8, vcc
	v_mov_b32_e32 v8, v4
	v_cmp_ngt_f64_e32 vcc, v[6:7], v[8:9]
                                        ; implicit-def: $vgpr8_vgpr9
	s_and_saveexec_b64 s[6:7], vcc
	s_xor_b64 s[6:7], exec, s[6:7]
	s_cbranch_execz .LBB235_10
; %bb.9:
	v_div_scale_f64 v[6:7], s[16:17], v[4:5], v[4:5], v[2:3]
	v_rcp_f64_e32 v[8:9], v[6:7]
	v_div_scale_f64 v[10:11], vcc, v[2:3], v[4:5], v[2:3]
	v_fma_f64 v[12:13], -v[6:7], v[8:9], 1.0
	v_fmac_f64_e32 v[8:9], v[8:9], v[12:13]
	v_fma_f64 v[12:13], -v[6:7], v[8:9], 1.0
	v_fmac_f64_e32 v[8:9], v[8:9], v[12:13]
	v_mul_f64 v[12:13], v[10:11], v[8:9]
	v_fma_f64 v[6:7], -v[6:7], v[12:13], v[10:11]
	v_div_fmas_f64 v[6:7], v[6:7], v[8:9], v[12:13]
	v_div_fixup_f64 v[8:9], v[6:7], v[4:5], v[2:3]
	v_fmac_f64_e32 v[4:5], v[2:3], v[8:9]
	v_div_scale_f64 v[2:3], s[16:17], v[4:5], v[4:5], 1.0
	v_rcp_f64_e32 v[6:7], v[2:3]
	v_fma_f64 v[10:11], -v[2:3], v[6:7], 1.0
	v_fmac_f64_e32 v[6:7], v[6:7], v[10:11]
	v_fma_f64 v[10:11], -v[2:3], v[6:7], 1.0
	v_fmac_f64_e32 v[6:7], v[6:7], v[10:11]
	v_div_scale_f64 v[10:11], vcc, 1.0, v[4:5], 1.0
	v_mul_f64 v[12:13], v[10:11], v[6:7]
	v_fma_f64 v[2:3], -v[2:3], v[12:13], v[10:11]
	s_nop 1
	v_div_fmas_f64 v[2:3], v[2:3], v[6:7], v[12:13]
	v_div_fixup_f64 v[2:3], v[2:3], v[4:5], 1.0
	v_add_f64 v[4:5], v[8:9], 0
	v_mul_f64 v[6:7], v[4:5], v[2:3]
	v_fma_f64 v[4:5], v[8:9], 0, -1.0
	v_mul_f64 v[8:9], v[4:5], v[2:3]
                                        ; implicit-def: $vgpr2_vgpr3
.LBB235_10:
	s_andn2_saveexec_b64 s[6:7], s[6:7]
	s_cbranch_execz .LBB235_12
; %bb.11:
	v_div_scale_f64 v[6:7], s[16:17], v[2:3], v[2:3], v[4:5]
	v_rcp_f64_e32 v[8:9], v[6:7]
	v_div_scale_f64 v[10:11], vcc, v[4:5], v[2:3], v[4:5]
	v_fma_f64 v[12:13], -v[6:7], v[8:9], 1.0
	v_fmac_f64_e32 v[8:9], v[8:9], v[12:13]
	v_fma_f64 v[12:13], -v[6:7], v[8:9], 1.0
	v_fmac_f64_e32 v[8:9], v[8:9], v[12:13]
	v_mul_f64 v[12:13], v[10:11], v[8:9]
	v_fma_f64 v[6:7], -v[6:7], v[12:13], v[10:11]
	v_div_fmas_f64 v[6:7], v[6:7], v[8:9], v[12:13]
	v_div_fixup_f64 v[8:9], v[6:7], v[2:3], v[4:5]
	v_fmac_f64_e32 v[2:3], v[4:5], v[8:9]
	v_div_scale_f64 v[4:5], s[16:17], v[2:3], v[2:3], 1.0
	v_rcp_f64_e32 v[6:7], v[4:5]
	v_fma_f64 v[10:11], -v[4:5], v[6:7], 1.0
	v_fmac_f64_e32 v[6:7], v[6:7], v[10:11]
	v_fma_f64 v[10:11], -v[4:5], v[6:7], 1.0
	v_fmac_f64_e32 v[6:7], v[6:7], v[10:11]
	v_div_scale_f64 v[10:11], vcc, 1.0, v[2:3], 1.0
	v_mul_f64 v[12:13], v[10:11], v[6:7]
	v_fma_f64 v[4:5], -v[4:5], v[12:13], v[10:11]
	s_nop 1
	v_div_fmas_f64 v[4:5], v[4:5], v[6:7], v[12:13]
	v_div_fixup_f64 v[2:3], v[4:5], v[2:3], 1.0
	v_fma_f64 v[4:5], v[8:9], 0, 1.0
	v_mul_f64 v[6:7], v[4:5], v[2:3]
	v_add_f64 v[4:5], -v[8:9], 0
	v_mul_f64 v[8:9], v[4:5], v[2:3]
.LBB235_12:
	s_or_b64 exec, exec, s[6:7]
	s_branch .LBB235_14
.LBB235_13:
	v_mov_b32_e32 v6, 0
	v_mov_b32_e32 v7, 0x3ff00000
	v_pk_mov_b32 v[8:9], 0, 0
.LBB235_14:
	ds_write_b128 v1, v[6:9]
.LBB235_15:
	s_or_b64 exec, exec, s[28:29]
	s_lshl_b32 s16, s8, 5
	s_add_i32 s39, s39, -1
	s_sub_i32 s6, s27, s16
	s_cmp_ge_u32 s8, s39
	s_cselect_b32 s6, s6, 32
	v_cmp_gt_i32_e32 vcc, s6, v0
	s_waitcnt lgkmcnt(0)
	; wave barrier
	s_waitcnt lgkmcnt(0)
	s_and_saveexec_b64 s[6:7], vcc
	s_cbranch_execz .LBB235_58
; %bb.16:
	s_load_dwordx2 s[6:7], s[4:5], 0x60
	s_load_dword s8, s[4:5], 0x58
	v_add_u32_e32 v0, s16, v0
	s_waitcnt lgkmcnt(0)
	s_mul_i32 s5, s9, s7
	s_mul_hi_u32 s7, s9, s6
	s_mul_i32 s4, s9, s6
	s_add_i32 s5, s7, s5
	s_lshl_b64 s[4:5], s[4:5], 4
	s_add_u32 s9, s22, s4
	s_addc_u32 s17, s23, s5
	s_lshl_b64 s[6:7], s[10:11], 4
	s_add_u32 s10, s9, s6
	v_mad_i64_i32 v[0:1], s[8:9], s8, v0, 0
	s_addc_u32 s11, s17, s7
	v_lshlrev_b64 v[4:5], 4, v[0:1]
	v_mov_b32_e32 v0, s11
	v_add_co_u32_e32 v8, vcc, s10, v4
	v_addc_co_u32_e32 v9, vcc, v0, v5, vcc
	s_cmpk_eq_i32 s24, 0x6f
	s_mov_b64 s[8:9], -1
	s_cbranch_scc1 .LBB235_38
; %bb.17:
	s_add_u32 s8, s22, s6
	s_addc_u32 s9, s23, s7
	s_add_u32 s8, s8, s4
	s_addc_u32 s9, s9, s5
	v_mov_b32_e32 v0, s9
	v_add_co_u32_e32 v1, vcc, s8, v4
	v_addc_co_u32_e32 v0, vcc, v0, v5, vcc
	v_add_co_u32_e32 v10, vcc, 8, v1
	s_mov_b32 s9, 0
	v_addc_co_u32_e32 v11, vcc, 0, v0, vcc
	v_mov_b32_e32 v12, 0
	s_mov_b32 s10, s9
	s_mov_b32 s16, s9
	s_branch .LBB235_19
.LBB235_18:                             ;   in Loop: Header=BB235_19 Depth=1
	s_cmp_ge_i32 s16, s38
	s_cselect_b64 s[18:19], -1, 0
	s_add_i32 s10, s10, 1
	s_cmp_eq_u32 s10, 3
	s_cselect_b64 s[20:21], -1, 0
	s_or_b64 s[18:19], s[18:19], s[20:21]
	s_andn2_b64 vcc, exec, s[18:19]
	s_cbranch_vccz .LBB235_37
.LBB235_19:                             ; =>This Loop Header: Depth=1
                                        ;     Child Loop BB235_22 Depth 2
                                        ;       Child Loop BB235_23 Depth 3
                                        ;       Child Loop BB235_26 Depth 3
                                        ;         Child Loop BB235_27 Depth 4
                                        ;       Child Loop BB235_31 Depth 3
                                        ;         Child Loop BB235_33 Depth 4
	s_mov_b32 s11, s9
	s_lshl_b64 s[18:19], s[10:11], 2
	s_getpc_b64 s[20:21]
	s_add_u32 s20, s20, __const._ZL30rocblas_trsm_small_left_deviceILi32ELi32ELb0E19rocblas_complex_numIdES1_PKS1_PS1_Ev13rocblas_fill_18rocblas_operation_17rocblas_diagonal_iiT3_T4_lilT5_lili.step_sizes@rel32@lo+4
	s_addc_u32 s21, s21, __const._ZL30rocblas_trsm_small_left_deviceILi32ELi32ELb0E19rocblas_complex_numIdES1_PKS1_PS1_Ev13rocblas_fill_18rocblas_operation_17rocblas_diagonal_iiT3_T4_lilT5_lili.step_sizes@rel32@hi+12
	s_add_u32 s18, s18, s20
	s_addc_u32 s19, s19, s21
	s_load_dword s18, s[18:19], 0x0
	s_waitcnt lgkmcnt(0)
	s_add_i32 s11, s18, -1
	s_add_i32 s8, s11, s16
	s_cmp_ge_i32 s8, s38
	s_cbranch_scc1 .LBB235_18
; %bb.20:                               ;   in Loop: Header=BB235_19 Depth=1
	s_ashr_i32 s17, s16, 31
	s_lshl_b64 s[20:21], s[16:17], 4
	s_ashr_i32 s19, s18, 31
	v_mov_b32_e32 v0, s21
	v_add_co_u32_e32 v6, vcc, s20, v10
	s_lshl_b64 s[20:21], s[18:19], 4
	s_max_i32 s28, s18, 1
	v_addc_co_u32_e32 v7, vcc, v11, v0, vcc
	s_lshl_b32 s17, s16, 9
	s_lshl_b32 s19, s18, 9
	s_mul_i32 s29, s16, 0x210
	s_mul_i32 s30, s18, 0x210
	v_mov_b32_e32 v13, s21
	s_branch .LBB235_22
.LBB235_21:                             ;   in Loop: Header=BB235_22 Depth=2
	s_add_i32 s16, s16, s18
	s_add_i32 s8, s11, s16
	;; [unrolled: 1-line block ×4, first 2 shown]
	v_add_co_u32_e32 v6, vcc, s20, v6
	s_cmp_ge_i32 s8, s38
	v_addc_co_u32_e32 v7, vcc, v7, v13, vcc
	s_cbranch_scc1 .LBB235_18
.LBB235_22:                             ;   Parent Loop BB235_19 Depth=1
                                        ; =>  This Loop Header: Depth=2
                                        ;       Child Loop BB235_23 Depth 3
                                        ;       Child Loop BB235_26 Depth 3
                                        ;         Child Loop BB235_27 Depth 4
                                        ;       Child Loop BB235_31 Depth 3
                                        ;         Child Loop BB235_33 Depth 4
	v_mov_b32_e32 v2, 0
	v_pk_mov_b32 v[0:1], v[6:7], v[6:7] op_sel:[0,1]
	s_mov_b32 s8, s28
.LBB235_23:                             ;   Parent Loop BB235_19 Depth=1
                                        ;     Parent Loop BB235_22 Depth=2
                                        ; =>    This Inner Loop Header: Depth=3
	global_load_dwordx4 v[14:17], v[0:1], off offset:-8
	s_add_i32 s8, s8, -1
	v_add_co_u32_e32 v0, vcc, 16, v0
	v_addc_co_u32_e32 v1, vcc, 0, v1, vcc
	s_cmp_eq_u32 s8, 0
	s_waitcnt vmcnt(0)
	v_mul_f64 v[18:19], s[14:15], v[16:17]
	v_mul_f64 v[16:17], s[12:13], v[16:17]
	v_fma_f64 v[18:19], s[12:13], v[14:15], -v[18:19]
	v_fmac_f64_e32 v[16:17], s[14:15], v[14:15]
	buffer_store_dword v19, v2, s[0:3], 0 offen offset:4
	buffer_store_dword v18, v2, s[0:3], 0 offen
	buffer_store_dword v17, v2, s[0:3], 0 offen offset:12
	buffer_store_dword v16, v2, s[0:3], 0 offen offset:8
	v_add_u32_e32 v2, 16, v2
	s_cbranch_scc0 .LBB235_23
; %bb.24:                               ;   in Loop: Header=BB235_22 Depth=2
	s_cmp_lt_i32 s16, 1
	s_cbranch_scc1 .LBB235_29
; %bb.25:                               ;   in Loop: Header=BB235_22 Depth=2
	s_mov_b32 s8, 0
	s_mov_b32 s21, s17
.LBB235_26:                             ;   Parent Loop BB235_19 Depth=1
                                        ;     Parent Loop BB235_22 Depth=2
                                        ; =>    This Loop Header: Depth=3
                                        ;         Child Loop BB235_27 Depth 4
	s_lshl_b64 s[24:25], s[8:9], 4
	v_mov_b32_e32 v1, s25
	v_add_co_u32_e32 v0, vcc, s24, v8
	v_addc_co_u32_e32 v1, vcc, v9, v1, vcc
	global_load_dwordx4 v[0:3], v[0:1], off
	v_mov_b32_e32 v14, 0
	s_mov_b32 s24, s21
	s_mov_b32 s25, s28
.LBB235_27:                             ;   Parent Loop BB235_19 Depth=1
                                        ;     Parent Loop BB235_22 Depth=2
                                        ;       Parent Loop BB235_26 Depth=3
                                        ; =>      This Inner Loop Header: Depth=4
	buffer_load_dword v20, v14, s[0:3], 0 offen
	buffer_load_dword v21, v14, s[0:3], 0 offen offset:4
	buffer_load_dword v22, v14, s[0:3], 0 offen offset:8
	;; [unrolled: 1-line block ×3, first 2 shown]
	v_mov_b32_e32 v15, s24
	ds_read_b128 v[16:19], v15
	s_add_i32 s25, s25, -1
	s_addk_i32 s24, 0x200
	s_cmp_eq_u32 s25, 0
	s_waitcnt vmcnt(4) lgkmcnt(0)
	v_mul_f64 v[24:25], v[2:3], v[18:19]
	v_mul_f64 v[18:19], v[0:1], v[18:19]
	v_fma_f64 v[24:25], v[0:1], v[16:17], -v[24:25]
	v_fmac_f64_e32 v[18:19], v[2:3], v[16:17]
	s_waitcnt vmcnt(2)
	v_add_f64 v[16:17], v[20:21], -v[24:25]
	s_waitcnt vmcnt(0)
	v_add_f64 v[18:19], v[22:23], -v[18:19]
	buffer_store_dword v16, v14, s[0:3], 0 offen
	buffer_store_dword v17, v14, s[0:3], 0 offen offset:4
	buffer_store_dword v18, v14, s[0:3], 0 offen offset:8
	;; [unrolled: 1-line block ×3, first 2 shown]
	v_add_u32_e32 v14, 16, v14
	s_cbranch_scc0 .LBB235_27
; %bb.28:                               ;   in Loop: Header=BB235_26 Depth=3
	s_add_i32 s8, s8, 1
	s_add_i32 s21, s21, 16
	s_cmp_ge_i32 s8, s16
	s_cbranch_scc0 .LBB235_26
.LBB235_29:                             ;   in Loop: Header=BB235_22 Depth=2
	s_mov_b32 s8, 0
	s_mov_b32 s21, s29
	s_branch .LBB235_31
.LBB235_30:                             ;   in Loop: Header=BB235_31 Depth=3
	s_mul_i32 s25, s24, 0x210
	v_mov_b32_e32 v14, s25
	ds_read_b128 v[14:17], v14
	s_lshl_b32 s25, s8, 4
	v_add_u32_e32 v22, s25, v12
	s_ashr_i32 s25, s24, 31
	s_lshl_b64 s[24:25], s[24:25], 4
	s_waitcnt vmcnt(0) lgkmcnt(0)
	v_mul_f64 v[18:19], v[16:17], v[2:3]
	v_mul_f64 v[20:21], v[14:15], v[2:3]
	v_fma_f64 v[18:19], v[14:15], v[0:1], -v[18:19]
	v_fmac_f64_e32 v[20:21], v[16:17], v[0:1]
	v_mov_b32_e32 v1, s25
	v_add_co_u32_e32 v0, vcc, s24, v8
	s_add_i32 s8, s8, 1
	s_addk_i32 s21, 0x200
	v_addc_co_u32_e32 v1, vcc, v9, v1, vcc
	s_cmp_eq_u32 s8, s28
	buffer_store_dword v19, v22, s[0:3], 0 offen offset:4
	buffer_store_dword v18, v22, s[0:3], 0 offen
	buffer_store_dword v21, v22, s[0:3], 0 offen offset:12
	buffer_store_dword v20, v22, s[0:3], 0 offen offset:8
	global_store_dwordx4 v[0:1], v[18:21], off
	s_cbranch_scc1 .LBB235_21
.LBB235_31:                             ;   Parent Loop BB235_19 Depth=1
                                        ;     Parent Loop BB235_22 Depth=2
                                        ; =>    This Loop Header: Depth=3
                                        ;         Child Loop BB235_33 Depth 4
	s_cmp_lg_u32 s8, 0
	s_cbranch_scc0 .LBB235_35
; %bb.32:                               ;   in Loop: Header=BB235_31 Depth=3
	s_lshl_b32 s24, s8, 4
	v_add_u32_e32 v14, s24, v12
	buffer_load_dword v0, v14, s[0:3], 0 offen
	buffer_load_dword v1, v14, s[0:3], 0 offen offset:4
	buffer_load_dword v2, v14, s[0:3], 0 offen offset:8
	;; [unrolled: 1-line block ×3, first 2 shown]
	s_add_i32 s24, s8, s16
	v_mov_b32_e32 v15, 0
	s_mov_b32 s25, 0
	s_mov_b32 s26, s21
.LBB235_33:                             ;   Parent Loop BB235_19 Depth=1
                                        ;     Parent Loop BB235_22 Depth=2
                                        ;       Parent Loop BB235_31 Depth=3
                                        ; =>      This Inner Loop Header: Depth=4
	buffer_load_dword v20, v15, s[0:3], 0 offen offset:8
	buffer_load_dword v21, v15, s[0:3], 0 offen offset:12
	buffer_load_dword v22, v15, s[0:3], 0 offen
	buffer_load_dword v23, v15, s[0:3], 0 offen offset:4
	v_mov_b32_e32 v16, s26
	ds_read_b128 v[16:19], v16
	s_add_i32 s25, s25, 1
	s_add_i32 s26, s26, 16
	v_add_u32_e32 v15, 16, v15
	s_cmp_ge_u32 s25, s8
	s_waitcnt vmcnt(2) lgkmcnt(0)
	v_mul_f64 v[24:25], v[18:19], v[20:21]
	v_mul_f64 v[20:21], v[16:17], v[20:21]
	s_waitcnt vmcnt(0)
	v_fma_f64 v[16:17], v[16:17], v[22:23], -v[24:25]
	v_fmac_f64_e32 v[20:21], v[18:19], v[22:23]
	v_add_f64 v[0:1], v[0:1], -v[16:17]
	v_add_f64 v[2:3], v[2:3], -v[20:21]
	buffer_store_dword v0, v14, s[0:3], 0 offen
	buffer_store_dword v1, v14, s[0:3], 0 offen offset:4
	buffer_store_dword v2, v14, s[0:3], 0 offen offset:8
	buffer_store_dword v3, v14, s[0:3], 0 offen offset:12
	s_cbranch_scc0 .LBB235_33
; %bb.34:                               ;   in Loop: Header=BB235_31 Depth=3
	s_branch .LBB235_30
.LBB235_35:                             ;   in Loop: Header=BB235_31 Depth=3
                                        ; implicit-def: $vgpr0_vgpr1
                                        ; implicit-def: $vgpr2_vgpr3
                                        ; implicit-def: $sgpr24
	s_cbranch_execz .LBB235_30
; %bb.36:                               ;   in Loop: Header=BB235_31 Depth=3
	buffer_load_dword v0, off, s[0:3], 0
	buffer_load_dword v1, off, s[0:3], 0 offset:4
	buffer_load_dword v2, off, s[0:3], 0 offset:8
	buffer_load_dword v3, off, s[0:3], 0 offset:12
	s_mov_b32 s24, s16
	s_branch .LBB235_30
.LBB235_37:
	s_mov_b64 s[8:9], 0
.LBB235_38:
	s_and_b64 vcc, exec, s[8:9]
	s_cbranch_vccz .LBB235_58
; %bb.39:
	s_add_u32 s6, s22, s6
	s_addc_u32 s7, s23, s7
	s_add_u32 s4, s6, s4
	s_addc_u32 s5, s7, s5
	v_mov_b32_e32 v0, s5
	v_add_co_u32_e32 v1, vcc, s4, v4
	v_addc_co_u32_e32 v0, vcc, v0, v5, vcc
	v_add_co_u32_e32 v4, vcc, 8, v1
	s_lshl_b32 s18, s38, 9
	s_mov_b32 s5, 0
	v_addc_co_u32_e32 v5, vcc, 0, v0, vcc
	s_addk_i32 s18, 0xfe00
	v_mov_b32_e32 v6, 0
	s_mov_b32 s6, s33
	s_mov_b32 s4, s5
	s_branch .LBB235_41
.LBB235_40:                             ;   in Loop: Header=BB235_41 Depth=1
	s_cmp_lt_i32 s6, 0
	s_cselect_b64 s[8:9], -1, 0
	s_add_i32 s4, s4, 1
	s_cmp_eq_u32 s4, 3
	s_cselect_b64 s[10:11], -1, 0
	s_or_b64 s[8:9], s[8:9], s[10:11]
	s_and_b64 vcc, exec, s[8:9]
	s_cbranch_vccnz .LBB235_58
.LBB235_41:                             ; =>This Loop Header: Depth=1
                                        ;     Child Loop BB235_44 Depth 2
                                        ;       Child Loop BB235_45 Depth 3
                                        ;       Child Loop BB235_47 Depth 3
                                        ;         Child Loop BB235_48 Depth 4
                                        ;       Child Loop BB235_52 Depth 3
                                        ;         Child Loop BB235_54 Depth 4
	s_lshl_b64 s[8:9], s[4:5], 2
	s_getpc_b64 s[10:11]
	s_add_u32 s10, s10, __const._ZL30rocblas_trsm_small_left_deviceILi32ELi32ELb0E19rocblas_complex_numIdES1_PKS1_PS1_Ev13rocblas_fill_18rocblas_operation_17rocblas_diagonal_iiT3_T4_lilT5_lili.step_sizes@rel32@lo+4
	s_addc_u32 s11, s11, __const._ZL30rocblas_trsm_small_left_deviceILi32ELi32ELb0E19rocblas_complex_numIdES1_PKS1_PS1_Ev13rocblas_fill_18rocblas_operation_17rocblas_diagonal_iiT3_T4_lilT5_lili.step_sizes@rel32@hi+12
	s_add_u32 s8, s8, s10
	s_addc_u32 s9, s9, s11
	s_load_dword s19, s[8:9], 0x0
	s_waitcnt lgkmcnt(0)
	s_add_i32 s20, s19, -1
	s_cmp_lt_i32 s6, s20
	s_cbranch_scc1 .LBB235_40
; %bb.42:                               ;   in Loop: Header=BB235_41 Depth=1
	s_lshl_b32 s7, s6, 4
	s_add_i32 s22, s18, s7
	s_lshl_b32 s7, s19, 4
	s_max_i32 s21, s19, 1
	s_sub_i32 s23, 0, s7
	s_mul_i32 s24, s6, 0x210
	s_mul_i32 s25, s19, 0xfffffdf0
	s_branch .LBB235_44
.LBB235_43:                             ;   in Loop: Header=BB235_44 Depth=2
	s_sub_i32 s6, s6, s19
	s_add_i32 s22, s22, s23
	s_add_i32 s24, s24, s25
	s_cmp_lt_i32 s6, s20
	s_cbranch_scc1 .LBB235_40
.LBB235_44:                             ;   Parent Loop BB235_41 Depth=1
                                        ; =>  This Loop Header: Depth=2
                                        ;       Child Loop BB235_45 Depth 3
                                        ;       Child Loop BB235_47 Depth 3
                                        ;         Child Loop BB235_48 Depth 4
                                        ;       Child Loop BB235_52 Depth 3
                                        ;         Child Loop BB235_54 Depth 4
	s_ashr_i32 s7, s6, 31
	s_lshl_b64 s[8:9], s[6:7], 4
	v_mov_b32_e32 v1, s9
	v_add_co_u32_e32 v0, vcc, s8, v4
	v_addc_co_u32_e32 v1, vcc, v5, v1, vcc
	v_mov_b32_e32 v2, 0
	s_mov_b32 s8, s21
.LBB235_45:                             ;   Parent Loop BB235_41 Depth=1
                                        ;     Parent Loop BB235_44 Depth=2
                                        ; =>    This Inner Loop Header: Depth=3
	global_load_dwordx4 v[10:13], v[0:1], off offset:-8
	s_add_i32 s8, s8, -1
	v_add_co_u32_e32 v0, vcc, -16, v0
	v_addc_co_u32_e32 v1, vcc, -1, v1, vcc
	s_cmp_eq_u32 s8, 0
	s_waitcnt vmcnt(0)
	v_mul_f64 v[14:15], s[14:15], v[12:13]
	v_mul_f64 v[12:13], s[12:13], v[12:13]
	v_fma_f64 v[14:15], s[12:13], v[10:11], -v[14:15]
	v_fmac_f64_e32 v[12:13], s[14:15], v[10:11]
	buffer_store_dword v15, v2, s[0:3], 0 offen offset:4
	buffer_store_dword v14, v2, s[0:3], 0 offen
	buffer_store_dword v13, v2, s[0:3], 0 offen offset:12
	buffer_store_dword v12, v2, s[0:3], 0 offen offset:8
	v_add_u32_e32 v2, 16, v2
	s_cbranch_scc0 .LBB235_45
; %bb.46:                               ;   in Loop: Header=BB235_44 Depth=2
	s_cmp_le_i32 s33, s6
	s_mov_b32 s10, s22
	s_mov_b32 s8, s33
	s_cbranch_scc1 .LBB235_50
.LBB235_47:                             ;   Parent Loop BB235_41 Depth=1
                                        ;     Parent Loop BB235_44 Depth=2
                                        ; =>    This Loop Header: Depth=3
                                        ;         Child Loop BB235_48 Depth 4
	s_ashr_i32 s9, s8, 31
	s_lshl_b64 s[16:17], s[8:9], 4
	v_mov_b32_e32 v1, s17
	v_add_co_u32_e32 v0, vcc, s16, v8
	v_addc_co_u32_e32 v1, vcc, v9, v1, vcc
	global_load_dwordx4 v[0:3], v[0:1], off
	v_mov_b32_e32 v7, 0
	s_mov_b32 s9, s21
	s_mov_b32 s11, s10
.LBB235_48:                             ;   Parent Loop BB235_41 Depth=1
                                        ;     Parent Loop BB235_44 Depth=2
                                        ;       Parent Loop BB235_47 Depth=3
                                        ; =>      This Inner Loop Header: Depth=4
	buffer_load_dword v14, v7, s[0:3], 0 offen
	buffer_load_dword v15, v7, s[0:3], 0 offen offset:4
	buffer_load_dword v16, v7, s[0:3], 0 offen offset:8
	;; [unrolled: 1-line block ×3, first 2 shown]
	v_mov_b32_e32 v10, s11
	ds_read_b128 v[10:13], v10
	s_add_i32 s11, s11, -16
	s_add_i32 s9, s9, -1
	s_cmp_eq_u32 s9, 0
	s_waitcnt vmcnt(4) lgkmcnt(0)
	v_mul_f64 v[18:19], v[2:3], v[12:13]
	v_mul_f64 v[12:13], v[0:1], v[12:13]
	v_fma_f64 v[18:19], v[0:1], v[10:11], -v[18:19]
	v_fmac_f64_e32 v[12:13], v[2:3], v[10:11]
	s_waitcnt vmcnt(2)
	v_add_f64 v[10:11], v[14:15], -v[18:19]
	s_waitcnt vmcnt(0)
	v_add_f64 v[12:13], v[16:17], -v[12:13]
	buffer_store_dword v10, v7, s[0:3], 0 offen
	buffer_store_dword v11, v7, s[0:3], 0 offen offset:4
	buffer_store_dword v12, v7, s[0:3], 0 offen offset:8
	;; [unrolled: 1-line block ×3, first 2 shown]
	v_add_u32_e32 v7, 16, v7
	s_cbranch_scc0 .LBB235_48
; %bb.49:                               ;   in Loop: Header=BB235_47 Depth=3
	s_add_i32 s8, s8, -1
	s_addk_i32 s10, 0xfe00
	s_cmp_le_i32 s8, s6
	s_cbranch_scc0 .LBB235_47
.LBB235_50:                             ;   in Loop: Header=BB235_44 Depth=2
	s_mov_b32 s26, 0
	s_mov_b32 s27, s24
	s_branch .LBB235_52
.LBB235_51:                             ;   in Loop: Header=BB235_52 Depth=3
	s_mulk_i32 s10, 0x210
	v_mov_b32_e32 v7, s10
	ds_read_b128 v[10:13], v7
	s_lshl_b64 s[8:9], s[8:9], 4
	s_lshl_b32 s10, s26, 4
	s_add_i32 s26, s26, 1
	s_add_i32 s27, s27, -16
	s_waitcnt vmcnt(0) lgkmcnt(0)
	v_mul_f64 v[14:15], v[12:13], v[2:3]
	v_mul_f64 v[16:17], v[10:11], v[2:3]
	v_fma_f64 v[14:15], v[10:11], v[0:1], -v[14:15]
	v_fmac_f64_e32 v[16:17], v[12:13], v[0:1]
	v_mov_b32_e32 v1, s9
	v_add_co_u32_e32 v0, vcc, s8, v8
	v_add_u32_e32 v7, s10, v6
	v_addc_co_u32_e32 v1, vcc, v9, v1, vcc
	s_cmp_eq_u32 s26, s21
	buffer_store_dword v15, v7, s[0:3], 0 offen offset:4
	buffer_store_dword v14, v7, s[0:3], 0 offen
	buffer_store_dword v17, v7, s[0:3], 0 offen offset:12
	buffer_store_dword v16, v7, s[0:3], 0 offen offset:8
	global_store_dwordx4 v[0:1], v[14:17], off
	s_cbranch_scc1 .LBB235_43
.LBB235_52:                             ;   Parent Loop BB235_41 Depth=1
                                        ;     Parent Loop BB235_44 Depth=2
                                        ; =>    This Loop Header: Depth=3
                                        ;         Child Loop BB235_54 Depth 4
	s_cmp_lg_u32 s26, 0
	s_cbranch_scc0 .LBB235_56
; %bb.53:                               ;   in Loop: Header=BB235_52 Depth=3
	s_lshl_b32 s8, s26, 4
	v_add_u32_e32 v7, s8, v6
	buffer_load_dword v0, v7, s[0:3], 0 offen
	buffer_load_dword v1, v7, s[0:3], 0 offen offset:4
	buffer_load_dword v2, v7, s[0:3], 0 offen offset:8
	;; [unrolled: 1-line block ×3, first 2 shown]
	v_mov_b32_e32 v10, 0
	s_mov_b32 s8, 0
	s_mov_b32 s9, s27
.LBB235_54:                             ;   Parent Loop BB235_41 Depth=1
                                        ;     Parent Loop BB235_44 Depth=2
                                        ;       Parent Loop BB235_52 Depth=3
                                        ; =>      This Inner Loop Header: Depth=4
	buffer_load_dword v16, v10, s[0:3], 0 offen offset:8
	buffer_load_dword v17, v10, s[0:3], 0 offen offset:12
	buffer_load_dword v18, v10, s[0:3], 0 offen
	buffer_load_dword v19, v10, s[0:3], 0 offen offset:4
	v_mov_b32_e32 v11, s9
	ds_read_b128 v[12:15], v11
	s_add_i32 s8, s8, 1
	s_addk_i32 s9, 0xfe00
	v_add_u32_e32 v10, 16, v10
	s_cmp_ge_u32 s8, s26
	s_waitcnt vmcnt(2) lgkmcnt(0)
	v_mul_f64 v[20:21], v[14:15], v[16:17]
	v_mul_f64 v[16:17], v[12:13], v[16:17]
	s_waitcnt vmcnt(0)
	v_fma_f64 v[12:13], v[12:13], v[18:19], -v[20:21]
	v_fmac_f64_e32 v[16:17], v[14:15], v[18:19]
	v_add_f64 v[0:1], v[0:1], -v[12:13]
	v_add_f64 v[2:3], v[2:3], -v[16:17]
	buffer_store_dword v0, v7, s[0:3], 0 offen
	buffer_store_dword v1, v7, s[0:3], 0 offen offset:4
	buffer_store_dword v2, v7, s[0:3], 0 offen offset:8
	;; [unrolled: 1-line block ×3, first 2 shown]
	s_cbranch_scc0 .LBB235_54
; %bb.55:                               ;   in Loop: Header=BB235_52 Depth=3
	s_sub_i32 s10, s6, s26
	s_ashr_i32 s11, s10, 31
	s_mov_b64 s[8:9], s[10:11]
	s_branch .LBB235_51
.LBB235_56:                             ;   in Loop: Header=BB235_52 Depth=3
                                        ; implicit-def: $vgpr0_vgpr1
                                        ; implicit-def: $vgpr2_vgpr3
                                        ; implicit-def: $sgpr10
                                        ; implicit-def: $sgpr8_sgpr9
	s_cbranch_execz .LBB235_51
; %bb.57:                               ;   in Loop: Header=BB235_52 Depth=3
	buffer_load_dword v0, off, s[0:3], 0
	buffer_load_dword v1, off, s[0:3], 0 offset:4
	buffer_load_dword v2, off, s[0:3], 0 offset:8
	;; [unrolled: 1-line block ×3, first 2 shown]
	s_mov_b64 s[8:9], s[6:7]
	s_mov_b32 s10, s6
	s_branch .LBB235_51
.LBB235_58:
	s_endpgm
	.section	.rodata,"a",@progbits
	.p2align	6, 0x0
	.amdhsa_kernel _ZL30rocblas_trsm_small_left_deviceILi32ELi32ELb0E19rocblas_complex_numIdES1_PKS1_PS1_Ev13rocblas_fill_18rocblas_operation_17rocblas_diagonal_iiT3_T4_lilT5_lili
		.amdhsa_group_segment_fixed_size 16384
		.amdhsa_private_segment_fixed_size 528
		.amdhsa_kernarg_size 368
		.amdhsa_user_sgpr_count 8
		.amdhsa_user_sgpr_private_segment_buffer 1
		.amdhsa_user_sgpr_dispatch_ptr 0
		.amdhsa_user_sgpr_queue_ptr 0
		.amdhsa_user_sgpr_kernarg_segment_ptr 1
		.amdhsa_user_sgpr_dispatch_id 0
		.amdhsa_user_sgpr_flat_scratch_init 1
		.amdhsa_user_sgpr_kernarg_preload_length 0
		.amdhsa_user_sgpr_kernarg_preload_offset 0
		.amdhsa_user_sgpr_private_segment_size 0
		.amdhsa_uses_dynamic_stack 0
		.amdhsa_system_sgpr_private_segment_wavefront_offset 1
		.amdhsa_system_sgpr_workgroup_id_x 1
		.amdhsa_system_sgpr_workgroup_id_y 0
		.amdhsa_system_sgpr_workgroup_id_z 1
		.amdhsa_system_sgpr_workgroup_info 0
		.amdhsa_system_vgpr_workitem_id 0
		.amdhsa_next_free_vgpr 26
		.amdhsa_next_free_sgpr 42
		.amdhsa_accum_offset 28
		.amdhsa_reserve_vcc 1
		.amdhsa_reserve_flat_scratch 0
		.amdhsa_float_round_mode_32 0
		.amdhsa_float_round_mode_16_64 0
		.amdhsa_float_denorm_mode_32 3
		.amdhsa_float_denorm_mode_16_64 3
		.amdhsa_dx10_clamp 1
		.amdhsa_ieee_mode 1
		.amdhsa_fp16_overflow 0
		.amdhsa_tg_split 0
		.amdhsa_exception_fp_ieee_invalid_op 0
		.amdhsa_exception_fp_denorm_src 0
		.amdhsa_exception_fp_ieee_div_zero 0
		.amdhsa_exception_fp_ieee_overflow 0
		.amdhsa_exception_fp_ieee_underflow 0
		.amdhsa_exception_fp_ieee_inexact 0
		.amdhsa_exception_int_div_zero 0
	.end_amdhsa_kernel
	.section	.text._ZL30rocblas_trsm_small_left_deviceILi32ELi32ELb0E19rocblas_complex_numIdES1_PKS1_PS1_Ev13rocblas_fill_18rocblas_operation_17rocblas_diagonal_iiT3_T4_lilT5_lili,"axG",@progbits,_ZL30rocblas_trsm_small_left_deviceILi32ELi32ELb0E19rocblas_complex_numIdES1_PKS1_PS1_Ev13rocblas_fill_18rocblas_operation_17rocblas_diagonal_iiT3_T4_lilT5_lili,comdat
.Lfunc_end235:
	.size	_ZL30rocblas_trsm_small_left_deviceILi32ELi32ELb0E19rocblas_complex_numIdES1_PKS1_PS1_Ev13rocblas_fill_18rocblas_operation_17rocblas_diagonal_iiT3_T4_lilT5_lili, .Lfunc_end235-_ZL30rocblas_trsm_small_left_deviceILi32ELi32ELb0E19rocblas_complex_numIdES1_PKS1_PS1_Ev13rocblas_fill_18rocblas_operation_17rocblas_diagonal_iiT3_T4_lilT5_lili
                                        ; -- End function
	.section	.AMDGPU.csdata,"",@progbits
; Kernel info:
; codeLenInByte = 3256
; NumSgprs: 46
; NumVgprs: 26
; NumAgprs: 0
; TotalNumVgprs: 26
; ScratchSize: 528
; MemoryBound: 0
; FloatMode: 240
; IeeeMode: 1
; LDSByteSize: 16384 bytes/workgroup (compile time only)
; SGPRBlocks: 5
; VGPRBlocks: 3
; NumSGPRsForWavesPerEU: 46
; NumVGPRsForWavesPerEU: 26
; AccumOffset: 28
; Occupancy: 1
; WaveLimiterHint : 0
; COMPUTE_PGM_RSRC2:SCRATCH_EN: 1
; COMPUTE_PGM_RSRC2:USER_SGPR: 8
; COMPUTE_PGM_RSRC2:TRAP_HANDLER: 0
; COMPUTE_PGM_RSRC2:TGID_X_EN: 1
; COMPUTE_PGM_RSRC2:TGID_Y_EN: 0
; COMPUTE_PGM_RSRC2:TGID_Z_EN: 1
; COMPUTE_PGM_RSRC2:TIDIG_COMP_CNT: 0
; COMPUTE_PGM_RSRC3_GFX90A:ACCUM_OFFSET: 6
; COMPUTE_PGM_RSRC3_GFX90A:TG_SPLIT: 0
	.section	.text._ZL38rocblas_trsm_small_left_device_sharedBILi32ELi32ELb1E19rocblas_complex_numIdES1_PKS1_PS1_Ev13rocblas_fill_18rocblas_operation_17rocblas_diagonal_iiT3_T4_lilT5_lili,"axG",@progbits,_ZL38rocblas_trsm_small_left_device_sharedBILi32ELi32ELb1E19rocblas_complex_numIdES1_PKS1_PS1_Ev13rocblas_fill_18rocblas_operation_17rocblas_diagonal_iiT3_T4_lilT5_lili,comdat
	.globl	_ZL38rocblas_trsm_small_left_device_sharedBILi32ELi32ELb1E19rocblas_complex_numIdES1_PKS1_PS1_Ev13rocblas_fill_18rocblas_operation_17rocblas_diagonal_iiT3_T4_lilT5_lili ; -- Begin function _ZL38rocblas_trsm_small_left_device_sharedBILi32ELi32ELb1E19rocblas_complex_numIdES1_PKS1_PS1_Ev13rocblas_fill_18rocblas_operation_17rocblas_diagonal_iiT3_T4_lilT5_lili
	.p2align	8
	.type	_ZL38rocblas_trsm_small_left_device_sharedBILi32ELi32ELb1E19rocblas_complex_numIdES1_PKS1_PS1_Ev13rocblas_fill_18rocblas_operation_17rocblas_diagonal_iiT3_T4_lilT5_lili,@function
_ZL38rocblas_trsm_small_left_device_sharedBILi32ELi32ELb1E19rocblas_complex_numIdES1_PKS1_PS1_Ev13rocblas_fill_18rocblas_operation_17rocblas_diagonal_iiT3_T4_lilT5_lili: ; @_ZL38rocblas_trsm_small_left_device_sharedBILi32ELi32ELb1E19rocblas_complex_numIdES1_PKS1_PS1_Ev13rocblas_fill_18rocblas_operation_17rocblas_diagonal_iiT3_T4_lilT5_lili
; %bb.0:
	s_add_u32 s0, s0, s10
	s_load_dwordx4 s[24:27], s[4:5], 0x4
	s_load_dwordx8 s[12:19], s[4:5], 0x18
	s_load_dwordx4 s[20:23], s[4:5], 0x40
	s_load_dwordx2 s[10:11], s[4:5], 0x50
	s_load_dword s39, s[4:5], 0x70
	s_addc_u32 s1, s1, 0
	s_waitcnt lgkmcnt(0)
	s_min_i32 s33, s26, 32
	s_mov_b32 s40, 0
	s_add_i32 s38, s33, -1
	v_cmp_gt_i32_e32 vcc, s33, v0
	s_and_saveexec_b64 s[28:29], vcc
	s_cbranch_execz .LBB236_15
; %bb.1:
	s_load_dword s30, s[4:5], 0x38
	s_mul_i32 s41, s21, s9
	s_mul_hi_u32 s42, s20, s9
	s_mul_i32 s20, s20, s9
	s_waitcnt lgkmcnt(0)
	s_ashr_i32 s31, s30, 31
	s_cmpk_eq_i32 s24, 0x71
	s_cselect_b64 vcc, -1, 0
	s_cmp_lt_u32 s38, 3
	s_cbranch_scc1 .LBB236_4
; %bb.2:
	s_add_i32 s21, s42, s41
	s_and_b32 s40, s33, -4
	s_lshl_b64 s[6:7], s[20:21], 4
	s_lshl_b64 s[34:35], s[18:19], 4
	s_add_u32 s6, s6, s34
	s_addc_u32 s7, s7, s35
	s_add_u32 s6, s16, s6
	v_lshlrev_b32_e32 v2, 4, v0
	s_addc_u32 s7, s17, s7
	v_mov_b32_e32 v3, s7
	v_add_co_u32_e64 v2, s[6:7], s6, v2
	v_addc_co_u32_e64 v3, s[6:7], 0, v3, s[6:7]
	v_add_co_u32_e64 v2, s[6:7], 8, v2
	s_lshl_b64 s[34:35], s[30:31], 6
	s_lshl_b64 s[36:37], s[30:31], 4
	v_lshlrev_b32_e32 v1, 4, v0
	v_addc_co_u32_e64 v3, s[6:7], 0, v3, s[6:7]
	s_mov_b32 s21, 0
	v_mov_b32_e32 v4, s37
	v_mov_b32_e32 v5, s35
.LBB236_3:                              ; =>This Inner Loop Header: Depth=1
	v_add_co_u32_e64 v18, s[6:7], s36, v2
	v_addc_co_u32_e64 v19, s[6:7], v3, v4, s[6:7]
	v_add_co_u32_e64 v20, s[6:7], s36, v18
	global_load_dwordx4 v[6:9], v[2:3], off offset:-8
	v_addc_co_u32_e64 v21, s[6:7], v19, v4, s[6:7]
	global_load_dwordx4 v[10:13], v[18:19], off offset:-8
	global_load_dwordx4 v[14:17], v[20:21], off offset:-8
	v_add_co_u32_e64 v18, s[6:7], s36, v20
	v_addc_co_u32_e64 v19, s[6:7], v21, v4, s[6:7]
	global_load_dwordx4 v[18:21], v[18:19], off offset:-8
	s_add_i32 s21, s21, 4
	v_add_co_u32_e64 v2, s[6:7], s34, v2
	s_cmp_eq_u32 s40, s21
	v_addc_co_u32_e64 v3, s[6:7], v3, v5, s[6:7]
	s_waitcnt vmcnt(3)
	v_xor_b32_e32 v22, 0x80000000, v9
	v_cndmask_b32_e32 v9, v9, v22, vcc
	ds_write_b128 v1, v[6:9]
	s_waitcnt vmcnt(1)
	v_xor_b32_e32 v6, 0x80000000, v17
	v_xor_b32_e32 v22, 0x80000000, v13
	v_cndmask_b32_e32 v17, v17, v6, vcc
	v_cndmask_b32_e32 v13, v13, v22, vcc
	ds_write_b128 v1, v[10:13] offset:512
	s_waitcnt vmcnt(0)
	v_xor_b32_e32 v6, 0x80000000, v21
	v_cndmask_b32_e32 v21, v21, v6, vcc
	ds_write_b128 v1, v[14:17] offset:1024
	ds_write_b128 v1, v[18:21] offset:1536
	v_add_u32_e32 v1, 0x800, v1
	s_cbranch_scc0 .LBB236_3
.LBB236_4:
	s_and_b32 s34, s33, 3
	s_cmp_eq_u32 s34, 0
	s_cbranch_scc1 .LBB236_7
; %bb.5:
	s_add_i32 s21, s42, s41
	s_lshl_b64 s[6:7], s[20:21], 4
	s_mul_i32 s20, s31, s40
	s_mul_hi_u32 s21, s30, s40
	s_add_i32 s21, s21, s20
	s_mul_i32 s20, s30, s40
	s_lshl_b64 s[20:21], s[20:21], 4
	s_add_u32 s20, s6, s20
	s_addc_u32 s21, s7, s21
	s_lshl_b64 s[6:7], s[18:19], 4
	s_add_u32 s6, s20, s6
	s_addc_u32 s7, s21, s7
	s_add_u32 s6, s16, s6
	v_lshlrev_b32_e32 v2, 4, v0
	s_addc_u32 s7, s17, s7
	v_lshl_or_b32 v1, s40, 9, v2
	v_mov_b32_e32 v3, s7
	v_add_co_u32_e64 v2, s[6:7], s6, v2
	v_addc_co_u32_e64 v3, s[6:7], 0, v3, s[6:7]
	v_add_co_u32_e64 v2, s[6:7], 8, v2
	s_lshl_b64 s[16:17], s[30:31], 4
	v_addc_co_u32_e64 v3, s[6:7], 0, v3, s[6:7]
	v_mov_b32_e32 v4, s17
.LBB236_6:                              ; =>This Inner Loop Header: Depth=1
	global_load_dwordx4 v[6:9], v[2:3], off offset:-8
	v_add_co_u32_e64 v2, s[6:7], s16, v2
	s_add_i32 s34, s34, -1
	v_addc_co_u32_e64 v3, s[6:7], v3, v4, s[6:7]
	s_cmp_lg_u32 s34, 0
	s_waitcnt vmcnt(0)
	v_xor_b32_e32 v5, 0x80000000, v9
	v_cndmask_b32_e32 v9, v9, v5, vcc
	ds_write_b128 v1, v[6:9]
	v_add_u32_e32 v1, 0x200, v1
	s_cbranch_scc1 .LBB236_6
.LBB236_7:
	v_mul_u32_u24_e32 v1, 33, v0
	s_cmpk_lg_i32 s25, 0x84
	v_lshlrev_b32_e32 v1, 4, v1
	s_cbranch_scc0 .LBB236_13
; %bb.8:
	ds_read_b128 v[2:5], v1
	s_waitcnt lgkmcnt(0)
	v_xor_b32_e32 v7, 0x80000000, v3
	v_cmp_gt_f64_e32 vcc, 0, v[2:3]
	v_xor_b32_e32 v8, 0x80000000, v5
	v_cndmask_b32_e32 v7, v3, v7, vcc
	v_cmp_gt_f64_e32 vcc, 0, v[4:5]
	v_mov_b32_e32 v6, v2
	v_cndmask_b32_e32 v9, v5, v8, vcc
	v_mov_b32_e32 v8, v4
	v_cmp_ngt_f64_e32 vcc, v[6:7], v[8:9]
                                        ; implicit-def: $vgpr8_vgpr9
	s_and_saveexec_b64 s[6:7], vcc
	s_xor_b64 s[6:7], exec, s[6:7]
	s_cbranch_execz .LBB236_10
; %bb.9:
	v_div_scale_f64 v[6:7], s[16:17], v[4:5], v[4:5], v[2:3]
	v_rcp_f64_e32 v[8:9], v[6:7]
	v_div_scale_f64 v[10:11], vcc, v[2:3], v[4:5], v[2:3]
	v_fma_f64 v[12:13], -v[6:7], v[8:9], 1.0
	v_fmac_f64_e32 v[8:9], v[8:9], v[12:13]
	v_fma_f64 v[12:13], -v[6:7], v[8:9], 1.0
	v_fmac_f64_e32 v[8:9], v[8:9], v[12:13]
	v_mul_f64 v[12:13], v[10:11], v[8:9]
	v_fma_f64 v[6:7], -v[6:7], v[12:13], v[10:11]
	v_div_fmas_f64 v[6:7], v[6:7], v[8:9], v[12:13]
	v_div_fixup_f64 v[8:9], v[6:7], v[4:5], v[2:3]
	v_fmac_f64_e32 v[4:5], v[2:3], v[8:9]
	v_div_scale_f64 v[2:3], s[16:17], v[4:5], v[4:5], 1.0
	v_rcp_f64_e32 v[6:7], v[2:3]
	v_fma_f64 v[10:11], -v[2:3], v[6:7], 1.0
	v_fmac_f64_e32 v[6:7], v[6:7], v[10:11]
	v_fma_f64 v[10:11], -v[2:3], v[6:7], 1.0
	v_fmac_f64_e32 v[6:7], v[6:7], v[10:11]
	v_div_scale_f64 v[10:11], vcc, 1.0, v[4:5], 1.0
	v_mul_f64 v[12:13], v[10:11], v[6:7]
	v_fma_f64 v[2:3], -v[2:3], v[12:13], v[10:11]
	s_nop 1
	v_div_fmas_f64 v[2:3], v[2:3], v[6:7], v[12:13]
	v_div_fixup_f64 v[2:3], v[2:3], v[4:5], 1.0
	v_add_f64 v[4:5], v[8:9], 0
	v_mul_f64 v[6:7], v[4:5], v[2:3]
	v_fma_f64 v[4:5], v[8:9], 0, -1.0
	v_mul_f64 v[8:9], v[4:5], v[2:3]
                                        ; implicit-def: $vgpr2_vgpr3
.LBB236_10:
	s_andn2_saveexec_b64 s[6:7], s[6:7]
	s_cbranch_execz .LBB236_12
; %bb.11:
	v_div_scale_f64 v[6:7], s[16:17], v[2:3], v[2:3], v[4:5]
	v_rcp_f64_e32 v[8:9], v[6:7]
	v_div_scale_f64 v[10:11], vcc, v[4:5], v[2:3], v[4:5]
	v_fma_f64 v[12:13], -v[6:7], v[8:9], 1.0
	v_fmac_f64_e32 v[8:9], v[8:9], v[12:13]
	v_fma_f64 v[12:13], -v[6:7], v[8:9], 1.0
	v_fmac_f64_e32 v[8:9], v[8:9], v[12:13]
	v_mul_f64 v[12:13], v[10:11], v[8:9]
	v_fma_f64 v[6:7], -v[6:7], v[12:13], v[10:11]
	v_div_fmas_f64 v[6:7], v[6:7], v[8:9], v[12:13]
	v_div_fixup_f64 v[8:9], v[6:7], v[2:3], v[4:5]
	v_fmac_f64_e32 v[2:3], v[4:5], v[8:9]
	v_div_scale_f64 v[4:5], s[16:17], v[2:3], v[2:3], 1.0
	v_rcp_f64_e32 v[6:7], v[4:5]
	v_fma_f64 v[10:11], -v[4:5], v[6:7], 1.0
	v_fmac_f64_e32 v[6:7], v[6:7], v[10:11]
	v_fma_f64 v[10:11], -v[4:5], v[6:7], 1.0
	v_fmac_f64_e32 v[6:7], v[6:7], v[10:11]
	v_div_scale_f64 v[10:11], vcc, 1.0, v[2:3], 1.0
	v_mul_f64 v[12:13], v[10:11], v[6:7]
	v_fma_f64 v[4:5], -v[4:5], v[12:13], v[10:11]
	s_nop 1
	v_div_fmas_f64 v[4:5], v[4:5], v[6:7], v[12:13]
	v_div_fixup_f64 v[2:3], v[4:5], v[2:3], 1.0
	v_fma_f64 v[4:5], v[8:9], 0, 1.0
	v_mul_f64 v[6:7], v[4:5], v[2:3]
	v_add_f64 v[4:5], -v[8:9], 0
	v_mul_f64 v[8:9], v[4:5], v[2:3]
.LBB236_12:
	s_or_b64 exec, exec, s[6:7]
	s_branch .LBB236_14
.LBB236_13:
	v_mov_b32_e32 v6, 0
	v_mov_b32_e32 v7, 0x3ff00000
	v_pk_mov_b32 v[8:9], 0, 0
.LBB236_14:
	ds_write_b128 v1, v[6:9]
.LBB236_15:
	s_or_b64 exec, exec, s[28:29]
	s_load_dword s25, s[4:5], 0x58
	s_load_dwordx2 s[6:7], s[4:5], 0x60
	s_waitcnt lgkmcnt(0)
	s_ashr_i32 s28, s25, 31
	s_mul_i32 s5, s9, s7
	s_mul_hi_u32 s7, s9, s6
	s_mul_i32 s4, s9, s6
	s_add_i32 s5, s7, s5
	s_lshl_b64 s[4:5], s[4:5], 4
	s_add_u32 s9, s22, s4
	s_addc_u32 s16, s23, s5
	s_lshl_b64 s[6:7], s[10:11], 4
	s_add_u32 s17, s9, s6
	s_addc_u32 s16, s16, s7
	s_lshl_b32 s10, s8, 5
	s_add_i32 s39, s39, -1
	s_sub_i32 s9, s27, s10
	s_cmp_ge_u32 s8, s39
	s_cselect_b32 s18, s9, 32
	s_mul_hi_i32 s9, s25, s10
	s_mul_i32 s8, s25, s10
	s_ashr_i32 s11, s10, 31
	s_lshl_b64 s[8:9], s[8:9], 4
	s_add_u32 s27, s17, s8
	s_addc_u32 s29, s16, s9
	s_cmp_gt_i32 s26, 0
	v_cmp_gt_i32_e32 vcc, s18, v0
	s_cselect_b64 s[8:9], -1, 0
	s_mov_b32 s18, 0
	s_and_b64 s[8:9], vcc, s[8:9]
	s_and_saveexec_b64 s[16:17], s[8:9]
	s_cbranch_execz .LBB236_22
; %bb.16:
	s_cmp_lt_i32 s26, 8
	s_cbranch_scc1 .LBB236_19
; %bb.17:
	v_mad_i64_i32 v[2:3], s[18:19], s25, v0, 0
	v_lshlrev_b64 v[2:3], 4, v[2:3]
	v_mov_b32_e32 v4, s29
	v_add_co_u32_e32 v1, vcc, s27, v2
	v_addc_co_u32_e32 v2, vcc, v4, v3, vcc
	v_mov_b32_e32 v3, 0x4000
	s_lshl_b32 s18, s33, 4
	v_lshl_or_b32 v3, v0, 4, v3
	s_and_b32 s19, s18, 0x380
	s_mov_b32 s18, 0
	s_mov_b64 s[20:21], 0
.LBB236_18:                             ; =>This Inner Loop Header: Depth=1
	v_mov_b32_e32 v4, s21
	v_add_co_u32_e32 v36, vcc, s20, v1
	v_addc_co_u32_e32 v37, vcc, v2, v4, vcc
	global_load_dwordx4 v[4:7], v[36:37], off
	global_load_dwordx4 v[8:11], v[36:37], off offset:16
	global_load_dwordx4 v[12:15], v[36:37], off offset:32
	;; [unrolled: 1-line block ×7, first 2 shown]
	s_add_i32 s18, s18, 8
	s_add_u32 s20, s20, 0x80
	s_addc_u32 s21, s21, 0
	s_cmp_lg_u32 s19, s20
	s_waitcnt vmcnt(7)
	v_mul_f64 v[38:39], s[14:15], v[6:7]
	v_mul_f64 v[36:37], s[12:13], v[6:7]
	s_waitcnt vmcnt(6)
	v_mul_f64 v[40:41], s[14:15], v[10:11]
	v_mul_f64 v[6:7], s[12:13], v[10:11]
	;; [unrolled: 3-line block ×8, first 2 shown]
	v_fma_f64 v[34:35], s[12:13], v[4:5], -v[38:39]
	v_fmac_f64_e32 v[36:37], s[14:15], v[4:5]
	v_fma_f64 v[4:5], s[12:13], v[8:9], -v[40:41]
	v_fmac_f64_e32 v[6:7], s[14:15], v[8:9]
	;; [unrolled: 2-line block ×8, first 2 shown]
	ds_write_b128 v3, v[34:37]
	ds_write_b128 v3, v[4:7] offset:512
	ds_write_b128 v3, v[8:11] offset:1024
	;; [unrolled: 1-line block ×7, first 2 shown]
	v_add_u32_e32 v3, 0x1000, v3
	s_cbranch_scc1 .LBB236_18
.LBB236_19:
	s_and_b32 s20, s33, 7
	s_cmp_eq_u32 s20, 0
	s_mov_b32 s19, 0
	s_cbranch_scc1 .LBB236_22
; %bb.20:
	v_lshlrev_b32_e32 v2, 4, v0
	v_lshl_or_b32 v1, s18, 9, v2
	s_lshl_b64 s[30:31], s[10:11], 4
	s_lshl_b64 s[18:19], s[18:19], 4
	s_add_u32 s18, s22, s18
	s_addc_u32 s19, s23, s19
	s_add_u32 s18, s18, s6
	s_addc_u32 s19, s19, s7
	s_add_u32 s18, s18, s4
	v_mov_b32_e32 v3, s31
	v_add_co_u32_e32 v4, vcc, s30, v2
	s_addc_u32 s19, s19, s5
	v_addc_co_u32_e32 v5, vcc, 0, v3, vcc
	v_pk_mov_b32 v[2:3], s[18:19], s[18:19] op_sel:[0,1]
	v_mad_u64_u32 v[2:3], s[18:19], v4, s25, v[2:3]
	v_mul_lo_u32 v4, v4, s28
	v_mul_lo_u32 v5, v5, s25
	v_add3_u32 v3, v5, v3, v4
	v_add_co_u32_e32 v2, vcc, 8, v2
	v_add_u32_e32 v1, 0x4000, v1
	v_addc_co_u32_e32 v3, vcc, 0, v3, vcc
.LBB236_21:                             ; =>This Inner Loop Header: Depth=1
	global_load_dwordx4 v[4:7], v[2:3], off offset:-8
	v_add_co_u32_e32 v2, vcc, 16, v2
	s_add_i32 s20, s20, -1
	v_addc_co_u32_e32 v3, vcc, 0, v3, vcc
	s_cmp_lg_u32 s20, 0
	s_waitcnt vmcnt(0)
	v_mul_f64 v[10:11], s[14:15], v[6:7]
	v_mul_f64 v[8:9], s[12:13], v[6:7]
	v_fma_f64 v[6:7], s[12:13], v[4:5], -v[10:11]
	v_fmac_f64_e32 v[8:9], s[14:15], v[4:5]
	ds_write_b128 v1, v[6:9]
	v_add_u32_e32 v1, 0x200, v1
	s_cbranch_scc1 .LBB236_21
.LBB236_22:
	s_or_b64 exec, exec, s[16:17]
	s_cmpk_eq_i32 s24, 0x6f
	s_mov_b64 s[12:13], -1
	s_waitcnt lgkmcnt(0)
	; wave barrier
	s_waitcnt lgkmcnt(0)
	s_cbranch_scc1 .LBB236_43
; %bb.23:
	v_mov_b32_e32 v1, 0x4000
	s_lshl_b32 s16, s33, 4
	s_mov_b32 s13, 0
	v_lshl_or_b32 v1, v0, 4, v1
	s_add_i32 s16, s16, -16
	v_lshlrev_b32_e32 v6, 4, v0
	v_mov_b32_e32 v7, 0
	s_mov_b32 s12, s13
	s_mov_b32 s17, s38
	s_branch .LBB236_25
.LBB236_24:                             ;   in Loop: Header=BB236_25 Depth=1
	s_cmp_lt_i32 s17, 0
	s_cselect_b64 s[14:15], -1, 0
	s_add_i32 s12, s12, 1
	s_cmp_eq_u32 s12, 3
	s_cselect_b64 s[18:19], -1, 0
	s_or_b64 s[14:15], s[14:15], s[18:19]
	s_andn2_b64 vcc, exec, s[14:15]
	s_cbranch_vccz .LBB236_42
.LBB236_25:                             ; =>This Loop Header: Depth=1
                                        ;     Child Loop BB236_28 Depth 2
                                        ;       Child Loop BB236_29 Depth 3
                                        ;       Child Loop BB236_31 Depth 3
                                        ;         Child Loop BB236_32 Depth 4
                                        ;       Child Loop BB236_36 Depth 3
                                        ;         Child Loop BB236_38 Depth 4
	s_lshl_b64 s[14:15], s[12:13], 2
	s_getpc_b64 s[18:19]
	s_add_u32 s18, s18, __const._ZL38rocblas_trsm_small_left_device_sharedBILi32ELi32ELb1E19rocblas_complex_numIdES1_PKS1_PS1_Ev13rocblas_fill_18rocblas_operation_17rocblas_diagonal_iiT3_T4_lilT5_lili.step_sizes@rel32@lo+4
	s_addc_u32 s19, s19, __const._ZL38rocblas_trsm_small_left_device_sharedBILi32ELi32ELb1E19rocblas_complex_numIdES1_PKS1_PS1_Ev13rocblas_fill_18rocblas_operation_17rocblas_diagonal_iiT3_T4_lilT5_lili.step_sizes@rel32@hi+12
	s_add_u32 s14, s14, s18
	s_addc_u32 s15, s15, s19
	s_load_dword s18, s[14:15], 0x0
	s_waitcnt lgkmcnt(0)
	s_add_i32 s19, s18, -1
	s_cmp_lt_i32 s17, s19
	s_cbranch_scc1 .LBB236_24
; %bb.26:                               ;   in Loop: Header=BB236_25 Depth=1
	s_lshl_b32 s14, s17, 9
	s_lshl_b32 s15, s18, 9
	s_max_i32 s20, s18, 1
	v_add_u32_e32 v8, s14, v1
	s_sub_i32 s21, 0, s15
	s_add_i32 s24, s16, s14
	s_mul_i32 s30, s17, 0x210
	s_mul_i32 s31, s18, 0xfffffdf0
	s_branch .LBB236_28
.LBB236_27:                             ;   in Loop: Header=BB236_28 Depth=2
	s_sub_i32 s17, s17, s18
	s_add_i32 s24, s24, s21
	s_add_i32 s30, s30, s31
	s_cmp_lt_i32 s17, s19
	v_add_u32_e32 v8, s21, v8
	s_cbranch_scc1 .LBB236_24
.LBB236_28:                             ;   Parent Loop BB236_25 Depth=1
                                        ; =>  This Loop Header: Depth=2
                                        ;       Child Loop BB236_29 Depth 3
                                        ;       Child Loop BB236_31 Depth 3
                                        ;         Child Loop BB236_32 Depth 4
                                        ;       Child Loop BB236_36 Depth 3
                                        ;         Child Loop BB236_38 Depth 4
	v_mov_b32_e32 v2, 0
	v_mov_b32_e32 v3, v8
	s_mov_b32 s14, s20
.LBB236_29:                             ;   Parent Loop BB236_25 Depth=1
                                        ;     Parent Loop BB236_28 Depth=2
                                        ; =>    This Inner Loop Header: Depth=3
	ds_read_b128 v[10:13], v3
	s_add_i32 s14, s14, -1
	v_add_u32_e32 v3, 0xfffffe00, v3
	s_cmp_eq_u32 s14, 0
	s_waitcnt lgkmcnt(0)
	buffer_store_dword v13, v2, s[0:3], 0 offen offset:12
	buffer_store_dword v12, v2, s[0:3], 0 offen offset:8
	;; [unrolled: 1-line block ×3, first 2 shown]
	buffer_store_dword v10, v2, s[0:3], 0 offen
	v_add_u32_e32 v2, 16, v2
	s_cbranch_scc0 .LBB236_29
; %bb.30:                               ;   in Loop: Header=BB236_28 Depth=2
	s_cmp_le_i32 s38, s17
	s_mov_b32 s14, s24
	s_mov_b32 s15, s38
	s_cbranch_scc1 .LBB236_34
.LBB236_31:                             ;   Parent Loop BB236_25 Depth=1
                                        ;     Parent Loop BB236_28 Depth=2
                                        ; =>    This Loop Header: Depth=3
                                        ;         Child Loop BB236_32 Depth 4
	v_lshl_or_b32 v2, s15, 9, v6
	ds_read_b128 v[2:5], v2 offset:16384
	v_mov_b32_e32 v9, 0
	s_mov_b32 s34, s14
	s_mov_b32 s35, s20
.LBB236_32:                             ;   Parent Loop BB236_25 Depth=1
                                        ;     Parent Loop BB236_28 Depth=2
                                        ;       Parent Loop BB236_31 Depth=3
                                        ; =>      This Inner Loop Header: Depth=4
	buffer_load_dword v14, v9, s[0:3], 0 offen
	buffer_load_dword v15, v9, s[0:3], 0 offen offset:4
	buffer_load_dword v16, v9, s[0:3], 0 offen offset:8
	;; [unrolled: 1-line block ×3, first 2 shown]
	v_mov_b32_e32 v10, s34
	ds_read_b128 v[10:13], v10
	s_add_i32 s35, s35, -1
	s_addk_i32 s34, 0xfe00
	s_cmp_eq_u32 s35, 0
	s_waitcnt lgkmcnt(0)
	v_mul_f64 v[18:19], v[4:5], v[12:13]
	v_mul_f64 v[12:13], v[2:3], v[12:13]
	v_fma_f64 v[18:19], v[2:3], v[10:11], -v[18:19]
	v_fmac_f64_e32 v[12:13], v[4:5], v[10:11]
	s_waitcnt vmcnt(2)
	v_add_f64 v[10:11], v[14:15], -v[18:19]
	s_waitcnt vmcnt(0)
	v_add_f64 v[12:13], v[16:17], -v[12:13]
	buffer_store_dword v10, v9, s[0:3], 0 offen
	buffer_store_dword v11, v9, s[0:3], 0 offen offset:4
	buffer_store_dword v12, v9, s[0:3], 0 offen offset:8
	;; [unrolled: 1-line block ×3, first 2 shown]
	v_add_u32_e32 v9, 16, v9
	s_cbranch_scc0 .LBB236_32
; %bb.33:                               ;   in Loop: Header=BB236_31 Depth=3
	s_add_i32 s15, s15, -1
	s_add_i32 s14, s14, -16
	s_cmp_le_i32 s15, s17
	s_cbranch_scc0 .LBB236_31
.LBB236_34:                             ;   in Loop: Header=BB236_28 Depth=2
	s_lshl_b32 s34, s17, 5
	s_mov_b32 s35, 0
	s_mov_b32 s36, s30
	s_branch .LBB236_36
.LBB236_35:                             ;   in Loop: Header=BB236_36 Depth=3
	s_mul_i32 s14, s39, 0x210
	v_mov_b32_e32 v9, s14
	ds_read_b128 v[10:13], v9
	s_lshl_b32 s14, s35, 4
	s_add_i32 s35, s35, 1
	s_addk_i32 s36, 0xfe00
	v_add_u32_e32 v9, s14, v7
	s_waitcnt vmcnt(0) lgkmcnt(0)
	v_mul_f64 v[14:15], v[12:13], v[4:5]
	v_mul_f64 v[16:17], v[10:11], v[4:5]
	v_fma_f64 v[14:15], v[10:11], v[2:3], -v[14:15]
	v_fmac_f64_e32 v[16:17], v[12:13], v[2:3]
	v_add_lshl_u32 v2, s37, v0, 4
	s_cmp_eq_u32 s35, s20
	buffer_store_dword v15, v9, s[0:3], 0 offen offset:4
	buffer_store_dword v14, v9, s[0:3], 0 offen
	buffer_store_dword v17, v9, s[0:3], 0 offen offset:12
	buffer_store_dword v16, v9, s[0:3], 0 offen offset:8
	ds_write_b128 v2, v[14:17] offset:16384
	s_cbranch_scc1 .LBB236_27
.LBB236_36:                             ;   Parent Loop BB236_25 Depth=1
                                        ;     Parent Loop BB236_28 Depth=2
                                        ; =>    This Loop Header: Depth=3
                                        ;         Child Loop BB236_38 Depth 4
	s_cmp_lg_u32 s35, 0
	s_cbranch_scc0 .LBB236_40
; %bb.37:                               ;   in Loop: Header=BB236_36 Depth=3
	s_lshl_b32 s14, s35, 4
	v_add_u32_e32 v9, s14, v7
	buffer_load_dword v2, v9, s[0:3], 0 offen
	buffer_load_dword v3, v9, s[0:3], 0 offen offset:4
	buffer_load_dword v4, v9, s[0:3], 0 offen offset:8
	;; [unrolled: 1-line block ×3, first 2 shown]
	s_sub_i32 s39, s17, s35
	s_lshl_b32 s37, s39, 5
	v_mov_b32_e32 v10, 0
	s_mov_b32 s14, 0
	s_mov_b32 s15, s36
.LBB236_38:                             ;   Parent Loop BB236_25 Depth=1
                                        ;     Parent Loop BB236_28 Depth=2
                                        ;       Parent Loop BB236_36 Depth=3
                                        ; =>      This Inner Loop Header: Depth=4
	buffer_load_dword v16, v10, s[0:3], 0 offen offset:8
	buffer_load_dword v17, v10, s[0:3], 0 offen offset:12
	buffer_load_dword v18, v10, s[0:3], 0 offen
	buffer_load_dword v19, v10, s[0:3], 0 offen offset:4
	v_mov_b32_e32 v11, s15
	ds_read_b128 v[12:15], v11
	s_add_i32 s14, s14, 1
	s_add_i32 s15, s15, -16
	v_add_u32_e32 v10, 16, v10
	s_cmp_ge_u32 s14, s35
	s_waitcnt vmcnt(2) lgkmcnt(0)
	v_mul_f64 v[20:21], v[14:15], v[16:17]
	v_mul_f64 v[16:17], v[12:13], v[16:17]
	s_waitcnt vmcnt(0)
	v_fma_f64 v[12:13], v[12:13], v[18:19], -v[20:21]
	v_fmac_f64_e32 v[16:17], v[14:15], v[18:19]
	v_add_f64 v[2:3], v[2:3], -v[12:13]
	v_add_f64 v[4:5], v[4:5], -v[16:17]
	buffer_store_dword v2, v9, s[0:3], 0 offen
	buffer_store_dword v3, v9, s[0:3], 0 offen offset:4
	buffer_store_dword v4, v9, s[0:3], 0 offen offset:8
	;; [unrolled: 1-line block ×3, first 2 shown]
	s_cbranch_scc0 .LBB236_38
; %bb.39:                               ;   in Loop: Header=BB236_36 Depth=3
	s_branch .LBB236_35
.LBB236_40:                             ;   in Loop: Header=BB236_36 Depth=3
                                        ; implicit-def: $vgpr2_vgpr3
                                        ; implicit-def: $vgpr4_vgpr5
                                        ; implicit-def: $sgpr39
                                        ; implicit-def: $sgpr37
	s_cbranch_execz .LBB236_35
; %bb.41:                               ;   in Loop: Header=BB236_36 Depth=3
	buffer_load_dword v2, off, s[0:3], 0
	buffer_load_dword v3, off, s[0:3], 0 offset:4
	buffer_load_dword v4, off, s[0:3], 0 offset:8
	;; [unrolled: 1-line block ×3, first 2 shown]
	s_mov_b32 s37, s34
	s_mov_b32 s39, s17
	s_branch .LBB236_35
.LBB236_42:
	s_mov_b64 s[12:13], 0
.LBB236_43:
	s_and_b64 vcc, exec, s[12:13]
	s_cbranch_vccz .LBB236_64
; %bb.44:
	v_mov_b32_e32 v1, 0x4000
	s_mov_b32 s13, 0
	v_lshl_or_b32 v1, v0, 4, v1
	v_lshlrev_b32_e32 v6, 4, v0
	v_mov_b32_e32 v7, 0
	s_mov_b32 s12, s13
	s_mov_b32 s16, s13
	s_branch .LBB236_46
.LBB236_45:                             ;   in Loop: Header=BB236_46 Depth=1
	s_cmp_ge_i32 s16, s33
	s_cselect_b64 s[14:15], -1, 0
	s_add_i32 s12, s12, 1
	s_cmp_eq_u32 s12, 3
	s_cselect_b64 s[18:19], -1, 0
	s_or_b64 s[14:15], s[14:15], s[18:19]
	s_and_b64 vcc, exec, s[14:15]
	s_cbranch_vccnz .LBB236_64
.LBB236_46:                             ; =>This Loop Header: Depth=1
                                        ;     Child Loop BB236_49 Depth 2
                                        ;       Child Loop BB236_50 Depth 3
                                        ;       Child Loop BB236_53 Depth 3
                                        ;         Child Loop BB236_54 Depth 4
                                        ;       Child Loop BB236_58 Depth 3
                                        ;         Child Loop BB236_60 Depth 4
	s_lshl_b64 s[14:15], s[12:13], 2
	s_getpc_b64 s[18:19]
	s_add_u32 s18, s18, __const._ZL38rocblas_trsm_small_left_device_sharedBILi32ELi32ELb1E19rocblas_complex_numIdES1_PKS1_PS1_Ev13rocblas_fill_18rocblas_operation_17rocblas_diagonal_iiT3_T4_lilT5_lili.step_sizes@rel32@lo+4
	s_addc_u32 s19, s19, __const._ZL38rocblas_trsm_small_left_device_sharedBILi32ELi32ELb1E19rocblas_complex_numIdES1_PKS1_PS1_Ev13rocblas_fill_18rocblas_operation_17rocblas_diagonal_iiT3_T4_lilT5_lili.step_sizes@rel32@hi+12
	s_add_u32 s14, s14, s18
	s_addc_u32 s15, s15, s19
	s_load_dword s17, s[14:15], 0x0
	s_waitcnt lgkmcnt(0)
	s_add_i32 s18, s17, -1
	s_add_i32 s14, s18, s16
	s_cmp_ge_i32 s14, s33
	s_cbranch_scc1 .LBB236_45
; %bb.47:                               ;   in Loop: Header=BB236_46 Depth=1
	s_max_i32 s19, s17, 1
	v_lshl_add_u32 v8, s16, 9, v1
	s_lshl_b32 s20, s17, 9
	s_lshl_b32 s21, s16, 4
	;; [unrolled: 1-line block ×3, first 2 shown]
	s_mul_i32 s30, s16, 0x210
	s_mul_i32 s31, s17, 0x210
	s_branch .LBB236_49
.LBB236_48:                             ;   in Loop: Header=BB236_49 Depth=2
	s_add_i32 s16, s16, s17
	s_add_i32 s14, s18, s16
	;; [unrolled: 1-line block ×4, first 2 shown]
	s_cmp_ge_i32 s14, s33
	v_add_u32_e32 v8, s20, v8
	s_cbranch_scc1 .LBB236_45
.LBB236_49:                             ;   Parent Loop BB236_46 Depth=1
                                        ; =>  This Loop Header: Depth=2
                                        ;       Child Loop BB236_50 Depth 3
                                        ;       Child Loop BB236_53 Depth 3
                                        ;         Child Loop BB236_54 Depth 4
                                        ;       Child Loop BB236_58 Depth 3
                                        ;         Child Loop BB236_60 Depth 4
	v_mov_b32_e32 v2, 0
	v_mov_b32_e32 v3, v8
	s_mov_b32 s14, s19
.LBB236_50:                             ;   Parent Loop BB236_46 Depth=1
                                        ;     Parent Loop BB236_49 Depth=2
                                        ; =>    This Inner Loop Header: Depth=3
	ds_read_b128 v[10:13], v3
	s_add_i32 s14, s14, -1
	v_add_u32_e32 v3, 0x200, v3
	s_cmp_eq_u32 s14, 0
	s_waitcnt lgkmcnt(0)
	buffer_store_dword v13, v2, s[0:3], 0 offen offset:12
	buffer_store_dword v12, v2, s[0:3], 0 offen offset:8
	;; [unrolled: 1-line block ×3, first 2 shown]
	buffer_store_dword v10, v2, s[0:3], 0 offen
	v_add_u32_e32 v2, 16, v2
	s_cbranch_scc0 .LBB236_50
; %bb.51:                               ;   in Loop: Header=BB236_49 Depth=2
	s_cmp_lt_i32 s16, 1
	s_cbranch_scc1 .LBB236_56
; %bb.52:                               ;   in Loop: Header=BB236_49 Depth=2
	s_mov_b32 s14, 0
	s_mov_b32 s15, s21
.LBB236_53:                             ;   Parent Loop BB236_46 Depth=1
                                        ;     Parent Loop BB236_49 Depth=2
                                        ; =>    This Loop Header: Depth=3
                                        ;         Child Loop BB236_54 Depth 4
	v_lshl_or_b32 v2, s14, 9, v6
	ds_read_b128 v[2:5], v2 offset:16384
	v_mov_b32_e32 v9, 0
	s_mov_b32 s34, s15
	s_mov_b32 s35, s19
.LBB236_54:                             ;   Parent Loop BB236_46 Depth=1
                                        ;     Parent Loop BB236_49 Depth=2
                                        ;       Parent Loop BB236_53 Depth=3
                                        ; =>      This Inner Loop Header: Depth=4
	buffer_load_dword v14, v9, s[0:3], 0 offen
	buffer_load_dword v15, v9, s[0:3], 0 offen offset:4
	buffer_load_dword v16, v9, s[0:3], 0 offen offset:8
	;; [unrolled: 1-line block ×3, first 2 shown]
	v_mov_b32_e32 v10, s34
	ds_read_b128 v[10:13], v10
	s_add_i32 s35, s35, -1
	s_add_i32 s34, s34, 16
	s_cmp_eq_u32 s35, 0
	s_waitcnt lgkmcnt(0)
	v_mul_f64 v[18:19], v[4:5], v[12:13]
	v_mul_f64 v[12:13], v[2:3], v[12:13]
	v_fma_f64 v[18:19], v[2:3], v[10:11], -v[18:19]
	v_fmac_f64_e32 v[12:13], v[4:5], v[10:11]
	s_waitcnt vmcnt(2)
	v_add_f64 v[10:11], v[14:15], -v[18:19]
	s_waitcnt vmcnt(0)
	v_add_f64 v[12:13], v[16:17], -v[12:13]
	buffer_store_dword v10, v9, s[0:3], 0 offen
	buffer_store_dword v11, v9, s[0:3], 0 offen offset:4
	buffer_store_dword v12, v9, s[0:3], 0 offen offset:8
	buffer_store_dword v13, v9, s[0:3], 0 offen offset:12
	v_add_u32_e32 v9, 16, v9
	s_cbranch_scc0 .LBB236_54
; %bb.55:                               ;   in Loop: Header=BB236_53 Depth=3
	s_add_i32 s14, s14, 1
	s_addk_i32 s15, 0x200
	s_cmp_ge_i32 s14, s16
	s_cbranch_scc0 .LBB236_53
.LBB236_56:                             ;   in Loop: Header=BB236_49 Depth=2
	s_mov_b32 s34, 0
	s_mov_b32 s35, s30
	s_branch .LBB236_58
.LBB236_57:                             ;   in Loop: Header=BB236_58 Depth=3
	s_mul_i32 s14, s36, 0x210
	v_mov_b32_e32 v9, s14
	ds_read_b128 v[10:13], v9
	s_lshl_b32 s14, s34, 4
	s_add_i32 s34, s34, 1
	s_add_i32 s35, s35, 16
	v_add_u32_e32 v9, s14, v7
	s_waitcnt vmcnt(0) lgkmcnt(0)
	v_mul_f64 v[14:15], v[12:13], v[4:5]
	v_mul_f64 v[16:17], v[10:11], v[4:5]
	v_fma_f64 v[14:15], v[10:11], v[2:3], -v[14:15]
	v_fmac_f64_e32 v[16:17], v[12:13], v[2:3]
	v_lshl_or_b32 v2, s36, 9, v6
	s_cmp_eq_u32 s34, s19
	buffer_store_dword v15, v9, s[0:3], 0 offen offset:4
	buffer_store_dword v14, v9, s[0:3], 0 offen
	buffer_store_dword v17, v9, s[0:3], 0 offen offset:12
	buffer_store_dword v16, v9, s[0:3], 0 offen offset:8
	ds_write_b128 v2, v[14:17] offset:16384
	s_cbranch_scc1 .LBB236_48
.LBB236_58:                             ;   Parent Loop BB236_46 Depth=1
                                        ;     Parent Loop BB236_49 Depth=2
                                        ; =>    This Loop Header: Depth=3
                                        ;         Child Loop BB236_60 Depth 4
	s_cmp_lg_u32 s34, 0
	s_cbranch_scc0 .LBB236_62
; %bb.59:                               ;   in Loop: Header=BB236_58 Depth=3
	s_lshl_b32 s14, s34, 4
	v_add_u32_e32 v9, s14, v7
	buffer_load_dword v2, v9, s[0:3], 0 offen
	buffer_load_dword v3, v9, s[0:3], 0 offen offset:4
	buffer_load_dword v4, v9, s[0:3], 0 offen offset:8
	;; [unrolled: 1-line block ×3, first 2 shown]
	s_add_i32 s36, s34, s16
	v_mov_b32_e32 v10, 0
	s_mov_b32 s14, 0
	s_mov_b32 s15, s35
.LBB236_60:                             ;   Parent Loop BB236_46 Depth=1
                                        ;     Parent Loop BB236_49 Depth=2
                                        ;       Parent Loop BB236_58 Depth=3
                                        ; =>      This Inner Loop Header: Depth=4
	buffer_load_dword v16, v10, s[0:3], 0 offen offset:8
	buffer_load_dword v17, v10, s[0:3], 0 offen offset:12
	buffer_load_dword v18, v10, s[0:3], 0 offen
	buffer_load_dword v19, v10, s[0:3], 0 offen offset:4
	v_mov_b32_e32 v11, s15
	ds_read_b128 v[12:15], v11
	s_add_i32 s14, s14, 1
	s_addk_i32 s15, 0x200
	v_add_u32_e32 v10, 16, v10
	s_cmp_ge_u32 s14, s34
	s_waitcnt vmcnt(2) lgkmcnt(0)
	v_mul_f64 v[20:21], v[14:15], v[16:17]
	v_mul_f64 v[16:17], v[12:13], v[16:17]
	s_waitcnt vmcnt(0)
	v_fma_f64 v[12:13], v[12:13], v[18:19], -v[20:21]
	v_fmac_f64_e32 v[16:17], v[14:15], v[18:19]
	v_add_f64 v[2:3], v[2:3], -v[12:13]
	v_add_f64 v[4:5], v[4:5], -v[16:17]
	buffer_store_dword v2, v9, s[0:3], 0 offen
	buffer_store_dword v3, v9, s[0:3], 0 offen offset:4
	buffer_store_dword v4, v9, s[0:3], 0 offen offset:8
	;; [unrolled: 1-line block ×3, first 2 shown]
	s_cbranch_scc0 .LBB236_60
; %bb.61:                               ;   in Loop: Header=BB236_58 Depth=3
	s_branch .LBB236_57
.LBB236_62:                             ;   in Loop: Header=BB236_58 Depth=3
                                        ; implicit-def: $vgpr2_vgpr3
                                        ; implicit-def: $vgpr4_vgpr5
                                        ; implicit-def: $sgpr36
	s_cbranch_execz .LBB236_57
; %bb.63:                               ;   in Loop: Header=BB236_58 Depth=3
	buffer_load_dword v2, off, s[0:3], 0
	buffer_load_dword v3, off, s[0:3], 0 offset:4
	buffer_load_dword v4, off, s[0:3], 0 offset:8
	;; [unrolled: 1-line block ×3, first 2 shown]
	s_mov_b32 s36, s16
	s_branch .LBB236_57
.LBB236_64:
	s_waitcnt lgkmcnt(0)
	; wave barrier
	s_waitcnt lgkmcnt(0)
	s_and_saveexec_b64 s[12:13], s[8:9]
	s_cbranch_execz .LBB236_71
; %bb.65:
	s_cmp_lt_i32 s26, 8
	s_mov_b32 s8, 0
	s_cbranch_scc1 .LBB236_68
; %bb.66:
	v_mad_i64_i32 v[2:3], s[8:9], s25, v0, 0
	v_lshlrev_b64 v[2:3], 4, v[2:3]
	v_mov_b32_e32 v4, s29
	v_add_co_u32_e32 v1, vcc, s27, v2
	v_addc_co_u32_e32 v2, vcc, v4, v3, vcc
	v_mov_b32_e32 v3, 0x4000
	s_lshl_b32 s8, s33, 4
	v_lshl_or_b32 v3, v0, 4, v3
	s_and_b32 s9, s8, 0x380
	s_mov_b32 s8, 0
	s_mov_b64 s[12:13], 0
.LBB236_67:                             ; =>This Inner Loop Header: Depth=1
	v_mov_b32_e32 v20, s13
	v_add_u32_e32 v21, 0x800, v3
	v_add_u32_e32 v24, 0xa00, v3
	;; [unrolled: 1-line block ×4, first 2 shown]
	v_add_co_u32_e32 v36, vcc, s12, v1
	ds_read2_b64 v[4:7], v3 offset1:1
	ds_read2_b64 v[8:11], v3 offset0:64 offset1:65
	ds_read2_b64 v[12:15], v3 offset0:128 offset1:129
	;; [unrolled: 1-line block ×3, first 2 shown]
	v_addc_co_u32_e32 v37, vcc, v2, v20, vcc
	ds_read2_b64 v[20:23], v21 offset1:1
	ds_read2_b64 v[24:27], v24 offset1:1
	;; [unrolled: 1-line block ×4, first 2 shown]
	s_add_i32 s8, s8, 8
	s_add_u32 s12, s12, 0x80
	s_addc_u32 s13, s13, 0
	v_add_u32_e32 v3, 0x1000, v3
	s_cmp_lg_u32 s9, s12
	s_waitcnt lgkmcnt(7)
	global_store_dwordx4 v[36:37], v[4:7], off
	s_waitcnt lgkmcnt(6)
	global_store_dwordx4 v[36:37], v[8:11], off offset:16
	s_waitcnt lgkmcnt(5)
	global_store_dwordx4 v[36:37], v[12:15], off offset:32
	;; [unrolled: 2-line block ×7, first 2 shown]
	s_cbranch_scc1 .LBB236_67
.LBB236_68:
	s_and_b32 s12, s33, 7
	s_cmp_eq_u32 s12, 0
	s_mov_b32 s9, 0
	s_cbranch_scc1 .LBB236_71
; %bb.69:
	s_lshl_b64 s[10:11], s[10:11], 4
	v_lshlrev_b32_e32 v2, 4, v0
	v_mov_b32_e32 v0, s11
	v_add_co_u32_e32 v3, vcc, s10, v2
	s_lshl_b64 s[10:11], s[8:9], 4
	s_add_u32 s9, s22, s10
	s_addc_u32 s10, s23, s11
	s_add_u32 s6, s9, s6
	s_addc_u32 s7, s10, s7
	;; [unrolled: 2-line block ×3, first 2 shown]
	v_addc_co_u32_e32 v4, vcc, 0, v0, vcc
	v_pk_mov_b32 v[0:1], s[4:5], s[4:5] op_sel:[0,1]
	v_mad_u64_u32 v[0:1], s[4:5], v3, s25, v[0:1]
	v_mul_lo_u32 v3, v3, s28
	v_mul_lo_u32 v4, v4, s25
	v_lshl_or_b32 v2, s8, 9, v2
	v_add3_u32 v1, v4, v1, v3
	v_add_u32_e32 v2, 0x4000, v2
.LBB236_70:                             ; =>This Inner Loop Header: Depth=1
	ds_read2_b64 v[4:7], v2 offset1:1
	s_add_i32 s12, s12, -1
	v_add_u32_e32 v2, 0x200, v2
	s_cmp_lg_u32 s12, 0
	s_waitcnt lgkmcnt(0)
	global_store_dwordx4 v[0:1], v[4:7], off
	v_add_co_u32_e32 v0, vcc, 16, v0
	v_addc_co_u32_e32 v1, vcc, 0, v1, vcc
	s_cbranch_scc1 .LBB236_70
.LBB236_71:
	s_endpgm
	.section	.rodata,"a",@progbits
	.p2align	6, 0x0
	.amdhsa_kernel _ZL38rocblas_trsm_small_left_device_sharedBILi32ELi32ELb1E19rocblas_complex_numIdES1_PKS1_PS1_Ev13rocblas_fill_18rocblas_operation_17rocblas_diagonal_iiT3_T4_lilT5_lili
		.amdhsa_group_segment_fixed_size 32768
		.amdhsa_private_segment_fixed_size 528
		.amdhsa_kernarg_size 368
		.amdhsa_user_sgpr_count 8
		.amdhsa_user_sgpr_private_segment_buffer 1
		.amdhsa_user_sgpr_dispatch_ptr 0
		.amdhsa_user_sgpr_queue_ptr 0
		.amdhsa_user_sgpr_kernarg_segment_ptr 1
		.amdhsa_user_sgpr_dispatch_id 0
		.amdhsa_user_sgpr_flat_scratch_init 1
		.amdhsa_user_sgpr_kernarg_preload_length 0
		.amdhsa_user_sgpr_kernarg_preload_offset 0
		.amdhsa_user_sgpr_private_segment_size 0
		.amdhsa_uses_dynamic_stack 0
		.amdhsa_system_sgpr_private_segment_wavefront_offset 1
		.amdhsa_system_sgpr_workgroup_id_x 1
		.amdhsa_system_sgpr_workgroup_id_y 0
		.amdhsa_system_sgpr_workgroup_id_z 1
		.amdhsa_system_sgpr_workgroup_info 0
		.amdhsa_system_vgpr_workitem_id 0
		.amdhsa_next_free_vgpr 54
		.amdhsa_next_free_sgpr 43
		.amdhsa_accum_offset 56
		.amdhsa_reserve_vcc 1
		.amdhsa_reserve_flat_scratch 0
		.amdhsa_float_round_mode_32 0
		.amdhsa_float_round_mode_16_64 0
		.amdhsa_float_denorm_mode_32 3
		.amdhsa_float_denorm_mode_16_64 3
		.amdhsa_dx10_clamp 1
		.amdhsa_ieee_mode 1
		.amdhsa_fp16_overflow 0
		.amdhsa_tg_split 0
		.amdhsa_exception_fp_ieee_invalid_op 0
		.amdhsa_exception_fp_denorm_src 0
		.amdhsa_exception_fp_ieee_div_zero 0
		.amdhsa_exception_fp_ieee_overflow 0
		.amdhsa_exception_fp_ieee_underflow 0
		.amdhsa_exception_fp_ieee_inexact 0
		.amdhsa_exception_int_div_zero 0
	.end_amdhsa_kernel
	.section	.text._ZL38rocblas_trsm_small_left_device_sharedBILi32ELi32ELb1E19rocblas_complex_numIdES1_PKS1_PS1_Ev13rocblas_fill_18rocblas_operation_17rocblas_diagonal_iiT3_T4_lilT5_lili,"axG",@progbits,_ZL38rocblas_trsm_small_left_device_sharedBILi32ELi32ELb1E19rocblas_complex_numIdES1_PKS1_PS1_Ev13rocblas_fill_18rocblas_operation_17rocblas_diagonal_iiT3_T4_lilT5_lili,comdat
.Lfunc_end236:
	.size	_ZL38rocblas_trsm_small_left_device_sharedBILi32ELi32ELb1E19rocblas_complex_numIdES1_PKS1_PS1_Ev13rocblas_fill_18rocblas_operation_17rocblas_diagonal_iiT3_T4_lilT5_lili, .Lfunc_end236-_ZL38rocblas_trsm_small_left_device_sharedBILi32ELi32ELb1E19rocblas_complex_numIdES1_PKS1_PS1_Ev13rocblas_fill_18rocblas_operation_17rocblas_diagonal_iiT3_T4_lilT5_lili
                                        ; -- End function
	.section	.AMDGPU.csdata,"",@progbits
; Kernel info:
; codeLenInByte = 4304
; NumSgprs: 47
; NumVgprs: 54
; NumAgprs: 0
; TotalNumVgprs: 54
; ScratchSize: 528
; MemoryBound: 0
; FloatMode: 240
; IeeeMode: 1
; LDSByteSize: 32768 bytes/workgroup (compile time only)
; SGPRBlocks: 5
; VGPRBlocks: 6
; NumSGPRsForWavesPerEU: 47
; NumVGPRsForWavesPerEU: 54
; AccumOffset: 56
; Occupancy: 1
; WaveLimiterHint : 0
; COMPUTE_PGM_RSRC2:SCRATCH_EN: 1
; COMPUTE_PGM_RSRC2:USER_SGPR: 8
; COMPUTE_PGM_RSRC2:TRAP_HANDLER: 0
; COMPUTE_PGM_RSRC2:TGID_X_EN: 1
; COMPUTE_PGM_RSRC2:TGID_Y_EN: 0
; COMPUTE_PGM_RSRC2:TGID_Z_EN: 1
; COMPUTE_PGM_RSRC2:TIDIG_COMP_CNT: 0
; COMPUTE_PGM_RSRC3_GFX90A:ACCUM_OFFSET: 13
; COMPUTE_PGM_RSRC3_GFX90A:TG_SPLIT: 0
	.section	.text._ZL30rocblas_trsm_small_left_deviceILi32ELi32ELb1E19rocblas_complex_numIdES1_PKS1_PS1_Ev13rocblas_fill_18rocblas_operation_17rocblas_diagonal_iiT3_T4_lilT5_lili,"axG",@progbits,_ZL30rocblas_trsm_small_left_deviceILi32ELi32ELb1E19rocblas_complex_numIdES1_PKS1_PS1_Ev13rocblas_fill_18rocblas_operation_17rocblas_diagonal_iiT3_T4_lilT5_lili,comdat
	.globl	_ZL30rocblas_trsm_small_left_deviceILi32ELi32ELb1E19rocblas_complex_numIdES1_PKS1_PS1_Ev13rocblas_fill_18rocblas_operation_17rocblas_diagonal_iiT3_T4_lilT5_lili ; -- Begin function _ZL30rocblas_trsm_small_left_deviceILi32ELi32ELb1E19rocblas_complex_numIdES1_PKS1_PS1_Ev13rocblas_fill_18rocblas_operation_17rocblas_diagonal_iiT3_T4_lilT5_lili
	.p2align	8
	.type	_ZL30rocblas_trsm_small_left_deviceILi32ELi32ELb1E19rocblas_complex_numIdES1_PKS1_PS1_Ev13rocblas_fill_18rocblas_operation_17rocblas_diagonal_iiT3_T4_lilT5_lili,@function
_ZL30rocblas_trsm_small_left_deviceILi32ELi32ELb1E19rocblas_complex_numIdES1_PKS1_PS1_Ev13rocblas_fill_18rocblas_operation_17rocblas_diagonal_iiT3_T4_lilT5_lili: ; @_ZL30rocblas_trsm_small_left_deviceILi32ELi32ELb1E19rocblas_complex_numIdES1_PKS1_PS1_Ev13rocblas_fill_18rocblas_operation_17rocblas_diagonal_iiT3_T4_lilT5_lili
; %bb.0:
	s_add_u32 s0, s0, s10
	s_load_dwordx4 s[24:27], s[4:5], 0x4
	s_load_dwordx8 s[12:19], s[4:5], 0x18
	s_load_dwordx4 s[20:23], s[4:5], 0x40
	s_load_dwordx2 s[10:11], s[4:5], 0x50
	s_load_dword s38, s[4:5], 0x70
	s_addc_u32 s1, s1, 0
	s_waitcnt lgkmcnt(0)
	s_min_i32 s26, s26, 32
	s_mov_b32 s39, 0
	s_add_i32 s33, s26, -1
	v_cmp_gt_i32_e32 vcc, s26, v0
	s_and_saveexec_b64 s[28:29], vcc
	s_cbranch_execz .LBB237_15
; %bb.1:
	s_load_dword s30, s[4:5], 0x38
	v_lshlrev_b32_e32 v1, 4, v0
	s_mul_i32 s40, s21, s9
	s_mul_hi_u32 s41, s20, s9
	s_mul_i32 s20, s20, s9
	s_waitcnt lgkmcnt(0)
	s_ashr_i32 s31, s30, 31
	s_cmpk_eq_i32 s24, 0x71
	s_cselect_b64 vcc, -1, 0
	s_cmp_lt_u32 s33, 3
	s_cbranch_scc1 .LBB237_4
; %bb.2:
	s_add_i32 s21, s41, s40
	s_and_b32 s39, s26, -4
	s_lshl_b64 s[6:7], s[20:21], 4
	s_lshl_b64 s[34:35], s[18:19], 4
	s_add_u32 s6, s6, s34
	s_addc_u32 s7, s7, s35
	s_add_u32 s6, s16, s6
	v_lshlrev_b32_e32 v2, 4, v0
	s_addc_u32 s7, s17, s7
	v_mov_b32_e32 v3, s7
	v_add_co_u32_e64 v2, s[6:7], s6, v2
	v_addc_co_u32_e64 v3, s[6:7], 0, v3, s[6:7]
	v_add_co_u32_e64 v2, s[6:7], 8, v2
	s_lshl_b64 s[34:35], s[30:31], 6
	s_lshl_b64 s[36:37], s[30:31], 4
	v_addc_co_u32_e64 v3, s[6:7], 0, v3, s[6:7]
	s_mov_b32 s21, 0
	v_mov_b32_e32 v4, s37
	v_mov_b32_e32 v5, s35
	;; [unrolled: 1-line block ×3, first 2 shown]
.LBB237_3:                              ; =>This Inner Loop Header: Depth=1
	v_add_co_u32_e64 v20, s[6:7], s36, v2
	v_addc_co_u32_e64 v21, s[6:7], v3, v4, s[6:7]
	v_add_co_u32_e64 v22, s[6:7], s36, v20
	global_load_dwordx4 v[8:11], v[2:3], off offset:-8
	v_addc_co_u32_e64 v23, s[6:7], v21, v4, s[6:7]
	global_load_dwordx4 v[12:15], v[20:21], off offset:-8
	global_load_dwordx4 v[16:19], v[22:23], off offset:-8
	v_add_co_u32_e64 v20, s[6:7], s36, v22
	v_addc_co_u32_e64 v21, s[6:7], v23, v4, s[6:7]
	global_load_dwordx4 v[20:23], v[20:21], off offset:-8
	s_add_i32 s21, s21, 4
	v_add_co_u32_e64 v2, s[6:7], s34, v2
	s_cmp_eq_u32 s39, s21
	v_addc_co_u32_e64 v3, s[6:7], v3, v5, s[6:7]
	s_waitcnt vmcnt(3)
	v_xor_b32_e32 v7, 0x80000000, v11
	v_cndmask_b32_e32 v11, v11, v7, vcc
	s_waitcnt vmcnt(2)
	v_xor_b32_e32 v7, 0x80000000, v15
	v_cndmask_b32_e32 v15, v15, v7, vcc
	;; [unrolled: 3-line block ×3, first 2 shown]
	ds_write_b128 v6, v[8:11]
	ds_write_b128 v6, v[12:15] offset:512
	s_waitcnt vmcnt(0)
	v_xor_b32_e32 v7, 0x80000000, v23
	v_cndmask_b32_e32 v23, v23, v7, vcc
	ds_write_b128 v6, v[16:19] offset:1024
	ds_write_b128 v6, v[20:23] offset:1536
	v_add_u32_e32 v6, 0x800, v6
	s_cbranch_scc0 .LBB237_3
.LBB237_4:
	s_and_b32 s34, s26, 3
	s_cmp_eq_u32 s34, 0
	s_cbranch_scc1 .LBB237_7
; %bb.5:
	s_add_i32 s21, s41, s40
	s_lshl_b64 s[6:7], s[20:21], 4
	s_mul_i32 s20, s31, s39
	s_mul_hi_u32 s21, s30, s39
	s_add_i32 s21, s21, s20
	s_mul_i32 s20, s30, s39
	s_lshl_b64 s[20:21], s[20:21], 4
	s_add_u32 s20, s6, s20
	s_addc_u32 s21, s7, s21
	s_lshl_b64 s[6:7], s[18:19], 4
	s_add_u32 s6, s20, s6
	s_addc_u32 s7, s21, s7
	s_add_u32 s6, s16, s6
	s_addc_u32 s7, s17, s7
	v_lshl_or_b32 v4, s39, 9, v1
	v_mov_b32_e32 v2, s7
	v_add_co_u32_e64 v1, s[6:7], s6, v1
	v_addc_co_u32_e64 v3, s[6:7], 0, v2, s[6:7]
	v_add_co_u32_e64 v2, s[6:7], 8, v1
	s_lshl_b64 s[16:17], s[30:31], 4
	v_addc_co_u32_e64 v3, s[6:7], 0, v3, s[6:7]
	v_mov_b32_e32 v1, s17
.LBB237_6:                              ; =>This Inner Loop Header: Depth=1
	global_load_dwordx4 v[6:9], v[2:3], off offset:-8
	v_add_co_u32_e64 v2, s[6:7], s16, v2
	s_add_i32 s34, s34, -1
	v_addc_co_u32_e64 v3, s[6:7], v3, v1, s[6:7]
	s_cmp_lg_u32 s34, 0
	s_waitcnt vmcnt(0)
	v_xor_b32_e32 v5, 0x80000000, v9
	v_cndmask_b32_e32 v9, v9, v5, vcc
	ds_write_b128 v4, v[6:9]
	v_add_u32_e32 v4, 0x200, v4
	s_cbranch_scc1 .LBB237_6
.LBB237_7:
	v_mul_u32_u24_e32 v1, 33, v0
	s_cmpk_lg_i32 s25, 0x84
	v_lshlrev_b32_e32 v1, 4, v1
	s_cbranch_scc0 .LBB237_13
; %bb.8:
	ds_read_b128 v[2:5], v1
	s_waitcnt lgkmcnt(0)
	v_xor_b32_e32 v7, 0x80000000, v3
	v_cmp_gt_f64_e32 vcc, 0, v[2:3]
	v_xor_b32_e32 v8, 0x80000000, v5
	v_cndmask_b32_e32 v7, v3, v7, vcc
	v_cmp_gt_f64_e32 vcc, 0, v[4:5]
	v_mov_b32_e32 v6, v2
	v_cndmask_b32_e32 v9, v5, v8, vcc
	v_mov_b32_e32 v8, v4
	v_cmp_ngt_f64_e32 vcc, v[6:7], v[8:9]
                                        ; implicit-def: $vgpr8_vgpr9
	s_and_saveexec_b64 s[6:7], vcc
	s_xor_b64 s[6:7], exec, s[6:7]
	s_cbranch_execz .LBB237_10
; %bb.9:
	v_div_scale_f64 v[6:7], s[16:17], v[4:5], v[4:5], v[2:3]
	v_rcp_f64_e32 v[8:9], v[6:7]
	v_div_scale_f64 v[10:11], vcc, v[2:3], v[4:5], v[2:3]
	v_fma_f64 v[12:13], -v[6:7], v[8:9], 1.0
	v_fmac_f64_e32 v[8:9], v[8:9], v[12:13]
	v_fma_f64 v[12:13], -v[6:7], v[8:9], 1.0
	v_fmac_f64_e32 v[8:9], v[8:9], v[12:13]
	v_mul_f64 v[12:13], v[10:11], v[8:9]
	v_fma_f64 v[6:7], -v[6:7], v[12:13], v[10:11]
	v_div_fmas_f64 v[6:7], v[6:7], v[8:9], v[12:13]
	v_div_fixup_f64 v[8:9], v[6:7], v[4:5], v[2:3]
	v_fmac_f64_e32 v[4:5], v[2:3], v[8:9]
	v_div_scale_f64 v[2:3], s[16:17], v[4:5], v[4:5], 1.0
	v_rcp_f64_e32 v[6:7], v[2:3]
	v_fma_f64 v[10:11], -v[2:3], v[6:7], 1.0
	v_fmac_f64_e32 v[6:7], v[6:7], v[10:11]
	v_fma_f64 v[10:11], -v[2:3], v[6:7], 1.0
	v_fmac_f64_e32 v[6:7], v[6:7], v[10:11]
	v_div_scale_f64 v[10:11], vcc, 1.0, v[4:5], 1.0
	v_mul_f64 v[12:13], v[10:11], v[6:7]
	v_fma_f64 v[2:3], -v[2:3], v[12:13], v[10:11]
	s_nop 1
	v_div_fmas_f64 v[2:3], v[2:3], v[6:7], v[12:13]
	v_div_fixup_f64 v[2:3], v[2:3], v[4:5], 1.0
	v_add_f64 v[4:5], v[8:9], 0
	v_mul_f64 v[6:7], v[4:5], v[2:3]
	v_fma_f64 v[4:5], v[8:9], 0, -1.0
	v_mul_f64 v[8:9], v[4:5], v[2:3]
                                        ; implicit-def: $vgpr2_vgpr3
.LBB237_10:
	s_andn2_saveexec_b64 s[6:7], s[6:7]
	s_cbranch_execz .LBB237_12
; %bb.11:
	v_div_scale_f64 v[6:7], s[16:17], v[2:3], v[2:3], v[4:5]
	v_rcp_f64_e32 v[8:9], v[6:7]
	v_div_scale_f64 v[10:11], vcc, v[4:5], v[2:3], v[4:5]
	v_fma_f64 v[12:13], -v[6:7], v[8:9], 1.0
	v_fmac_f64_e32 v[8:9], v[8:9], v[12:13]
	v_fma_f64 v[12:13], -v[6:7], v[8:9], 1.0
	v_fmac_f64_e32 v[8:9], v[8:9], v[12:13]
	v_mul_f64 v[12:13], v[10:11], v[8:9]
	v_fma_f64 v[6:7], -v[6:7], v[12:13], v[10:11]
	v_div_fmas_f64 v[6:7], v[6:7], v[8:9], v[12:13]
	v_div_fixup_f64 v[8:9], v[6:7], v[2:3], v[4:5]
	v_fmac_f64_e32 v[2:3], v[4:5], v[8:9]
	v_div_scale_f64 v[4:5], s[16:17], v[2:3], v[2:3], 1.0
	v_rcp_f64_e32 v[6:7], v[4:5]
	v_fma_f64 v[10:11], -v[4:5], v[6:7], 1.0
	v_fmac_f64_e32 v[6:7], v[6:7], v[10:11]
	v_fma_f64 v[10:11], -v[4:5], v[6:7], 1.0
	v_fmac_f64_e32 v[6:7], v[6:7], v[10:11]
	v_div_scale_f64 v[10:11], vcc, 1.0, v[2:3], 1.0
	v_mul_f64 v[12:13], v[10:11], v[6:7]
	v_fma_f64 v[4:5], -v[4:5], v[12:13], v[10:11]
	s_nop 1
	v_div_fmas_f64 v[4:5], v[4:5], v[6:7], v[12:13]
	v_div_fixup_f64 v[2:3], v[4:5], v[2:3], 1.0
	v_fma_f64 v[4:5], v[8:9], 0, 1.0
	v_mul_f64 v[6:7], v[4:5], v[2:3]
	v_add_f64 v[4:5], -v[8:9], 0
	v_mul_f64 v[8:9], v[4:5], v[2:3]
.LBB237_12:
	s_or_b64 exec, exec, s[6:7]
	s_branch .LBB237_14
.LBB237_13:
	v_mov_b32_e32 v6, 0
	v_mov_b32_e32 v7, 0x3ff00000
	v_pk_mov_b32 v[8:9], 0, 0
.LBB237_14:
	ds_write_b128 v1, v[6:9]
.LBB237_15:
	s_or_b64 exec, exec, s[28:29]
	s_lshl_b32 s16, s8, 5
	s_add_i32 s38, s38, -1
	s_sub_i32 s6, s27, s16
	s_cmp_ge_u32 s8, s38
	s_cselect_b32 s6, s6, 32
	v_cmp_gt_i32_e32 vcc, s6, v0
	s_waitcnt lgkmcnt(0)
	; wave barrier
	s_waitcnt lgkmcnt(0)
	s_and_saveexec_b64 s[6:7], vcc
	s_cbranch_execz .LBB237_58
; %bb.16:
	s_load_dwordx2 s[6:7], s[4:5], 0x60
	s_load_dword s8, s[4:5], 0x58
	v_add_u32_e32 v0, s16, v0
	s_waitcnt lgkmcnt(0)
	s_mul_i32 s5, s9, s7
	s_mul_hi_u32 s7, s9, s6
	s_mul_i32 s4, s9, s6
	s_add_i32 s5, s7, s5
	s_lshl_b64 s[4:5], s[4:5], 4
	s_add_u32 s9, s22, s4
	s_addc_u32 s17, s23, s5
	s_lshl_b64 s[6:7], s[10:11], 4
	s_add_u32 s10, s9, s6
	v_mad_i64_i32 v[0:1], s[8:9], s8, v0, 0
	s_addc_u32 s11, s17, s7
	v_lshlrev_b64 v[4:5], 4, v[0:1]
	v_mov_b32_e32 v0, s11
	v_add_co_u32_e32 v6, vcc, s10, v4
	v_addc_co_u32_e32 v7, vcc, v0, v5, vcc
	s_cmpk_eq_i32 s24, 0x6f
	s_mov_b64 s[8:9], -1
	s_cbranch_scc1 .LBB237_37
; %bb.17:
	s_add_u32 s8, s22, s6
	s_addc_u32 s9, s23, s7
	s_add_u32 s8, s8, s4
	s_addc_u32 s9, s9, s5
	v_mov_b32_e32 v0, s9
	v_add_co_u32_e32 v1, vcc, s8, v4
	v_addc_co_u32_e32 v0, vcc, v0, v5, vcc
	v_add_co_u32_e32 v8, vcc, 8, v1
	s_lshl_b32 s24, s26, 4
	s_mov_b32 s9, 0
	v_addc_co_u32_e32 v9, vcc, 0, v0, vcc
	s_add_i32 s24, s24, -16
	v_mov_b32_e32 v10, 0
	s_mov_b32 s8, s9
	s_mov_b32 s10, s33
	s_branch .LBB237_19
.LBB237_18:                             ;   in Loop: Header=BB237_19 Depth=1
	s_cmp_lt_i32 s10, 0
	s_cselect_b64 s[16:17], -1, 0
	s_add_i32 s8, s8, 1
	s_cmp_eq_u32 s8, 3
	s_cselect_b64 s[18:19], -1, 0
	s_or_b64 s[16:17], s[16:17], s[18:19]
	s_andn2_b64 vcc, exec, s[16:17]
	s_cbranch_vccz .LBB237_36
.LBB237_19:                             ; =>This Loop Header: Depth=1
                                        ;     Child Loop BB237_22 Depth 2
                                        ;       Child Loop BB237_23 Depth 3
                                        ;       Child Loop BB237_25 Depth 3
                                        ;         Child Loop BB237_26 Depth 4
                                        ;       Child Loop BB237_30 Depth 3
                                        ;         Child Loop BB237_32 Depth 4
	s_lshl_b64 s[16:17], s[8:9], 2
	s_getpc_b64 s[18:19]
	s_add_u32 s18, s18, __const._ZL30rocblas_trsm_small_left_deviceILi32ELi32ELb1E19rocblas_complex_numIdES1_PKS1_PS1_Ev13rocblas_fill_18rocblas_operation_17rocblas_diagonal_iiT3_T4_lilT5_lili.step_sizes@rel32@lo+4
	s_addc_u32 s19, s19, __const._ZL30rocblas_trsm_small_left_deviceILi32ELi32ELb1E19rocblas_complex_numIdES1_PKS1_PS1_Ev13rocblas_fill_18rocblas_operation_17rocblas_diagonal_iiT3_T4_lilT5_lili.step_sizes@rel32@hi+12
	s_add_u32 s16, s16, s18
	s_addc_u32 s17, s17, s19
	s_load_dword s25, s[16:17], 0x0
	s_waitcnt lgkmcnt(0)
	s_add_i32 s27, s25, -1
	s_cmp_lt_i32 s10, s27
	s_cbranch_scc1 .LBB237_18
; %bb.20:                               ;   in Loop: Header=BB237_19 Depth=1
	s_lshl_b32 s11, s10, 9
	s_add_i32 s29, s24, s11
	s_lshl_b32 s11, s25, 9
	s_max_i32 s28, s25, 1
	s_sub_i32 s30, 0, s11
	s_mul_i32 s31, s10, 0x210
	s_mul_i32 s34, s25, 0xfffffdf0
	s_branch .LBB237_22
.LBB237_21:                             ;   in Loop: Header=BB237_22 Depth=2
	s_sub_i32 s10, s10, s25
	s_add_i32 s29, s29, s30
	s_add_i32 s31, s31, s34
	s_cmp_lt_i32 s10, s27
	s_cbranch_scc1 .LBB237_18
.LBB237_22:                             ;   Parent Loop BB237_19 Depth=1
                                        ; =>  This Loop Header: Depth=2
                                        ;       Child Loop BB237_23 Depth 3
                                        ;       Child Loop BB237_25 Depth 3
                                        ;         Child Loop BB237_26 Depth 4
                                        ;       Child Loop BB237_30 Depth 3
                                        ;         Child Loop BB237_32 Depth 4
	s_ashr_i32 s11, s10, 31
	s_lshl_b64 s[16:17], s[10:11], 4
	v_mov_b32_e32 v1, s17
	v_add_co_u32_e32 v0, vcc, s16, v8
	v_addc_co_u32_e32 v1, vcc, v9, v1, vcc
	v_mov_b32_e32 v2, 0
	s_mov_b32 s16, s28
.LBB237_23:                             ;   Parent Loop BB237_19 Depth=1
                                        ;     Parent Loop BB237_22 Depth=2
                                        ; =>    This Inner Loop Header: Depth=3
	global_load_dwordx4 v[12:15], v[0:1], off offset:-8
	s_add_i32 s16, s16, -1
	v_add_co_u32_e32 v0, vcc, -16, v0
	v_addc_co_u32_e32 v1, vcc, -1, v1, vcc
	s_cmp_eq_u32 s16, 0
	s_waitcnt vmcnt(0)
	v_mul_f64 v[16:17], s[14:15], v[14:15]
	v_mul_f64 v[14:15], s[12:13], v[14:15]
	v_fma_f64 v[16:17], s[12:13], v[12:13], -v[16:17]
	v_fmac_f64_e32 v[14:15], s[14:15], v[12:13]
	buffer_store_dword v17, v2, s[0:3], 0 offen offset:4
	buffer_store_dword v16, v2, s[0:3], 0 offen
	buffer_store_dword v15, v2, s[0:3], 0 offen offset:12
	buffer_store_dword v14, v2, s[0:3], 0 offen offset:8
	v_add_u32_e32 v2, 16, v2
	s_cbranch_scc0 .LBB237_23
; %bb.24:                               ;   in Loop: Header=BB237_22 Depth=2
	s_cmp_le_i32 s33, s10
	s_mov_b32 s18, s29
	s_mov_b32 s16, s33
	s_cbranch_scc1 .LBB237_28
.LBB237_25:                             ;   Parent Loop BB237_19 Depth=1
                                        ;     Parent Loop BB237_22 Depth=2
                                        ; =>    This Loop Header: Depth=3
                                        ;         Child Loop BB237_26 Depth 4
	s_ashr_i32 s17, s16, 31
	s_lshl_b64 s[20:21], s[16:17], 4
	v_mov_b32_e32 v1, s21
	v_add_co_u32_e32 v0, vcc, s20, v6
	v_addc_co_u32_e32 v1, vcc, v7, v1, vcc
	global_load_dwordx4 v[0:3], v[0:1], off
	v_mov_b32_e32 v11, 0
	s_mov_b32 s17, s18
	s_mov_b32 s19, s28
.LBB237_26:                             ;   Parent Loop BB237_19 Depth=1
                                        ;     Parent Loop BB237_22 Depth=2
                                        ;       Parent Loop BB237_25 Depth=3
                                        ; =>      This Inner Loop Header: Depth=4
	buffer_load_dword v16, v11, s[0:3], 0 offen
	buffer_load_dword v17, v11, s[0:3], 0 offen offset:4
	buffer_load_dword v18, v11, s[0:3], 0 offen offset:8
	;; [unrolled: 1-line block ×3, first 2 shown]
	v_mov_b32_e32 v12, s17
	ds_read_b128 v[12:15], v12
	s_add_i32 s19, s19, -1
	s_addk_i32 s17, 0xfe00
	s_cmp_eq_u32 s19, 0
	s_waitcnt vmcnt(4) lgkmcnt(0)
	v_mul_f64 v[20:21], v[2:3], v[14:15]
	v_mul_f64 v[14:15], v[0:1], v[14:15]
	v_fma_f64 v[20:21], v[0:1], v[12:13], -v[20:21]
	v_fmac_f64_e32 v[14:15], v[2:3], v[12:13]
	s_waitcnt vmcnt(2)
	v_add_f64 v[12:13], v[16:17], -v[20:21]
	s_waitcnt vmcnt(0)
	v_add_f64 v[14:15], v[18:19], -v[14:15]
	buffer_store_dword v12, v11, s[0:3], 0 offen
	buffer_store_dword v13, v11, s[0:3], 0 offen offset:4
	buffer_store_dword v14, v11, s[0:3], 0 offen offset:8
	;; [unrolled: 1-line block ×3, first 2 shown]
	v_add_u32_e32 v11, 16, v11
	s_cbranch_scc0 .LBB237_26
; %bb.27:                               ;   in Loop: Header=BB237_25 Depth=3
	s_add_i32 s16, s16, -1
	s_add_i32 s18, s18, -16
	s_cmp_le_i32 s16, s10
	s_cbranch_scc0 .LBB237_25
.LBB237_28:                             ;   in Loop: Header=BB237_22 Depth=2
	s_mov_b32 s35, 0
	s_mov_b32 s36, s31
	s_branch .LBB237_30
.LBB237_29:                             ;   in Loop: Header=BB237_30 Depth=3
	s_mulk_i32 s18, 0x210
	v_mov_b32_e32 v11, s18
	ds_read_b128 v[12:15], v11
	s_lshl_b64 s[16:17], s[16:17], 4
	s_lshl_b32 s18, s35, 4
	s_add_i32 s35, s35, 1
	s_addk_i32 s36, 0xfe00
	s_waitcnt vmcnt(0) lgkmcnt(0)
	v_mul_f64 v[16:17], v[14:15], v[2:3]
	v_mul_f64 v[18:19], v[12:13], v[2:3]
	v_fma_f64 v[16:17], v[12:13], v[0:1], -v[16:17]
	v_fmac_f64_e32 v[18:19], v[14:15], v[0:1]
	v_mov_b32_e32 v1, s17
	v_add_co_u32_e32 v0, vcc, s16, v6
	v_add_u32_e32 v11, s18, v10
	v_addc_co_u32_e32 v1, vcc, v7, v1, vcc
	s_cmp_eq_u32 s35, s28
	buffer_store_dword v17, v11, s[0:3], 0 offen offset:4
	buffer_store_dword v16, v11, s[0:3], 0 offen
	buffer_store_dword v19, v11, s[0:3], 0 offen offset:12
	buffer_store_dword v18, v11, s[0:3], 0 offen offset:8
	global_store_dwordx4 v[0:1], v[16:19], off
	s_cbranch_scc1 .LBB237_21
.LBB237_30:                             ;   Parent Loop BB237_19 Depth=1
                                        ;     Parent Loop BB237_22 Depth=2
                                        ; =>    This Loop Header: Depth=3
                                        ;         Child Loop BB237_32 Depth 4
	s_cmp_lg_u32 s35, 0
	s_cbranch_scc0 .LBB237_34
; %bb.31:                               ;   in Loop: Header=BB237_30 Depth=3
	s_lshl_b32 s16, s35, 4
	v_add_u32_e32 v11, s16, v10
	buffer_load_dword v0, v11, s[0:3], 0 offen
	buffer_load_dword v1, v11, s[0:3], 0 offen offset:4
	buffer_load_dword v2, v11, s[0:3], 0 offen offset:8
	;; [unrolled: 1-line block ×3, first 2 shown]
	v_mov_b32_e32 v12, 0
	s_mov_b32 s16, 0
	s_mov_b32 s17, s36
.LBB237_32:                             ;   Parent Loop BB237_19 Depth=1
                                        ;     Parent Loop BB237_22 Depth=2
                                        ;       Parent Loop BB237_30 Depth=3
                                        ; =>      This Inner Loop Header: Depth=4
	buffer_load_dword v18, v12, s[0:3], 0 offen offset:8
	buffer_load_dword v19, v12, s[0:3], 0 offen offset:12
	buffer_load_dword v20, v12, s[0:3], 0 offen
	buffer_load_dword v21, v12, s[0:3], 0 offen offset:4
	v_mov_b32_e32 v13, s17
	ds_read_b128 v[14:17], v13
	s_add_i32 s16, s16, 1
	s_add_i32 s17, s17, -16
	v_add_u32_e32 v12, 16, v12
	s_cmp_ge_u32 s16, s35
	s_waitcnt vmcnt(2) lgkmcnt(0)
	v_mul_f64 v[22:23], v[16:17], v[18:19]
	v_mul_f64 v[18:19], v[14:15], v[18:19]
	s_waitcnt vmcnt(0)
	v_fma_f64 v[14:15], v[14:15], v[20:21], -v[22:23]
	v_fmac_f64_e32 v[18:19], v[16:17], v[20:21]
	v_add_f64 v[0:1], v[0:1], -v[14:15]
	v_add_f64 v[2:3], v[2:3], -v[18:19]
	buffer_store_dword v0, v11, s[0:3], 0 offen
	buffer_store_dword v1, v11, s[0:3], 0 offen offset:4
	buffer_store_dword v2, v11, s[0:3], 0 offen offset:8
	;; [unrolled: 1-line block ×3, first 2 shown]
	s_cbranch_scc0 .LBB237_32
; %bb.33:                               ;   in Loop: Header=BB237_30 Depth=3
	s_sub_i32 s18, s10, s35
	s_ashr_i32 s19, s18, 31
	s_mov_b64 s[16:17], s[18:19]
	s_branch .LBB237_29
.LBB237_34:                             ;   in Loop: Header=BB237_30 Depth=3
                                        ; implicit-def: $vgpr0_vgpr1
                                        ; implicit-def: $vgpr2_vgpr3
                                        ; implicit-def: $sgpr18
                                        ; implicit-def: $sgpr16_sgpr17
	s_cbranch_execz .LBB237_29
; %bb.35:                               ;   in Loop: Header=BB237_30 Depth=3
	buffer_load_dword v0, off, s[0:3], 0
	buffer_load_dword v1, off, s[0:3], 0 offset:4
	buffer_load_dword v2, off, s[0:3], 0 offset:8
	;; [unrolled: 1-line block ×3, first 2 shown]
	s_mov_b64 s[16:17], s[10:11]
	s_mov_b32 s18, s10
	s_branch .LBB237_29
.LBB237_36:
	s_mov_b64 s[8:9], 0
.LBB237_37:
	s_and_b64 vcc, exec, s[8:9]
	s_cbranch_vccz .LBB237_58
; %bb.38:
	s_add_u32 s6, s22, s6
	s_addc_u32 s7, s23, s7
	s_add_u32 s4, s6, s4
	s_addc_u32 s5, s7, s5
	v_mov_b32_e32 v0, s5
	v_add_co_u32_e32 v1, vcc, s4, v4
	v_addc_co_u32_e32 v0, vcc, v0, v5, vcc
	v_add_co_u32_e32 v8, vcc, 8, v1
	s_mov_b32 s5, 0
	v_addc_co_u32_e32 v9, vcc, 0, v0, vcc
	v_mov_b32_e32 v10, 0
	s_mov_b32 s6, s5
	s_mov_b32 s8, s5
	s_branch .LBB237_40
.LBB237_39:                             ;   in Loop: Header=BB237_40 Depth=1
	s_cmp_ge_i32 s6, s26
	s_cselect_b64 s[10:11], -1, 0
	s_add_i32 s8, s8, 1
	s_cmp_eq_u32 s8, 3
	s_cselect_b64 s[16:17], -1, 0
	s_or_b64 s[10:11], s[10:11], s[16:17]
	s_and_b64 vcc, exec, s[10:11]
	s_cbranch_vccnz .LBB237_58
.LBB237_40:                             ; =>This Loop Header: Depth=1
                                        ;     Child Loop BB237_43 Depth 2
                                        ;       Child Loop BB237_44 Depth 3
                                        ;       Child Loop BB237_47 Depth 3
                                        ;         Child Loop BB237_48 Depth 4
                                        ;       Child Loop BB237_52 Depth 3
                                        ;         Child Loop BB237_54 Depth 4
	s_mov_b32 s9, s5
	s_lshl_b64 s[10:11], s[8:9], 2
	s_getpc_b64 s[16:17]
	s_add_u32 s16, s16, __const._ZL30rocblas_trsm_small_left_deviceILi32ELi32ELb1E19rocblas_complex_numIdES1_PKS1_PS1_Ev13rocblas_fill_18rocblas_operation_17rocblas_diagonal_iiT3_T4_lilT5_lili.step_sizes@rel32@lo+4
	s_addc_u32 s17, s17, __const._ZL30rocblas_trsm_small_left_deviceILi32ELi32ELb1E19rocblas_complex_numIdES1_PKS1_PS1_Ev13rocblas_fill_18rocblas_operation_17rocblas_diagonal_iiT3_T4_lilT5_lili.step_sizes@rel32@hi+12
	s_add_u32 s10, s10, s16
	s_addc_u32 s11, s11, s17
	s_load_dword s10, s[10:11], 0x0
	s_waitcnt lgkmcnt(0)
	s_add_i32 s9, s10, -1
	s_add_i32 s4, s9, s6
	s_cmp_ge_i32 s4, s26
	s_cbranch_scc1 .LBB237_39
; %bb.41:                               ;   in Loop: Header=BB237_40 Depth=1
	s_ashr_i32 s7, s6, 31
	s_lshl_b64 s[16:17], s[6:7], 4
	s_ashr_i32 s11, s10, 31
	v_mov_b32_e32 v0, s17
	v_add_co_u32_e32 v4, vcc, s16, v8
	s_lshl_b64 s[16:17], s[10:11], 4
	s_max_i32 s22, s10, 1
	v_addc_co_u32_e32 v5, vcc, v9, v0, vcc
	s_lshl_b32 s7, s6, 4
	s_lshl_b32 s11, s10, 4
	s_mul_i32 s23, s6, 0x210
	s_mul_i32 s24, s10, 0x210
	v_mov_b32_e32 v11, s17
	s_branch .LBB237_43
.LBB237_42:                             ;   in Loop: Header=BB237_43 Depth=2
	s_add_i32 s6, s6, s10
	s_add_i32 s4, s9, s6
	s_add_i32 s7, s7, s11
	s_add_i32 s23, s23, s24
	v_add_co_u32_e32 v4, vcc, s16, v4
	s_cmp_ge_i32 s4, s26
	v_addc_co_u32_e32 v5, vcc, v5, v11, vcc
	s_cbranch_scc1 .LBB237_39
.LBB237_43:                             ;   Parent Loop BB237_40 Depth=1
                                        ; =>  This Loop Header: Depth=2
                                        ;       Child Loop BB237_44 Depth 3
                                        ;       Child Loop BB237_47 Depth 3
                                        ;         Child Loop BB237_48 Depth 4
                                        ;       Child Loop BB237_52 Depth 3
                                        ;         Child Loop BB237_54 Depth 4
	v_mov_b32_e32 v2, 0
	v_pk_mov_b32 v[0:1], v[4:5], v[4:5] op_sel:[0,1]
	s_mov_b32 s4, s22
.LBB237_44:                             ;   Parent Loop BB237_40 Depth=1
                                        ;     Parent Loop BB237_43 Depth=2
                                        ; =>    This Inner Loop Header: Depth=3
	global_load_dwordx4 v[12:15], v[0:1], off offset:-8
	s_add_i32 s4, s4, -1
	v_add_co_u32_e32 v0, vcc, 16, v0
	v_addc_co_u32_e32 v1, vcc, 0, v1, vcc
	s_cmp_eq_u32 s4, 0
	s_waitcnt vmcnt(0)
	v_mul_f64 v[16:17], s[14:15], v[14:15]
	v_mul_f64 v[14:15], s[12:13], v[14:15]
	v_fma_f64 v[16:17], s[12:13], v[12:13], -v[16:17]
	v_fmac_f64_e32 v[14:15], s[14:15], v[12:13]
	buffer_store_dword v17, v2, s[0:3], 0 offen offset:4
	buffer_store_dword v16, v2, s[0:3], 0 offen
	buffer_store_dword v15, v2, s[0:3], 0 offen offset:12
	buffer_store_dword v14, v2, s[0:3], 0 offen offset:8
	v_add_u32_e32 v2, 16, v2
	s_cbranch_scc0 .LBB237_44
; %bb.45:                               ;   in Loop: Header=BB237_43 Depth=2
	s_cmp_lt_i32 s6, 1
	s_cbranch_scc1 .LBB237_50
; %bb.46:                               ;   in Loop: Header=BB237_43 Depth=2
	s_mov_b32 s4, 0
	s_mov_b32 s17, s7
.LBB237_47:                             ;   Parent Loop BB237_40 Depth=1
                                        ;     Parent Loop BB237_43 Depth=2
                                        ; =>    This Loop Header: Depth=3
                                        ;         Child Loop BB237_48 Depth 4
	s_lshl_b64 s[18:19], s[4:5], 4
	v_mov_b32_e32 v1, s19
	v_add_co_u32_e32 v0, vcc, s18, v6
	v_addc_co_u32_e32 v1, vcc, v7, v1, vcc
	global_load_dwordx4 v[0:3], v[0:1], off
	v_mov_b32_e32 v12, 0
	s_mov_b32 s18, s17
	s_mov_b32 s19, s22
.LBB237_48:                             ;   Parent Loop BB237_40 Depth=1
                                        ;     Parent Loop BB237_43 Depth=2
                                        ;       Parent Loop BB237_47 Depth=3
                                        ; =>      This Inner Loop Header: Depth=4
	buffer_load_dword v18, v12, s[0:3], 0 offen
	buffer_load_dword v19, v12, s[0:3], 0 offen offset:4
	buffer_load_dword v20, v12, s[0:3], 0 offen offset:8
	buffer_load_dword v21, v12, s[0:3], 0 offen offset:12
	v_mov_b32_e32 v13, s18
	ds_read_b128 v[14:17], v13
	s_add_i32 s19, s19, -1
	s_add_i32 s18, s18, 16
	s_cmp_eq_u32 s19, 0
	s_waitcnt vmcnt(4) lgkmcnt(0)
	v_mul_f64 v[22:23], v[2:3], v[16:17]
	v_mul_f64 v[16:17], v[0:1], v[16:17]
	v_fma_f64 v[22:23], v[0:1], v[14:15], -v[22:23]
	v_fmac_f64_e32 v[16:17], v[2:3], v[14:15]
	s_waitcnt vmcnt(2)
	v_add_f64 v[14:15], v[18:19], -v[22:23]
	s_waitcnt vmcnt(0)
	v_add_f64 v[16:17], v[20:21], -v[16:17]
	buffer_store_dword v14, v12, s[0:3], 0 offen
	buffer_store_dword v15, v12, s[0:3], 0 offen offset:4
	buffer_store_dword v16, v12, s[0:3], 0 offen offset:8
	;; [unrolled: 1-line block ×3, first 2 shown]
	v_add_u32_e32 v12, 16, v12
	s_cbranch_scc0 .LBB237_48
; %bb.49:                               ;   in Loop: Header=BB237_47 Depth=3
	s_add_i32 s4, s4, 1
	s_addk_i32 s17, 0x200
	s_cmp_ge_i32 s4, s6
	s_cbranch_scc0 .LBB237_47
.LBB237_50:                             ;   in Loop: Header=BB237_43 Depth=2
	s_mov_b32 s4, 0
	s_mov_b32 s17, s23
	s_branch .LBB237_52
.LBB237_51:                             ;   in Loop: Header=BB237_52 Depth=3
	s_mul_i32 s19, s18, 0x210
	v_mov_b32_e32 v12, s19
	ds_read_b128 v[12:15], v12
	s_lshl_b32 s19, s4, 4
	v_add_u32_e32 v20, s19, v10
	s_ashr_i32 s19, s18, 31
	s_lshl_b64 s[18:19], s[18:19], 4
	s_waitcnt vmcnt(0) lgkmcnt(0)
	v_mul_f64 v[16:17], v[14:15], v[2:3]
	v_mul_f64 v[18:19], v[12:13], v[2:3]
	v_fma_f64 v[16:17], v[12:13], v[0:1], -v[16:17]
	v_fmac_f64_e32 v[18:19], v[14:15], v[0:1]
	v_mov_b32_e32 v1, s19
	v_add_co_u32_e32 v0, vcc, s18, v6
	s_add_i32 s4, s4, 1
	s_add_i32 s17, s17, 16
	v_addc_co_u32_e32 v1, vcc, v7, v1, vcc
	s_cmp_eq_u32 s4, s22
	buffer_store_dword v17, v20, s[0:3], 0 offen offset:4
	buffer_store_dword v16, v20, s[0:3], 0 offen
	buffer_store_dword v19, v20, s[0:3], 0 offen offset:12
	buffer_store_dword v18, v20, s[0:3], 0 offen offset:8
	global_store_dwordx4 v[0:1], v[16:19], off
	s_cbranch_scc1 .LBB237_42
.LBB237_52:                             ;   Parent Loop BB237_40 Depth=1
                                        ;     Parent Loop BB237_43 Depth=2
                                        ; =>    This Loop Header: Depth=3
                                        ;         Child Loop BB237_54 Depth 4
	s_cmp_lg_u32 s4, 0
	s_cbranch_scc0 .LBB237_56
; %bb.53:                               ;   in Loop: Header=BB237_52 Depth=3
	s_lshl_b32 s18, s4, 4
	v_add_u32_e32 v12, s18, v10
	buffer_load_dword v0, v12, s[0:3], 0 offen
	buffer_load_dword v1, v12, s[0:3], 0 offen offset:4
	buffer_load_dword v2, v12, s[0:3], 0 offen offset:8
	;; [unrolled: 1-line block ×3, first 2 shown]
	s_add_i32 s18, s4, s6
	v_mov_b32_e32 v13, 0
	s_mov_b32 s19, 0
	s_mov_b32 s20, s17
.LBB237_54:                             ;   Parent Loop BB237_40 Depth=1
                                        ;     Parent Loop BB237_43 Depth=2
                                        ;       Parent Loop BB237_52 Depth=3
                                        ; =>      This Inner Loop Header: Depth=4
	buffer_load_dword v18, v13, s[0:3], 0 offen offset:8
	buffer_load_dword v19, v13, s[0:3], 0 offen offset:12
	buffer_load_dword v20, v13, s[0:3], 0 offen
	buffer_load_dword v21, v13, s[0:3], 0 offen offset:4
	v_mov_b32_e32 v14, s20
	ds_read_b128 v[14:17], v14
	s_add_i32 s19, s19, 1
	s_addk_i32 s20, 0x200
	v_add_u32_e32 v13, 16, v13
	s_cmp_ge_u32 s19, s4
	s_waitcnt vmcnt(2) lgkmcnt(0)
	v_mul_f64 v[22:23], v[16:17], v[18:19]
	v_mul_f64 v[18:19], v[14:15], v[18:19]
	s_waitcnt vmcnt(0)
	v_fma_f64 v[14:15], v[14:15], v[20:21], -v[22:23]
	v_fmac_f64_e32 v[18:19], v[16:17], v[20:21]
	v_add_f64 v[0:1], v[0:1], -v[14:15]
	v_add_f64 v[2:3], v[2:3], -v[18:19]
	buffer_store_dword v0, v12, s[0:3], 0 offen
	buffer_store_dword v1, v12, s[0:3], 0 offen offset:4
	buffer_store_dword v2, v12, s[0:3], 0 offen offset:8
	;; [unrolled: 1-line block ×3, first 2 shown]
	s_cbranch_scc0 .LBB237_54
; %bb.55:                               ;   in Loop: Header=BB237_52 Depth=3
	s_branch .LBB237_51
.LBB237_56:                             ;   in Loop: Header=BB237_52 Depth=3
                                        ; implicit-def: $vgpr0_vgpr1
                                        ; implicit-def: $vgpr2_vgpr3
                                        ; implicit-def: $sgpr18
	s_cbranch_execz .LBB237_51
; %bb.57:                               ;   in Loop: Header=BB237_52 Depth=3
	buffer_load_dword v0, off, s[0:3], 0
	buffer_load_dword v1, off, s[0:3], 0 offset:4
	buffer_load_dword v2, off, s[0:3], 0 offset:8
	;; [unrolled: 1-line block ×3, first 2 shown]
	s_mov_b32 s18, s6
	s_branch .LBB237_51
.LBB237_58:
	s_endpgm
	.section	.rodata,"a",@progbits
	.p2align	6, 0x0
	.amdhsa_kernel _ZL30rocblas_trsm_small_left_deviceILi32ELi32ELb1E19rocblas_complex_numIdES1_PKS1_PS1_Ev13rocblas_fill_18rocblas_operation_17rocblas_diagonal_iiT3_T4_lilT5_lili
		.amdhsa_group_segment_fixed_size 16384
		.amdhsa_private_segment_fixed_size 528
		.amdhsa_kernarg_size 368
		.amdhsa_user_sgpr_count 8
		.amdhsa_user_sgpr_private_segment_buffer 1
		.amdhsa_user_sgpr_dispatch_ptr 0
		.amdhsa_user_sgpr_queue_ptr 0
		.amdhsa_user_sgpr_kernarg_segment_ptr 1
		.amdhsa_user_sgpr_dispatch_id 0
		.amdhsa_user_sgpr_flat_scratch_init 1
		.amdhsa_user_sgpr_kernarg_preload_length 0
		.amdhsa_user_sgpr_kernarg_preload_offset 0
		.amdhsa_user_sgpr_private_segment_size 0
		.amdhsa_uses_dynamic_stack 0
		.amdhsa_system_sgpr_private_segment_wavefront_offset 1
		.amdhsa_system_sgpr_workgroup_id_x 1
		.amdhsa_system_sgpr_workgroup_id_y 0
		.amdhsa_system_sgpr_workgroup_id_z 1
		.amdhsa_system_sgpr_workgroup_info 0
		.amdhsa_system_vgpr_workitem_id 0
		.amdhsa_next_free_vgpr 24
		.amdhsa_next_free_sgpr 42
		.amdhsa_accum_offset 24
		.amdhsa_reserve_vcc 1
		.amdhsa_reserve_flat_scratch 0
		.amdhsa_float_round_mode_32 0
		.amdhsa_float_round_mode_16_64 0
		.amdhsa_float_denorm_mode_32 3
		.amdhsa_float_denorm_mode_16_64 3
		.amdhsa_dx10_clamp 1
		.amdhsa_ieee_mode 1
		.amdhsa_fp16_overflow 0
		.amdhsa_tg_split 0
		.amdhsa_exception_fp_ieee_invalid_op 0
		.amdhsa_exception_fp_denorm_src 0
		.amdhsa_exception_fp_ieee_div_zero 0
		.amdhsa_exception_fp_ieee_overflow 0
		.amdhsa_exception_fp_ieee_underflow 0
		.amdhsa_exception_fp_ieee_inexact 0
		.amdhsa_exception_int_div_zero 0
	.end_amdhsa_kernel
	.section	.text._ZL30rocblas_trsm_small_left_deviceILi32ELi32ELb1E19rocblas_complex_numIdES1_PKS1_PS1_Ev13rocblas_fill_18rocblas_operation_17rocblas_diagonal_iiT3_T4_lilT5_lili,"axG",@progbits,_ZL30rocblas_trsm_small_left_deviceILi32ELi32ELb1E19rocblas_complex_numIdES1_PKS1_PS1_Ev13rocblas_fill_18rocblas_operation_17rocblas_diagonal_iiT3_T4_lilT5_lili,comdat
.Lfunc_end237:
	.size	_ZL30rocblas_trsm_small_left_deviceILi32ELi32ELb1E19rocblas_complex_numIdES1_PKS1_PS1_Ev13rocblas_fill_18rocblas_operation_17rocblas_diagonal_iiT3_T4_lilT5_lili, .Lfunc_end237-_ZL30rocblas_trsm_small_left_deviceILi32ELi32ELb1E19rocblas_complex_numIdES1_PKS1_PS1_Ev13rocblas_fill_18rocblas_operation_17rocblas_diagonal_iiT3_T4_lilT5_lili
                                        ; -- End function
	.section	.AMDGPU.csdata,"",@progbits
; Kernel info:
; codeLenInByte = 3256
; NumSgprs: 46
; NumVgprs: 24
; NumAgprs: 0
; TotalNumVgprs: 24
; ScratchSize: 528
; MemoryBound: 0
; FloatMode: 240
; IeeeMode: 1
; LDSByteSize: 16384 bytes/workgroup (compile time only)
; SGPRBlocks: 5
; VGPRBlocks: 2
; NumSGPRsForWavesPerEU: 46
; NumVGPRsForWavesPerEU: 24
; AccumOffset: 24
; Occupancy: 1
; WaveLimiterHint : 0
; COMPUTE_PGM_RSRC2:SCRATCH_EN: 1
; COMPUTE_PGM_RSRC2:USER_SGPR: 8
; COMPUTE_PGM_RSRC2:TRAP_HANDLER: 0
; COMPUTE_PGM_RSRC2:TGID_X_EN: 1
; COMPUTE_PGM_RSRC2:TGID_Y_EN: 0
; COMPUTE_PGM_RSRC2:TGID_Z_EN: 1
; COMPUTE_PGM_RSRC2:TIDIG_COMP_CNT: 0
; COMPUTE_PGM_RSRC3_GFX90A:ACCUM_OFFSET: 5
; COMPUTE_PGM_RSRC3_GFX90A:TG_SPLIT: 0
	.section	.text._ZL31rocblas_trsm_small_right_deviceI19rocblas_complex_numIdES1_PKS1_PS1_Li32EEv13rocblas_fill_18rocblas_operation_17rocblas_diagonal_iiT0_T1_lilT2_lili,"axG",@progbits,_ZL31rocblas_trsm_small_right_deviceI19rocblas_complex_numIdES1_PKS1_PS1_Li32EEv13rocblas_fill_18rocblas_operation_17rocblas_diagonal_iiT0_T1_lilT2_lili,comdat
	.globl	_ZL31rocblas_trsm_small_right_deviceI19rocblas_complex_numIdES1_PKS1_PS1_Li32EEv13rocblas_fill_18rocblas_operation_17rocblas_diagonal_iiT0_T1_lilT2_lili ; -- Begin function _ZL31rocblas_trsm_small_right_deviceI19rocblas_complex_numIdES1_PKS1_PS1_Li32EEv13rocblas_fill_18rocblas_operation_17rocblas_diagonal_iiT0_T1_lilT2_lili
	.p2align	8
	.type	_ZL31rocblas_trsm_small_right_deviceI19rocblas_complex_numIdES1_PKS1_PS1_Li32EEv13rocblas_fill_18rocblas_operation_17rocblas_diagonal_iiT0_T1_lilT2_lili,@function
_ZL31rocblas_trsm_small_right_deviceI19rocblas_complex_numIdES1_PKS1_PS1_Li32EEv13rocblas_fill_18rocblas_operation_17rocblas_diagonal_iiT0_T1_lilT2_lili: ; @_ZL31rocblas_trsm_small_right_deviceI19rocblas_complex_numIdES1_PKS1_PS1_Li32EEv13rocblas_fill_18rocblas_operation_17rocblas_diagonal_iiT0_T1_lilT2_lili
; %bb.0:
	s_load_dwordx4 s[16:19], s[4:5], 0x0
	s_load_dword s33, s[4:5], 0x10
	s_load_dwordx8 s[8:15], s[4:5], 0x18
	s_load_dwordx2 s[20:21], s[4:5], 0x50
	s_load_dwordx4 s[0:3], s[4:5], 0x40
	s_mov_b32 s36, 0
	s_waitcnt lgkmcnt(0)
	s_min_i32 s34, s33, 32
	s_add_i32 s35, s34, -1
	v_cmp_gt_i32_e32 vcc, s34, v0
	s_and_saveexec_b64 s[22:23], vcc
	s_cbranch_execz .LBB238_9
; %bb.1:
	s_load_dword s24, s[4:5], 0x38
	s_mul_i32 s37, s1, s7
	s_mul_hi_u32 s38, s0, s7
	s_mul_i32 s26, s0, s7
	s_waitcnt lgkmcnt(0)
	s_ashr_i32 s25, s24, 31
	s_cmpk_eq_i32 s17, 0x71
	s_cselect_b64 vcc, -1, 0
	s_cmp_lt_u32 s35, 3
	s_cbranch_scc1 .LBB238_4
; %bb.2:
	s_add_i32 s27, s38, s37
	s_and_b32 s36, s34, -4
	s_lshl_b64 s[0:1], s[26:27], 4
	s_lshl_b64 s[28:29], s[14:15], 4
	s_add_u32 s0, s0, s28
	s_addc_u32 s1, s1, s29
	s_add_u32 s0, s12, s0
	v_lshlrev_b32_e32 v2, 4, v0
	s_addc_u32 s1, s13, s1
	v_mov_b32_e32 v3, s1
	v_add_co_u32_e64 v2, s[0:1], s0, v2
	v_addc_co_u32_e64 v3, s[0:1], 0, v3, s[0:1]
	v_add_co_u32_e64 v2, s[0:1], 8, v2
	s_lshl_b64 s[28:29], s[24:25], 6
	s_lshl_b64 s[30:31], s[24:25], 4
	v_lshlrev_b32_e32 v1, 4, v0
	v_addc_co_u32_e64 v3, s[0:1], 0, v3, s[0:1]
	s_mov_b32 s27, 0
	v_mov_b32_e32 v4, s31
	v_mov_b32_e32 v5, s29
.LBB238_3:                              ; =>This Inner Loop Header: Depth=1
	v_add_co_u32_e64 v18, s[0:1], s30, v2
	v_addc_co_u32_e64 v19, s[0:1], v3, v4, s[0:1]
	v_add_co_u32_e64 v20, s[0:1], s30, v18
	global_load_dwordx4 v[6:9], v[2:3], off offset:-8
	v_addc_co_u32_e64 v21, s[0:1], v19, v4, s[0:1]
	global_load_dwordx4 v[10:13], v[18:19], off offset:-8
	global_load_dwordx4 v[14:17], v[20:21], off offset:-8
	v_add_co_u32_e64 v18, s[0:1], s30, v20
	v_addc_co_u32_e64 v19, s[0:1], v21, v4, s[0:1]
	global_load_dwordx4 v[18:21], v[18:19], off offset:-8
	s_add_i32 s27, s27, 4
	v_add_co_u32_e64 v2, s[0:1], s28, v2
	s_cmp_eq_u32 s36, s27
	v_addc_co_u32_e64 v3, s[0:1], v3, v5, s[0:1]
	s_waitcnt vmcnt(3)
	v_xor_b32_e32 v22, 0x80000000, v9
	v_cndmask_b32_e32 v9, v9, v22, vcc
	ds_write_b128 v1, v[6:9]
	s_waitcnt vmcnt(1)
	v_xor_b32_e32 v6, 0x80000000, v17
	v_xor_b32_e32 v22, 0x80000000, v13
	v_cndmask_b32_e32 v17, v17, v6, vcc
	v_cndmask_b32_e32 v13, v13, v22, vcc
	ds_write_b128 v1, v[10:13] offset:512
	s_waitcnt vmcnt(0)
	v_xor_b32_e32 v6, 0x80000000, v21
	v_cndmask_b32_e32 v21, v21, v6, vcc
	ds_write_b128 v1, v[14:17] offset:1024
	ds_write_b128 v1, v[18:21] offset:1536
	v_add_u32_e32 v1, 0x800, v1
	s_cbranch_scc0 .LBB238_3
.LBB238_4:
	s_and_b32 s28, s34, 3
	s_cmp_eq_u32 s28, 0
	s_cbranch_scc1 .LBB238_7
; %bb.5:
	s_add_i32 s27, s38, s37
	s_lshl_b64 s[0:1], s[26:27], 4
	s_mul_i32 s26, s25, s36
	s_mul_hi_u32 s27, s24, s36
	s_add_i32 s27, s27, s26
	s_mul_i32 s26, s24, s36
	s_lshl_b64 s[26:27], s[26:27], 4
	s_add_u32 s26, s0, s26
	s_addc_u32 s27, s1, s27
	s_lshl_b64 s[0:1], s[14:15], 4
	s_add_u32 s0, s26, s0
	s_addc_u32 s1, s27, s1
	s_add_u32 s0, s12, s0
	v_lshlrev_b32_e32 v2, 4, v0
	s_addc_u32 s1, s13, s1
	v_lshl_or_b32 v1, s36, 9, v2
	v_mov_b32_e32 v3, s1
	v_add_co_u32_e64 v2, s[0:1], s0, v2
	v_addc_co_u32_e64 v3, s[0:1], 0, v3, s[0:1]
	v_add_co_u32_e64 v2, s[0:1], 8, v2
	s_lshl_b64 s[12:13], s[24:25], 4
	v_addc_co_u32_e64 v3, s[0:1], 0, v3, s[0:1]
	v_mov_b32_e32 v4, s13
.LBB238_6:                              ; =>This Inner Loop Header: Depth=1
	global_load_dwordx4 v[6:9], v[2:3], off offset:-8
	v_add_co_u32_e64 v2, s[0:1], s12, v2
	s_add_i32 s28, s28, -1
	v_addc_co_u32_e64 v3, s[0:1], v3, v4, s[0:1]
	s_cmp_lg_u32 s28, 0
	s_waitcnt vmcnt(0)
	v_xor_b32_e32 v5, 0x80000000, v9
	v_cndmask_b32_e32 v9, v9, v5, vcc
	ds_write_b128 v1, v[6:9]
	v_add_u32_e32 v1, 0x200, v1
	s_cbranch_scc1 .LBB238_6
.LBB238_7:
	s_cmpk_eq_i32 s18, 0x84
	s_cbranch_scc0 .LBB238_9
; %bb.8:
	v_mul_u32_u24_e32 v1, 33, v0
	v_mov_b32_e32 v2, 0
	v_lshlrev_b32_e32 v1, 4, v1
	v_mov_b32_e32 v3, 0x3ff00000
	v_mov_b32_e32 v4, v2
	;; [unrolled: 1-line block ×3, first 2 shown]
	ds_write_b128 v1, v[2:5]
.LBB238_9:
	s_or_b64 exec, exec, s[22:23]
	s_load_dword s1, s[4:5], 0x70
	s_load_dwordx2 s[12:13], s[4:5], 0x60
	s_load_dword s0, s[4:5], 0x58
	s_mov_b32 s26, 0
	s_waitcnt lgkmcnt(0)
	s_mul_i32 s5, s7, s13
	s_mul_hi_u32 s13, s7, s12
	s_mul_i32 s4, s7, s12
	s_add_i32 s5, s13, s5
	s_lshl_b64 s[12:13], s[4:5], 4
	s_add_u32 s7, s2, s12
	s_addc_u32 s14, s3, s13
	s_lshl_b64 s[4:5], s[20:21], 4
	s_add_u32 s15, s7, s4
	s_addc_u32 s14, s14, s5
	s_lshl_b32 s7, s6, 5
	s_add_i32 s1, s1, -1
	s_sub_i32 s7, s19, s7
	s_cmp_ge_u32 s6, s1
	s_cselect_b32 s1, s7, 32
	s_ashr_i32 s7, s6, 31
	s_lshl_b64 s[6:7], s[6:7], 9
	s_add_u32 s24, s15, s6
	s_addc_u32 s25, s14, s7
	s_cmp_gt_i32 s33, 0
	v_cmp_gt_i32_e32 vcc, s1, v0
	s_cselect_b64 s[14:15], -1, 0
	s_and_b64 s[14:15], vcc, s[14:15]
	s_and_saveexec_b64 s[18:19], s[14:15]
	s_cbranch_execz .LBB238_16
; %bb.10:
	s_ashr_i32 s1, s0, 31
	s_cmp_lt_u32 s33, 4
	s_cbranch_scc1 .LBB238_13
; %bb.11:
	v_lshlrev_b32_e32 v1, 4, v0
	v_mov_b32_e32 v3, s25
	v_add_co_u32_e32 v2, vcc, s24, v1
	v_mov_b32_e32 v1, 0x4000
	s_lshl_b64 s[20:21], s[0:1], 6
	s_lshl_b64 s[22:23], s[0:1], 4
	v_addc_co_u32_e32 v3, vcc, 0, v3, vcc
	s_and_b32 s26, s33, 0x7ffffffc
	v_lshl_or_b32 v1, v0, 4, v1
	s_mov_b32 s27, 0
	v_mov_b32_e32 v4, s23
	v_mov_b32_e32 v5, s21
.LBB238_12:                             ; =>This Inner Loop Header: Depth=1
	v_add_co_u32_e32 v14, vcc, s22, v2
	v_addc_co_u32_e32 v15, vcc, v3, v4, vcc
	v_add_co_u32_e32 v18, vcc, s22, v14
	global_load_dwordx4 v[6:9], v[2:3], off
	global_load_dwordx4 v[10:13], v[14:15], off
	v_addc_co_u32_e32 v19, vcc, v15, v4, vcc
	global_load_dwordx4 v[14:17], v[18:19], off
	v_add_co_u32_e32 v18, vcc, s22, v18
	v_addc_co_u32_e32 v19, vcc, v19, v4, vcc
	global_load_dwordx4 v[18:21], v[18:19], off
	s_add_i32 s27, s27, 4
	v_add_co_u32_e32 v2, vcc, s20, v2
	s_cmp_lg_u32 s26, s27
	v_addc_co_u32_e32 v3, vcc, v3, v5, vcc
	s_waitcnt vmcnt(3)
	v_mul_f64 v[22:23], s[10:11], v[8:9]
	v_mul_f64 v[24:25], s[8:9], v[8:9]
	v_fma_f64 v[22:23], s[8:9], v[6:7], -v[22:23]
	v_fmac_f64_e32 v[24:25], s[10:11], v[6:7]
	s_waitcnt vmcnt(2)
	v_mul_f64 v[6:7], s[10:11], v[12:13]
	v_mul_f64 v[8:9], s[8:9], v[12:13]
	v_fma_f64 v[6:7], s[8:9], v[10:11], -v[6:7]
	v_fmac_f64_e32 v[8:9], s[10:11], v[10:11]
	s_waitcnt vmcnt(1)
	v_mul_f64 v[12:13], s[10:11], v[16:17]
	v_mul_f64 v[10:11], s[8:9], v[16:17]
	ds_write_b128 v1, v[6:9] offset:512
	v_fma_f64 v[8:9], s[8:9], v[14:15], -v[12:13]
	v_fmac_f64_e32 v[10:11], s[10:11], v[14:15]
	s_waitcnt vmcnt(0)
	v_mul_f64 v[6:7], s[10:11], v[20:21]
	v_mul_f64 v[12:13], s[8:9], v[20:21]
	ds_write_b128 v1, v[8:11] offset:1024
	v_fma_f64 v[10:11], s[8:9], v[18:19], -v[6:7]
	v_fmac_f64_e32 v[12:13], s[10:11], v[18:19]
	ds_write_b128 v1, v[22:25]
	ds_write_b128 v1, v[10:13] offset:1536
	v_add_u32_e32 v1, 0x800, v1
	s_cbranch_scc1 .LBB238_12
.LBB238_13:
	s_and_b32 s22, s33, 3
	s_cmp_eq_u32 s22, 0
	s_cbranch_scc1 .LBB238_16
; %bb.14:
	s_mul_hi_i32 s21, s0, s26
	s_mul_i32 s20, s0, s26
	s_lshl_b64 s[20:21], s[20:21], 4
	s_add_u32 s20, s12, s20
	s_addc_u32 s21, s13, s21
	s_add_u32 s20, s20, s6
	s_addc_u32 s21, s21, s7
	;; [unrolled: 2-line block ×3, first 2 shown]
	s_add_u32 s20, s2, s20
	v_lshlrev_b32_e32 v2, 4, v0
	s_addc_u32 s21, s3, s21
	v_lshl_or_b32 v1, s26, 9, v2
	v_mov_b32_e32 v3, s21
	v_add_co_u32_e32 v2, vcc, s20, v2
	v_addc_co_u32_e32 v3, vcc, 0, v3, vcc
	v_add_co_u32_e32 v2, vcc, 8, v2
	s_lshl_b64 s[20:21], s[0:1], 4
	v_add_u32_e32 v1, 0x4000, v1
	v_addc_co_u32_e32 v3, vcc, 0, v3, vcc
	v_mov_b32_e32 v4, s21
.LBB238_15:                             ; =>This Inner Loop Header: Depth=1
	global_load_dwordx4 v[6:9], v[2:3], off offset:-8
	s_add_i32 s22, s22, -1
	v_add_co_u32_e32 v2, vcc, s20, v2
	v_addc_co_u32_e32 v3, vcc, v3, v4, vcc
	s_cmp_lg_u32 s22, 0
	s_waitcnt vmcnt(0)
	v_mul_f64 v[12:13], s[10:11], v[8:9]
	v_mul_f64 v[10:11], s[8:9], v[8:9]
	v_fma_f64 v[8:9], s[8:9], v[6:7], -v[12:13]
	v_fmac_f64_e32 v[10:11], s[10:11], v[6:7]
	ds_write_b128 v1, v[8:11]
	v_add_u32_e32 v1, 0x200, v1
	s_cbranch_scc1 .LBB238_15
.LBB238_16:
	s_or_b64 exec, exec, s[18:19]
	s_cmpk_eq_i32 s17, 0x6f
	s_cselect_b64 s[8:9], -1, 0
	s_cmpk_eq_i32 s16, 0x79
	s_cselect_b64 s[18:19], -1, 0
	s_cmpk_lg_i32 s16, 0x79
	s_cselect_b64 s[10:11], -1, 0
	s_and_b64 s[18:19], s[18:19], s[8:9]
	s_andn2_b64 vcc, exec, s[18:19]
	s_mov_b64 s[18:19], -1
	s_waitcnt lgkmcnt(0)
	; wave barrier
	s_waitcnt lgkmcnt(0)
	s_cbranch_vccz .LBB238_124
; %bb.17:
	s_cmpk_lg_i32 s16, 0x7a
	s_cselect_b64 s[18:19], -1, 0
	s_xor_b64 s[8:9], s[8:9], -1
	s_or_b64 s[18:19], s[18:19], s[8:9]
	s_cmp_gt_i32 s33, 3
	s_mov_b64 s[16:17], -1
	s_cselect_b64 s[8:9], -1, 0
	s_and_b64 vcc, exec, s[18:19]
	s_cbranch_vccz .LBB238_91
; %bb.18:
	s_andn2_b64 vcc, exec, s[10:11]
	s_mov_b64 s[10:11], -1
	s_cbranch_vccnz .LBB238_58
; %bb.19:
	s_andn2_b64 vcc, exec, s[8:9]
	s_mov_b32 s17, 0
	s_cbranch_vccnz .LBB238_42
; %bb.20:
	v_mov_b32_e32 v1, 0x4000
	v_lshl_or_b32 v1, v0, 4, v1
	s_mov_b32 s1, 0
	s_mov_b32 s16, 0
.LBB238_21:                             ; =>This Loop Header: Depth=1
                                        ;     Child Loop BB238_23 Depth 2
	s_lshl_b32 s11, s16, 5
	v_or_b32_e32 v2, s11, v0
	s_or_b32 s18, s11, 32
	v_lshlrev_b32_e32 v14, 4, v2
	v_or_b32_e32 v2, s18, v0
	s_or_b32 s17, s11, 64
	v_lshlrev_b32_e32 v15, 4, v2
	v_or_b32_e32 v2, s17, v0
	s_lshl_b32 s10, s16, 9
	v_lshlrev_b32_e32 v16, 4, v2
	ds_read_b128 v[18:21], v14 offset:16384
	ds_read_b128 v[10:13], v15 offset:16384
	v_lshl_or_b32 v17, v0, 4, s10
	ds_read_b128 v[6:9], v16 offset:16384
	ds_read_b128 v[2:5], v17 offset:17920
	s_cmp_eq_u32 s16, 0
	s_cbranch_scc1 .LBB238_24
; %bb.22:                               ;   in Loop: Header=BB238_21 Depth=1
	s_mov_b32 s10, 0
	v_mov_b32_e32 v22, v1
	s_mov_b32 s11, s1
.LBB238_23:                             ;   Parent Loop BB238_21 Depth=1
                                        ; =>  This Inner Loop Header: Depth=2
	v_mov_b32_e32 v23, s11
	ds_read_b128 v[24:27], v22
	ds_read_b128 v[28:31], v22 offset:512
	ds_read_b128 v[32:35], v23
	ds_read_b128 v[36:39], v23 offset:16
	ds_read_b128 v[40:43], v23 offset:32
	;; [unrolled: 1-line block ×7, first 2 shown]
	s_add_i32 s10, s10, 2
	s_addk_i32 s11, 0x400
	s_waitcnt lgkmcnt(7)
	v_mul_f64 v[64:65], v[26:27], v[34:35]
	v_mul_f64 v[34:35], v[24:25], v[34:35]
	s_waitcnt lgkmcnt(6)
	v_mul_f64 v[66:67], v[26:27], v[38:39]
	v_mul_f64 v[38:39], v[24:25], v[38:39]
	;; [unrolled: 3-line block ×8, first 2 shown]
	v_fma_f64 v[64:65], v[24:25], v[32:33], -v[64:65]
	v_fmac_f64_e32 v[34:35], v[26:27], v[32:33]
	v_fma_f64 v[32:33], v[24:25], v[36:37], -v[66:67]
	v_fmac_f64_e32 v[38:39], v[26:27], v[36:37]
	;; [unrolled: 2-line block ×8, first 2 shown]
	v_add_f64 v[18:19], v[18:19], -v[64:65]
	v_add_f64 v[20:21], v[20:21], -v[34:35]
	;; [unrolled: 1-line block ×8, first 2 shown]
	v_add_u32_e32 v22, 0x400, v22
	s_cmp_ge_u32 s10, s16
	v_add_f64 v[18:19], v[18:19], -v[26:27]
	v_add_f64 v[20:21], v[20:21], -v[50:51]
	;; [unrolled: 1-line block ×8, first 2 shown]
	s_cbranch_scc0 .LBB238_23
.LBB238_24:                             ;   in Loop: Header=BB238_21 Depth=1
	s_mul_i32 s19, s16, 0x210
	v_add_u32_e32 v29, 0x4000, v14
	v_mov_b32_e32 v14, s19
	ds_read_b128 v[22:25], v14
	v_add_u32_e32 v28, 0x4000, v15
	v_add_u32_e32 v27, 0x4000, v16
	;; [unrolled: 1-line block ×3, first 2 shown]
	s_waitcnt lgkmcnt(0)
	v_xor_b32_e32 v15, 0x80000000, v23
	v_cmp_gt_f64_e32 vcc, 0, v[22:23]
	v_xor_b32_e32 v16, 0x80000000, v25
	v_cndmask_b32_e32 v15, v23, v15, vcc
	v_cmp_gt_f64_e32 vcc, 0, v[24:25]
	v_mov_b32_e32 v14, v22
	v_cndmask_b32_e32 v17, v25, v16, vcc
	v_mov_b32_e32 v16, v24
	v_cmp_ngt_f64_e32 vcc, v[14:15], v[16:17]
	s_cbranch_vccz .LBB238_26
; %bb.25:                               ;   in Loop: Header=BB238_21 Depth=1
	v_div_scale_f64 v[14:15], s[10:11], v[24:25], v[24:25], v[22:23]
	v_rcp_f64_e32 v[16:17], v[14:15]
	v_div_scale_f64 v[30:31], vcc, v[22:23], v[24:25], v[22:23]
	v_fma_f64 v[32:33], -v[14:15], v[16:17], 1.0
	v_fmac_f64_e32 v[16:17], v[16:17], v[32:33]
	v_fma_f64 v[32:33], -v[14:15], v[16:17], 1.0
	v_fmac_f64_e32 v[16:17], v[16:17], v[32:33]
	v_mul_f64 v[32:33], v[30:31], v[16:17]
	v_fma_f64 v[14:15], -v[14:15], v[32:33], v[30:31]
	v_div_fmas_f64 v[14:15], v[14:15], v[16:17], v[32:33]
	v_div_fixup_f64 v[16:17], v[14:15], v[24:25], v[22:23]
	v_fma_f64 v[14:15], v[22:23], v[16:17], v[24:25]
	v_div_scale_f64 v[30:31], s[10:11], v[14:15], v[14:15], 1.0
	v_rcp_f64_e32 v[32:33], v[30:31]
	v_fma_f64 v[34:35], -v[30:31], v[32:33], 1.0
	v_fmac_f64_e32 v[32:33], v[32:33], v[34:35]
	v_fma_f64 v[34:35], -v[30:31], v[32:33], 1.0
	v_fmac_f64_e32 v[32:33], v[32:33], v[34:35]
	v_div_scale_f64 v[34:35], vcc, 1.0, v[14:15], 1.0
	v_mul_f64 v[36:37], v[34:35], v[32:33]
	v_fma_f64 v[30:31], -v[30:31], v[36:37], v[34:35]
	s_nop 1
	v_div_fmas_f64 v[30:31], v[30:31], v[32:33], v[36:37]
	v_div_fixup_f64 v[30:31], v[30:31], v[14:15], 1.0
	v_fma_f64 v[14:15], v[18:19], v[16:17], v[20:21]
	v_fma_f64 v[16:17], v[20:21], v[16:17], -v[18:19]
	v_mul_f64 v[14:15], v[14:15], v[30:31]
	v_mul_f64 v[16:17], v[16:17], v[30:31]
	s_cbranch_execz .LBB238_27
	s_branch .LBB238_28
.LBB238_26:                             ;   in Loop: Header=BB238_21 Depth=1
                                        ; implicit-def: $vgpr16_vgpr17
.LBB238_27:                             ;   in Loop: Header=BB238_21 Depth=1
	v_div_scale_f64 v[14:15], s[10:11], v[22:23], v[22:23], v[24:25]
	v_rcp_f64_e32 v[16:17], v[14:15]
	v_div_scale_f64 v[30:31], vcc, v[24:25], v[22:23], v[24:25]
	v_fma_f64 v[32:33], -v[14:15], v[16:17], 1.0
	v_fmac_f64_e32 v[16:17], v[16:17], v[32:33]
	v_fma_f64 v[32:33], -v[14:15], v[16:17], 1.0
	v_fmac_f64_e32 v[16:17], v[16:17], v[32:33]
	v_mul_f64 v[32:33], v[30:31], v[16:17]
	v_fma_f64 v[14:15], -v[14:15], v[32:33], v[30:31]
	v_div_fmas_f64 v[14:15], v[14:15], v[16:17], v[32:33]
	v_div_fixup_f64 v[16:17], v[14:15], v[22:23], v[24:25]
	v_fmac_f64_e32 v[22:23], v[24:25], v[16:17]
	v_div_scale_f64 v[14:15], s[10:11], v[22:23], v[22:23], 1.0
	v_rcp_f64_e32 v[24:25], v[14:15]
	v_fma_f64 v[30:31], -v[14:15], v[24:25], 1.0
	v_fmac_f64_e32 v[24:25], v[24:25], v[30:31]
	v_fma_f64 v[30:31], -v[14:15], v[24:25], 1.0
	v_fmac_f64_e32 v[24:25], v[24:25], v[30:31]
	v_div_scale_f64 v[30:31], vcc, 1.0, v[22:23], 1.0
	v_mul_f64 v[32:33], v[30:31], v[24:25]
	v_fma_f64 v[14:15], -v[14:15], v[32:33], v[30:31]
	s_nop 1
	v_div_fmas_f64 v[14:15], v[14:15], v[24:25], v[32:33]
	v_div_fixup_f64 v[22:23], v[14:15], v[22:23], 1.0
	v_fma_f64 v[14:15], v[20:21], v[16:17], v[18:19]
	v_fma_f64 v[16:17], -v[18:19], v[16:17], v[20:21]
	v_mul_f64 v[14:15], v[14:15], v[22:23]
	v_mul_f64 v[16:17], v[16:17], v[22:23]
.LBB238_28:                             ;   in Loop: Header=BB238_21 Depth=1
	v_mov_b32_e32 v18, s19
	ds_read_b128 v[22:25], v18 offset:16
	ds_read_b128 v[18:21], v18 offset:528
	ds_write_b128 v29, v[14:17]
	s_waitcnt lgkmcnt(2)
	v_mul_f64 v[30:31], v[16:17], v[24:25]
	v_mul_f64 v[24:25], v[14:15], v[24:25]
	v_fma_f64 v[30:31], v[14:15], v[22:23], -v[30:31]
	v_fmac_f64_e32 v[24:25], v[16:17], v[22:23]
	v_add_f64 v[22:23], v[10:11], -v[30:31]
	s_waitcnt lgkmcnt(1)
	v_xor_b32_e32 v10, 0x80000000, v19
	v_cmp_gt_f64_e32 vcc, 0, v[18:19]
	v_add_f64 v[24:25], v[12:13], -v[24:25]
	v_cndmask_b32_e32 v11, v19, v10, vcc
	v_xor_b32_e32 v12, 0x80000000, v21
	v_cmp_gt_f64_e32 vcc, 0, v[20:21]
	v_mov_b32_e32 v10, v18
	v_cndmask_b32_e32 v13, v21, v12, vcc
	v_mov_b32_e32 v12, v20
	v_cmp_ngt_f64_e32 vcc, v[10:11], v[12:13]
	s_cbranch_vccz .LBB238_30
; %bb.29:                               ;   in Loop: Header=BB238_21 Depth=1
	v_div_scale_f64 v[10:11], s[10:11], v[20:21], v[20:21], v[18:19]
	v_rcp_f64_e32 v[12:13], v[10:11]
	v_div_scale_f64 v[30:31], vcc, v[18:19], v[20:21], v[18:19]
	v_fma_f64 v[32:33], -v[10:11], v[12:13], 1.0
	v_fmac_f64_e32 v[12:13], v[12:13], v[32:33]
	v_fma_f64 v[32:33], -v[10:11], v[12:13], 1.0
	v_fmac_f64_e32 v[12:13], v[12:13], v[32:33]
	v_mul_f64 v[32:33], v[30:31], v[12:13]
	v_fma_f64 v[10:11], -v[10:11], v[32:33], v[30:31]
	v_div_fmas_f64 v[10:11], v[10:11], v[12:13], v[32:33]
	v_div_fixup_f64 v[12:13], v[10:11], v[20:21], v[18:19]
	v_fma_f64 v[10:11], v[18:19], v[12:13], v[20:21]
	v_div_scale_f64 v[30:31], s[10:11], v[10:11], v[10:11], 1.0
	v_rcp_f64_e32 v[32:33], v[30:31]
	v_fma_f64 v[34:35], -v[30:31], v[32:33], 1.0
	v_fmac_f64_e32 v[32:33], v[32:33], v[34:35]
	v_fma_f64 v[34:35], -v[30:31], v[32:33], 1.0
	v_fmac_f64_e32 v[32:33], v[32:33], v[34:35]
	v_div_scale_f64 v[34:35], vcc, 1.0, v[10:11], 1.0
	v_mul_f64 v[36:37], v[34:35], v[32:33]
	v_fma_f64 v[30:31], -v[30:31], v[36:37], v[34:35]
	s_nop 1
	v_div_fmas_f64 v[30:31], v[30:31], v[32:33], v[36:37]
	v_div_fixup_f64 v[30:31], v[30:31], v[10:11], 1.0
	v_fma_f64 v[10:11], v[12:13], v[22:23], v[24:25]
	v_fma_f64 v[12:13], v[12:13], v[24:25], -v[22:23]
	v_mul_f64 v[10:11], v[10:11], v[30:31]
	v_mul_f64 v[12:13], v[12:13], v[30:31]
	s_cbranch_execz .LBB238_31
	s_branch .LBB238_32
.LBB238_30:                             ;   in Loop: Header=BB238_21 Depth=1
                                        ; implicit-def: $vgpr12_vgpr13
.LBB238_31:                             ;   in Loop: Header=BB238_21 Depth=1
	v_div_scale_f64 v[10:11], s[10:11], v[18:19], v[18:19], v[20:21]
	v_rcp_f64_e32 v[12:13], v[10:11]
	v_div_scale_f64 v[30:31], vcc, v[20:21], v[18:19], v[20:21]
	v_fma_f64 v[32:33], -v[10:11], v[12:13], 1.0
	v_fmac_f64_e32 v[12:13], v[12:13], v[32:33]
	v_fma_f64 v[32:33], -v[10:11], v[12:13], 1.0
	v_fmac_f64_e32 v[12:13], v[12:13], v[32:33]
	v_mul_f64 v[32:33], v[30:31], v[12:13]
	v_fma_f64 v[10:11], -v[10:11], v[32:33], v[30:31]
	v_div_fmas_f64 v[10:11], v[10:11], v[12:13], v[32:33]
	v_div_fixup_f64 v[12:13], v[10:11], v[18:19], v[20:21]
	v_fmac_f64_e32 v[18:19], v[20:21], v[12:13]
	v_div_scale_f64 v[10:11], s[10:11], v[18:19], v[18:19], 1.0
	v_rcp_f64_e32 v[20:21], v[10:11]
	v_fma_f64 v[30:31], -v[10:11], v[20:21], 1.0
	v_fmac_f64_e32 v[20:21], v[20:21], v[30:31]
	v_fma_f64 v[30:31], -v[10:11], v[20:21], 1.0
	v_fmac_f64_e32 v[20:21], v[20:21], v[30:31]
	v_div_scale_f64 v[30:31], vcc, 1.0, v[18:19], 1.0
	v_mul_f64 v[32:33], v[30:31], v[20:21]
	v_fma_f64 v[10:11], -v[10:11], v[32:33], v[30:31]
	s_nop 1
	v_div_fmas_f64 v[10:11], v[10:11], v[20:21], v[32:33]
	v_div_fixup_f64 v[18:19], v[10:11], v[18:19], 1.0
	v_fma_f64 v[10:11], v[12:13], v[24:25], v[22:23]
	v_fma_f64 v[12:13], -v[12:13], v[22:23], v[24:25]
	v_mul_f64 v[10:11], v[10:11], v[18:19]
	v_mul_f64 v[12:13], v[12:13], v[18:19]
.LBB238_32:                             ;   in Loop: Header=BB238_21 Depth=1
	v_mov_b32_e32 v18, s19
	ds_read_b128 v[22:25], v18 offset:32
	s_add_i32 s18, s18, s16
	ds_write_b128 v28, v[10:13]
	s_lshl_b32 s18, s18, 4
	ds_read_b128 v[18:21], v18 offset:1056
	s_waitcnt lgkmcnt(2)
	v_mul_f64 v[28:29], v[16:17], v[24:25]
	v_fma_f64 v[32:33], v[14:15], v[22:23], -v[28:29]
	v_mov_b32_e32 v28, s18
	ds_read_b128 v[28:31], v28 offset:32
	v_mul_f64 v[24:25], v[14:15], v[24:25]
	v_fmac_f64_e32 v[24:25], v[16:17], v[22:23]
	v_add_f64 v[6:7], v[6:7], -v[32:33]
	v_add_f64 v[8:9], v[8:9], -v[24:25]
	s_waitcnt lgkmcnt(0)
	v_mul_f64 v[22:23], v[12:13], v[30:31]
	v_fma_f64 v[22:23], v[10:11], v[28:29], -v[22:23]
	v_mul_f64 v[24:25], v[10:11], v[30:31]
	v_fmac_f64_e32 v[24:25], v[12:13], v[28:29]
	v_add_f64 v[6:7], v[6:7], -v[22:23]
	v_xor_b32_e32 v22, 0x80000000, v19
	v_cmp_gt_f64_e32 vcc, 0, v[18:19]
	v_add_f64 v[8:9], v[8:9], -v[24:25]
	v_cndmask_b32_e32 v23, v19, v22, vcc
	v_xor_b32_e32 v24, 0x80000000, v21
	v_cmp_gt_f64_e32 vcc, 0, v[20:21]
	v_mov_b32_e32 v22, v18
	v_cndmask_b32_e32 v25, v21, v24, vcc
	v_mov_b32_e32 v24, v20
	v_cmp_ngt_f64_e32 vcc, v[22:23], v[24:25]
	s_cbranch_vccz .LBB238_34
; %bb.33:                               ;   in Loop: Header=BB238_21 Depth=1
	v_div_scale_f64 v[22:23], s[10:11], v[20:21], v[20:21], v[18:19]
	v_rcp_f64_e32 v[24:25], v[22:23]
	v_div_scale_f64 v[28:29], vcc, v[18:19], v[20:21], v[18:19]
	v_fma_f64 v[30:31], -v[22:23], v[24:25], 1.0
	v_fmac_f64_e32 v[24:25], v[24:25], v[30:31]
	v_fma_f64 v[30:31], -v[22:23], v[24:25], 1.0
	v_fmac_f64_e32 v[24:25], v[24:25], v[30:31]
	v_mul_f64 v[30:31], v[28:29], v[24:25]
	v_fma_f64 v[22:23], -v[22:23], v[30:31], v[28:29]
	v_div_fmas_f64 v[22:23], v[22:23], v[24:25], v[30:31]
	v_div_fixup_f64 v[24:25], v[22:23], v[20:21], v[18:19]
	v_fma_f64 v[22:23], v[18:19], v[24:25], v[20:21]
	v_div_scale_f64 v[28:29], s[10:11], v[22:23], v[22:23], 1.0
	v_rcp_f64_e32 v[30:31], v[28:29]
	v_fma_f64 v[32:33], -v[28:29], v[30:31], 1.0
	v_fmac_f64_e32 v[30:31], v[30:31], v[32:33]
	v_fma_f64 v[32:33], -v[28:29], v[30:31], 1.0
	v_fmac_f64_e32 v[30:31], v[30:31], v[32:33]
	v_div_scale_f64 v[32:33], vcc, 1.0, v[22:23], 1.0
	v_mul_f64 v[34:35], v[32:33], v[30:31]
	v_fma_f64 v[28:29], -v[28:29], v[34:35], v[32:33]
	s_nop 1
	v_div_fmas_f64 v[28:29], v[28:29], v[30:31], v[34:35]
	v_div_fixup_f64 v[28:29], v[28:29], v[22:23], 1.0
	v_fma_f64 v[22:23], v[24:25], v[6:7], v[8:9]
	v_fma_f64 v[24:25], v[24:25], v[8:9], -v[6:7]
	v_mul_f64 v[22:23], v[22:23], v[28:29]
	v_mul_f64 v[24:25], v[24:25], v[28:29]
	s_cbranch_execz .LBB238_35
	s_branch .LBB238_36
.LBB238_34:                             ;   in Loop: Header=BB238_21 Depth=1
                                        ; implicit-def: $vgpr24_vgpr25
.LBB238_35:                             ;   in Loop: Header=BB238_21 Depth=1
	v_div_scale_f64 v[22:23], s[10:11], v[18:19], v[18:19], v[20:21]
	v_rcp_f64_e32 v[24:25], v[22:23]
	v_div_scale_f64 v[28:29], vcc, v[20:21], v[18:19], v[20:21]
	v_fma_f64 v[30:31], -v[22:23], v[24:25], 1.0
	v_fmac_f64_e32 v[24:25], v[24:25], v[30:31]
	v_fma_f64 v[30:31], -v[22:23], v[24:25], 1.0
	v_fmac_f64_e32 v[24:25], v[24:25], v[30:31]
	v_mul_f64 v[30:31], v[28:29], v[24:25]
	v_fma_f64 v[22:23], -v[22:23], v[30:31], v[28:29]
	v_div_fmas_f64 v[22:23], v[22:23], v[24:25], v[30:31]
	v_div_fixup_f64 v[24:25], v[22:23], v[18:19], v[20:21]
	v_fmac_f64_e32 v[18:19], v[20:21], v[24:25]
	v_div_scale_f64 v[20:21], s[10:11], v[18:19], v[18:19], 1.0
	v_rcp_f64_e32 v[22:23], v[20:21]
	v_fma_f64 v[28:29], -v[20:21], v[22:23], 1.0
	v_fmac_f64_e32 v[22:23], v[22:23], v[28:29]
	v_fma_f64 v[28:29], -v[20:21], v[22:23], 1.0
	v_fmac_f64_e32 v[22:23], v[22:23], v[28:29]
	v_div_scale_f64 v[28:29], vcc, 1.0, v[18:19], 1.0
	v_mul_f64 v[30:31], v[28:29], v[22:23]
	v_fma_f64 v[20:21], -v[20:21], v[30:31], v[28:29]
	s_nop 1
	v_div_fmas_f64 v[20:21], v[20:21], v[22:23], v[30:31]
	v_div_fixup_f64 v[18:19], v[20:21], v[18:19], 1.0
	v_fma_f64 v[20:21], v[24:25], v[8:9], v[6:7]
	v_fma_f64 v[6:7], -v[24:25], v[6:7], v[8:9]
	v_mul_f64 v[22:23], v[20:21], v[18:19]
	v_mul_f64 v[24:25], v[6:7], v[18:19]
.LBB238_36:                             ;   in Loop: Header=BB238_21 Depth=1
	v_mov_b32_e32 v6, s19
	ds_read_b128 v[18:21], v6 offset:48
	s_add_i32 s17, s17, s16
	s_lshl_b32 s10, s17, 4
	ds_read_b128 v[6:9], v6 offset:1584
	ds_write_b128 v27, v[22:25]
	s_waitcnt lgkmcnt(2)
	v_mul_f64 v[28:29], v[16:17], v[20:21]
	v_mul_f64 v[20:21], v[14:15], v[20:21]
	v_fma_f64 v[14:15], v[14:15], v[18:19], -v[28:29]
	v_fmac_f64_e32 v[20:21], v[16:17], v[18:19]
	v_add_f64 v[18:19], v[2:3], -v[14:15]
	v_mov_b32_e32 v2, s18
	v_add_f64 v[20:21], v[4:5], -v[20:21]
	ds_read_b128 v[2:5], v2 offset:48
	v_mov_b32_e32 v14, s10
	ds_read_b128 v[14:17], v14 offset:48
	s_waitcnt lgkmcnt(3)
	v_cmp_gt_f64_e32 vcc, 0, v[6:7]
	s_waitcnt lgkmcnt(1)
	v_mul_f64 v[28:29], v[12:13], v[4:5]
	v_fma_f64 v[28:29], v[10:11], v[2:3], -v[28:29]
	v_mul_f64 v[4:5], v[10:11], v[4:5]
	s_waitcnt lgkmcnt(0)
	v_mul_f64 v[10:11], v[24:25], v[16:17]
	v_fmac_f64_e32 v[4:5], v[12:13], v[2:3]
	v_add_f64 v[2:3], v[18:19], -v[28:29]
	v_fma_f64 v[10:11], v[22:23], v[14:15], -v[10:11]
	v_mul_f64 v[12:13], v[22:23], v[16:17]
	v_add_f64 v[4:5], v[20:21], -v[4:5]
	v_fmac_f64_e32 v[12:13], v[24:25], v[14:15]
	v_add_f64 v[10:11], v[2:3], -v[10:11]
	v_xor_b32_e32 v2, 0x80000000, v7
	v_add_f64 v[12:13], v[4:5], -v[12:13]
	v_cndmask_b32_e32 v3, v7, v2, vcc
	v_xor_b32_e32 v4, 0x80000000, v9
	v_cmp_gt_f64_e32 vcc, 0, v[8:9]
	v_mov_b32_e32 v2, v6
	v_cndmask_b32_e32 v5, v9, v4, vcc
	v_mov_b32_e32 v4, v8
	v_cmp_ngt_f64_e32 vcc, v[2:3], v[4:5]
	s_cbranch_vccz .LBB238_38
; %bb.37:                               ;   in Loop: Header=BB238_21 Depth=1
	v_div_scale_f64 v[2:3], s[10:11], v[8:9], v[8:9], v[6:7]
	v_rcp_f64_e32 v[4:5], v[2:3]
	v_div_scale_f64 v[14:15], vcc, v[6:7], v[8:9], v[6:7]
	v_fma_f64 v[16:17], -v[2:3], v[4:5], 1.0
	v_fmac_f64_e32 v[4:5], v[4:5], v[16:17]
	v_fma_f64 v[16:17], -v[2:3], v[4:5], 1.0
	v_fmac_f64_e32 v[4:5], v[4:5], v[16:17]
	v_mul_f64 v[16:17], v[14:15], v[4:5]
	v_fma_f64 v[2:3], -v[2:3], v[16:17], v[14:15]
	v_div_fmas_f64 v[2:3], v[2:3], v[4:5], v[16:17]
	v_div_fixup_f64 v[4:5], v[2:3], v[8:9], v[6:7]
	v_fma_f64 v[2:3], v[6:7], v[4:5], v[8:9]
	v_div_scale_f64 v[14:15], s[10:11], v[2:3], v[2:3], 1.0
	v_rcp_f64_e32 v[16:17], v[14:15]
	v_fma_f64 v[18:19], -v[14:15], v[16:17], 1.0
	v_fmac_f64_e32 v[16:17], v[16:17], v[18:19]
	v_fma_f64 v[18:19], -v[14:15], v[16:17], 1.0
	v_fmac_f64_e32 v[16:17], v[16:17], v[18:19]
	v_div_scale_f64 v[18:19], vcc, 1.0, v[2:3], 1.0
	v_mul_f64 v[20:21], v[18:19], v[16:17]
	v_fma_f64 v[14:15], -v[14:15], v[20:21], v[18:19]
	s_nop 1
	v_div_fmas_f64 v[14:15], v[14:15], v[16:17], v[20:21]
	v_div_fixup_f64 v[14:15], v[14:15], v[2:3], 1.0
	v_fma_f64 v[2:3], v[4:5], v[10:11], v[12:13]
	v_fma_f64 v[4:5], v[4:5], v[12:13], -v[10:11]
	v_mul_f64 v[2:3], v[2:3], v[14:15]
	v_mul_f64 v[4:5], v[4:5], v[14:15]
	s_cbranch_execz .LBB238_39
	s_branch .LBB238_40
.LBB238_38:                             ;   in Loop: Header=BB238_21 Depth=1
                                        ; implicit-def: $vgpr4_vgpr5
.LBB238_39:                             ;   in Loop: Header=BB238_21 Depth=1
	v_div_scale_f64 v[2:3], s[10:11], v[6:7], v[6:7], v[8:9]
	v_rcp_f64_e32 v[4:5], v[2:3]
	v_div_scale_f64 v[14:15], vcc, v[8:9], v[6:7], v[8:9]
	v_fma_f64 v[16:17], -v[2:3], v[4:5], 1.0
	v_fmac_f64_e32 v[4:5], v[4:5], v[16:17]
	v_fma_f64 v[16:17], -v[2:3], v[4:5], 1.0
	v_fmac_f64_e32 v[4:5], v[4:5], v[16:17]
	v_mul_f64 v[16:17], v[14:15], v[4:5]
	v_fma_f64 v[2:3], -v[2:3], v[16:17], v[14:15]
	v_div_fmas_f64 v[2:3], v[2:3], v[4:5], v[16:17]
	v_div_fixup_f64 v[4:5], v[2:3], v[6:7], v[8:9]
	v_fmac_f64_e32 v[6:7], v[8:9], v[4:5]
	v_div_scale_f64 v[2:3], s[10:11], v[6:7], v[6:7], 1.0
	v_rcp_f64_e32 v[8:9], v[2:3]
	v_fma_f64 v[14:15], -v[2:3], v[8:9], 1.0
	v_fmac_f64_e32 v[8:9], v[8:9], v[14:15]
	v_fma_f64 v[14:15], -v[2:3], v[8:9], 1.0
	v_fmac_f64_e32 v[8:9], v[8:9], v[14:15]
	v_div_scale_f64 v[14:15], vcc, 1.0, v[6:7], 1.0
	v_mul_f64 v[16:17], v[14:15], v[8:9]
	v_fma_f64 v[2:3], -v[2:3], v[16:17], v[14:15]
	s_nop 1
	v_div_fmas_f64 v[2:3], v[2:3], v[8:9], v[16:17]
	v_div_fixup_f64 v[6:7], v[2:3], v[6:7], 1.0
	v_fma_f64 v[2:3], v[4:5], v[12:13], v[10:11]
	v_fma_f64 v[4:5], -v[4:5], v[10:11], v[12:13]
	v_mul_f64 v[2:3], v[2:3], v[6:7]
	v_mul_f64 v[4:5], v[4:5], v[6:7]
.LBB238_40:                             ;   in Loop: Header=BB238_21 Depth=1
	s_add_i32 s17, s16, 4
	s_add_i32 s10, s16, 7
	s_add_i32 s1, s1, 64
	s_cmp_ge_i32 s10, s34
	ds_write_b128 v26, v[2:5]
	s_cbranch_scc1 .LBB238_42
; %bb.41:                               ;   in Loop: Header=BB238_21 Depth=1
	s_mov_b32 s16, s17
	s_branch .LBB238_21
.LBB238_42:
	s_cmp_ge_i32 s17, s34
	s_cbranch_scc1 .LBB238_57
; %bb.43:
	v_mov_b32_e32 v1, 0x4000
	s_add_i32 s1, s17, -1
	v_lshl_or_b32 v1, v0, 4, v1
	s_lshl_b32 s16, s17, 4
	s_mov_b32 s18, 0
	v_lshlrev_b32_e32 v14, 4, v0
	s_mov_b32 s19, s17
	s_branch .LBB238_45
.LBB238_44:                             ;   in Loop: Header=BB238_45 Depth=1
	s_add_i32 s17, s17, 1
	s_add_i32 s18, s18, 1
	;; [unrolled: 1-line block ×3, first 2 shown]
	v_add_u16_e64 v2, s19, 1
	s_cmp_ge_i32 s17, s34
	v_readfirstlane_b32 s19, v2
	ds_write_b128 v15, v[10:13]
	s_cbranch_scc1 .LBB238_57
.LBB238_45:                             ; =>This Loop Header: Depth=1
                                        ;     Child Loop BB238_48 Depth 2
                                        ;     Child Loop BB238_52 Depth 2
	v_lshl_or_b32 v6, s17, 9, v14
	ds_read_b128 v[2:5], v6 offset:16384
	s_cmp_eq_u32 s17, 0
	s_cbranch_scc1 .LBB238_53
; %bb.46:                               ;   in Loop: Header=BB238_45 Depth=1
	s_add_i32 s10, s1, s18
	s_cmp_lt_u32 s10, 7
	s_cbranch_scc1 .LBB238_50
; %bb.47:                               ;   in Loop: Header=BB238_45 Depth=1
	s_and_b32 s10, s17, -8
	s_mov_b32 s11, 0
	s_mov_b32 s20, s16
	v_mov_b32_e32 v7, v1
.LBB238_48:                             ;   Parent Loop BB238_45 Depth=1
                                        ; =>  This Inner Loop Header: Depth=2
	v_mov_b32_e32 v12, s20
	ds_read_b128 v[8:11], v7
	ds_read_b128 v[16:19], v7 offset:512
	ds_read_b128 v[20:23], v7 offset:1024
	;; [unrolled: 1-line block ×7, first 2 shown]
	ds_read_b128 v[44:47], v12
	ds_read_b128 v[48:51], v12 offset:512
	ds_read_b128 v[52:55], v12 offset:1024
	;; [unrolled: 1-line block ×7, first 2 shown]
	s_waitcnt lgkmcnt(7)
	v_mul_f64 v[12:13], v[46:47], v[10:11]
	v_mul_f64 v[10:11], v[44:45], v[10:11]
	s_waitcnt lgkmcnt(6)
	v_mul_f64 v[76:77], v[50:51], v[18:19]
	v_mul_f64 v[18:19], v[48:49], v[18:19]
	v_fma_f64 v[12:13], v[44:45], v[8:9], -v[12:13]
	v_fmac_f64_e32 v[10:11], v[46:47], v[8:9]
	s_waitcnt lgkmcnt(5)
	v_mul_f64 v[78:79], v[54:55], v[22:23]
	v_mul_f64 v[22:23], v[52:53], v[22:23]
	v_fma_f64 v[8:9], v[48:49], v[16:17], -v[76:77]
	v_fmac_f64_e32 v[18:19], v[50:51], v[16:17]
	v_add_f64 v[2:3], v[2:3], -v[12:13]
	v_add_f64 v[4:5], v[4:5], -v[10:11]
	s_waitcnt lgkmcnt(4)
	v_mul_f64 v[80:81], v[58:59], v[26:27]
	v_mul_f64 v[26:27], v[56:57], v[26:27]
	v_fma_f64 v[16:17], v[52:53], v[20:21], -v[78:79]
	v_fmac_f64_e32 v[22:23], v[54:55], v[20:21]
	v_add_f64 v[2:3], v[2:3], -v[8:9]
	v_add_f64 v[4:5], v[4:5], -v[18:19]
	;; [unrolled: 7-line block ×6, first 2 shown]
	s_add_i32 s11, s11, 8
	s_addk_i32 s20, 0x1000
	v_fma_f64 v[36:37], v[72:73], v[40:41], -v[88:89]
	v_fmac_f64_e32 v[42:43], v[74:75], v[40:41]
	v_add_f64 v[2:3], v[2:3], -v[32:33]
	v_add_f64 v[4:5], v[4:5], -v[38:39]
	v_add_u32_e32 v7, 0x1000, v7
	s_cmp_eq_u32 s10, s11
	v_add_f64 v[2:3], v[2:3], -v[36:37]
	v_add_f64 v[4:5], v[4:5], -v[42:43]
	s_cbranch_scc0 .LBB238_48
; %bb.49:                               ;   in Loop: Header=BB238_45 Depth=1
	s_and_b32 s11, s17, 7
	s_cmp_eq_u32 s11, 0
	s_cbranch_scc0 .LBB238_51
	s_branch .LBB238_53
.LBB238_50:                             ;   in Loop: Header=BB238_45 Depth=1
	s_mov_b32 s10, 0
	s_and_b32 s11, s17, 7
	s_cmp_eq_u32 s11, 0
	s_cbranch_scc1 .LBB238_53
.LBB238_51:                             ;   in Loop: Header=BB238_45 Depth=1
	s_and_b32 s11, s19, 7
	s_lshl_b32 s10, s10, 9
.LBB238_52:                             ;   Parent Loop BB238_45 Depth=1
                                        ; =>  This Inner Loop Header: Depth=2
	v_add_u32_e32 v7, s10, v1
	s_add_i32 s20, s16, s10
	v_mov_b32_e32 v12, s20
	ds_read_b128 v[8:11], v7
	ds_read_b128 v[16:19], v12
	s_add_i32 s11, s11, -1
	s_addk_i32 s10, 0x200
	s_cmp_lg_u32 s11, 0
	s_waitcnt lgkmcnt(0)
	v_mul_f64 v[12:13], v[18:19], v[10:11]
	v_mul_f64 v[10:11], v[16:17], v[10:11]
	v_fma_f64 v[12:13], v[16:17], v[8:9], -v[12:13]
	v_fmac_f64_e32 v[10:11], v[18:19], v[8:9]
	v_add_f64 v[2:3], v[2:3], -v[12:13]
	v_add_f64 v[4:5], v[4:5], -v[10:11]
	s_cbranch_scc1 .LBB238_52
.LBB238_53:                             ;   in Loop: Header=BB238_45 Depth=1
	s_mul_i32 s10, s17, 0x210
	v_add_u32_e32 v15, 0x4000, v6
	v_mov_b32_e32 v6, s10
	ds_read_b128 v[6:9], v6
	s_waitcnt lgkmcnt(0)
	v_xor_b32_e32 v11, 0x80000000, v7
	v_cmp_gt_f64_e32 vcc, 0, v[6:7]
	v_xor_b32_e32 v12, 0x80000000, v9
	v_cndmask_b32_e32 v11, v7, v11, vcc
	v_cmp_gt_f64_e32 vcc, 0, v[8:9]
	v_mov_b32_e32 v10, v6
	v_cndmask_b32_e32 v13, v9, v12, vcc
	v_mov_b32_e32 v12, v8
	v_cmp_ngt_f64_e32 vcc, v[10:11], v[12:13]
	s_cbranch_vccz .LBB238_55
; %bb.54:                               ;   in Loop: Header=BB238_45 Depth=1
	v_div_scale_f64 v[10:11], s[10:11], v[8:9], v[8:9], v[6:7]
	v_rcp_f64_e32 v[12:13], v[10:11]
	v_div_scale_f64 v[16:17], vcc, v[6:7], v[8:9], v[6:7]
	v_fma_f64 v[18:19], -v[10:11], v[12:13], 1.0
	v_fmac_f64_e32 v[12:13], v[12:13], v[18:19]
	v_fma_f64 v[18:19], -v[10:11], v[12:13], 1.0
	v_fmac_f64_e32 v[12:13], v[12:13], v[18:19]
	v_mul_f64 v[18:19], v[16:17], v[12:13]
	v_fma_f64 v[10:11], -v[10:11], v[18:19], v[16:17]
	v_div_fmas_f64 v[10:11], v[10:11], v[12:13], v[18:19]
	v_div_fixup_f64 v[12:13], v[10:11], v[8:9], v[6:7]
	v_fma_f64 v[10:11], v[6:7], v[12:13], v[8:9]
	v_div_scale_f64 v[16:17], s[10:11], v[10:11], v[10:11], 1.0
	v_rcp_f64_e32 v[18:19], v[16:17]
	v_fma_f64 v[20:21], -v[16:17], v[18:19], 1.0
	v_fmac_f64_e32 v[18:19], v[18:19], v[20:21]
	v_fma_f64 v[20:21], -v[16:17], v[18:19], 1.0
	v_fmac_f64_e32 v[18:19], v[18:19], v[20:21]
	v_div_scale_f64 v[20:21], vcc, 1.0, v[10:11], 1.0
	v_mul_f64 v[22:23], v[20:21], v[18:19]
	v_fma_f64 v[16:17], -v[16:17], v[22:23], v[20:21]
	s_nop 1
	v_div_fmas_f64 v[16:17], v[16:17], v[18:19], v[22:23]
	v_div_fixup_f64 v[16:17], v[16:17], v[10:11], 1.0
	v_fma_f64 v[10:11], v[2:3], v[12:13], v[4:5]
	v_fma_f64 v[12:13], v[4:5], v[12:13], -v[2:3]
	v_mul_f64 v[10:11], v[10:11], v[16:17]
	v_mul_f64 v[12:13], v[12:13], v[16:17]
	s_cbranch_execnz .LBB238_44
	s_branch .LBB238_56
.LBB238_55:                             ;   in Loop: Header=BB238_45 Depth=1
                                        ; implicit-def: $vgpr10_vgpr11
.LBB238_56:                             ;   in Loop: Header=BB238_45 Depth=1
	v_div_scale_f64 v[10:11], s[10:11], v[6:7], v[6:7], v[8:9]
	v_rcp_f64_e32 v[12:13], v[10:11]
	v_div_scale_f64 v[16:17], vcc, v[8:9], v[6:7], v[8:9]
	v_fma_f64 v[18:19], -v[10:11], v[12:13], 1.0
	v_fmac_f64_e32 v[12:13], v[12:13], v[18:19]
	v_fma_f64 v[18:19], -v[10:11], v[12:13], 1.0
	v_fmac_f64_e32 v[12:13], v[12:13], v[18:19]
	v_mul_f64 v[18:19], v[16:17], v[12:13]
	v_fma_f64 v[10:11], -v[10:11], v[18:19], v[16:17]
	v_div_fmas_f64 v[10:11], v[10:11], v[12:13], v[18:19]
	v_div_fixup_f64 v[12:13], v[10:11], v[6:7], v[8:9]
	v_fmac_f64_e32 v[6:7], v[8:9], v[12:13]
	v_div_scale_f64 v[8:9], s[10:11], v[6:7], v[6:7], 1.0
	v_rcp_f64_e32 v[10:11], v[8:9]
	v_fma_f64 v[16:17], -v[8:9], v[10:11], 1.0
	v_fmac_f64_e32 v[10:11], v[10:11], v[16:17]
	v_fma_f64 v[16:17], -v[8:9], v[10:11], 1.0
	v_fmac_f64_e32 v[10:11], v[10:11], v[16:17]
	v_div_scale_f64 v[16:17], vcc, 1.0, v[6:7], 1.0
	v_mul_f64 v[18:19], v[16:17], v[10:11]
	v_fma_f64 v[8:9], -v[8:9], v[18:19], v[16:17]
	s_nop 1
	v_div_fmas_f64 v[8:9], v[8:9], v[10:11], v[18:19]
	v_div_fixup_f64 v[6:7], v[8:9], v[6:7], 1.0
	v_fma_f64 v[8:9], v[4:5], v[12:13], v[2:3]
	v_fma_f64 v[2:3], -v[2:3], v[12:13], v[4:5]
	v_mul_f64 v[10:11], v[8:9], v[6:7]
	v_mul_f64 v[12:13], v[2:3], v[6:7]
	s_branch .LBB238_44
.LBB238_57:
	s_mov_b64 s[10:11], 0
.LBB238_58:
	s_and_b64 vcc, exec, s[10:11]
	s_cbranch_vccz .LBB238_90
; %bb.59:
	s_andn2_b64 vcc, exec, s[8:9]
	s_mov_b32 s17, s35
	s_cbranch_vccnz .LBB238_81
; %bb.60:
	v_lshlrev_b32_e32 v1, 4, v0
	v_lshl_or_b32 v2, s34, 9, v1
	s_mul_i32 s1, s34, 0x210
	v_add_u32_e32 v26, 0x3c00, v2
	s_addk_i32 s1, 0xfbc0
	s_mov_b32 s16, s35
.LBB238_61:                             ; =>This Loop Header: Depth=1
                                        ;     Child Loop BB238_62 Depth 2
	s_lshl_b32 s20, s16, 5
	s_add_i32 s22, s16, -1
	v_or_b32_e32 v2, s20, v0
	s_lshl_b32 s18, s22, 5
	s_add_i32 s21, s16, -2
	v_lshlrev_b32_e32 v18, 4, v2
	v_or_b32_e32 v2, s18, v0
	s_lshl_b32 s17, s21, 5
	v_lshlrev_b32_e32 v19, 4, v2
	v_or_b32_e32 v2, s17, v0
	v_lshlrev_b32_e32 v20, 4, v2
	s_add_i32 s19, s16, -3
	ds_read_b128 v[14:17], v18 offset:16384
	ds_read_b128 v[10:13], v19 offset:16384
	v_lshl_or_b32 v21, s19, 9, v1
	ds_read_b128 v[6:9], v20 offset:16384
	ds_read_b128 v[2:5], v21 offset:16384
	s_cmp_le_i32 s35, s16
	s_mov_b32 s10, s1
	v_mov_b32_e32 v22, v26
	s_mov_b32 s11, s35
	s_cbranch_scc1 .LBB238_63
.LBB238_62:                             ;   Parent Loop BB238_61 Depth=1
                                        ; =>  This Inner Loop Header: Depth=2
	v_mov_b32_e32 v23, s10
	ds_read_b128 v[28:31], v22 offset:512
	ds_read_b128 v[32:35], v22
	ds_read_b128 v[36:39], v23 offset:560
	ds_read_b128 v[40:43], v23 offset:544
	;; [unrolled: 1-line block ×4, first 2 shown]
	ds_read_b128 v[52:55], v23
	ds_read_b128 v[56:59], v23 offset:16
	ds_read_b128 v[60:63], v23 offset:32
	;; [unrolled: 1-line block ×3, first 2 shown]
	s_add_i32 s11, s11, -2
	s_addk_i32 s10, 0xfc00
	s_waitcnt lgkmcnt(7)
	v_mul_f64 v[24:25], v[30:31], v[38:39]
	v_mul_f64 v[38:39], v[28:29], v[38:39]
	s_waitcnt lgkmcnt(6)
	v_mul_f64 v[68:69], v[30:31], v[42:43]
	v_mul_f64 v[42:43], v[28:29], v[42:43]
	s_waitcnt lgkmcnt(5)
	v_mul_f64 v[70:71], v[30:31], v[46:47]
	v_mul_f64 v[46:47], v[28:29], v[46:47]
	s_waitcnt lgkmcnt(4)
	v_mul_f64 v[72:73], v[30:31], v[50:51]
	v_mul_f64 v[50:51], v[28:29], v[50:51]
	s_waitcnt lgkmcnt(0)
	v_mul_f64 v[74:75], v[34:35], v[66:67]
	v_mul_f64 v[66:67], v[32:33], v[66:67]
	v_mul_f64 v[76:77], v[34:35], v[62:63]
	v_mul_f64 v[62:63], v[32:33], v[62:63]
	;; [unrolled: 1-line block ×6, first 2 shown]
	v_fma_f64 v[24:25], v[28:29], v[36:37], -v[24:25]
	v_fmac_f64_e32 v[38:39], v[30:31], v[36:37]
	v_fma_f64 v[36:37], v[28:29], v[40:41], -v[68:69]
	v_fmac_f64_e32 v[42:43], v[30:31], v[40:41]
	;; [unrolled: 2-line block ×8, first 2 shown]
	v_add_f64 v[14:15], v[14:15], -v[24:25]
	v_add_f64 v[16:17], v[16:17], -v[38:39]
	v_add_f64 v[10:11], v[10:11], -v[36:37]
	v_add_f64 v[12:13], v[12:13], -v[42:43]
	v_add_f64 v[6:7], v[6:7], -v[40:41]
	v_add_f64 v[8:9], v[8:9], -v[46:47]
	v_add_f64 v[2:3], v[2:3], -v[28:29]
	v_add_f64 v[4:5], v[4:5], -v[50:51]
	v_add_u32_e32 v22, 0xfffffc00, v22
	s_cmp_le_i32 s11, s16
	v_add_f64 v[14:15], v[14:15], -v[30:31]
	v_add_f64 v[16:17], v[16:17], -v[66:67]
	;; [unrolled: 1-line block ×8, first 2 shown]
	s_cbranch_scc0 .LBB238_62
.LBB238_63:                             ;   in Loop: Header=BB238_61 Depth=1
	s_mul_i32 s23, s16, 0x210
	v_add_u32_e32 v30, 0x4000, v18
	v_mov_b32_e32 v18, s23
	ds_read_b128 v[22:25], v18
	v_add_u32_e32 v29, 0x4000, v19
	v_add_u32_e32 v28, 0x4000, v20
	;; [unrolled: 1-line block ×3, first 2 shown]
	s_waitcnt lgkmcnt(0)
	v_xor_b32_e32 v19, 0x80000000, v23
	v_cmp_gt_f64_e32 vcc, 0, v[22:23]
	v_xor_b32_e32 v20, 0x80000000, v25
	v_cndmask_b32_e32 v19, v23, v19, vcc
	v_cmp_gt_f64_e32 vcc, 0, v[24:25]
	v_mov_b32_e32 v18, v22
	v_cndmask_b32_e32 v21, v25, v20, vcc
	v_mov_b32_e32 v20, v24
	v_cmp_ngt_f64_e32 vcc, v[18:19], v[20:21]
	s_cbranch_vccz .LBB238_65
; %bb.64:                               ;   in Loop: Header=BB238_61 Depth=1
	v_div_scale_f64 v[18:19], s[10:11], v[24:25], v[24:25], v[22:23]
	v_rcp_f64_e32 v[20:21], v[18:19]
	v_div_scale_f64 v[32:33], vcc, v[22:23], v[24:25], v[22:23]
	v_fma_f64 v[34:35], -v[18:19], v[20:21], 1.0
	v_fmac_f64_e32 v[20:21], v[20:21], v[34:35]
	v_fma_f64 v[34:35], -v[18:19], v[20:21], 1.0
	v_fmac_f64_e32 v[20:21], v[20:21], v[34:35]
	v_mul_f64 v[34:35], v[32:33], v[20:21]
	v_fma_f64 v[18:19], -v[18:19], v[34:35], v[32:33]
	v_div_fmas_f64 v[18:19], v[18:19], v[20:21], v[34:35]
	v_div_fixup_f64 v[20:21], v[18:19], v[24:25], v[22:23]
	v_fma_f64 v[18:19], v[22:23], v[20:21], v[24:25]
	v_div_scale_f64 v[32:33], s[10:11], v[18:19], v[18:19], 1.0
	v_rcp_f64_e32 v[34:35], v[32:33]
	v_fma_f64 v[36:37], -v[32:33], v[34:35], 1.0
	v_fmac_f64_e32 v[34:35], v[34:35], v[36:37]
	v_fma_f64 v[36:37], -v[32:33], v[34:35], 1.0
	v_fmac_f64_e32 v[34:35], v[34:35], v[36:37]
	v_div_scale_f64 v[36:37], vcc, 1.0, v[18:19], 1.0
	v_mul_f64 v[38:39], v[36:37], v[34:35]
	v_fma_f64 v[32:33], -v[32:33], v[38:39], v[36:37]
	s_nop 1
	v_div_fmas_f64 v[32:33], v[32:33], v[34:35], v[38:39]
	v_div_fixup_f64 v[32:33], v[32:33], v[18:19], 1.0
	v_fma_f64 v[18:19], v[14:15], v[20:21], v[16:17]
	v_fma_f64 v[20:21], v[16:17], v[20:21], -v[14:15]
	v_mul_f64 v[18:19], v[18:19], v[32:33]
	v_mul_f64 v[20:21], v[20:21], v[32:33]
	s_cbranch_execz .LBB238_66
	s_branch .LBB238_67
.LBB238_65:                             ;   in Loop: Header=BB238_61 Depth=1
                                        ; implicit-def: $vgpr20_vgpr21
.LBB238_66:                             ;   in Loop: Header=BB238_61 Depth=1
	v_div_scale_f64 v[18:19], s[10:11], v[22:23], v[22:23], v[24:25]
	v_rcp_f64_e32 v[20:21], v[18:19]
	v_div_scale_f64 v[32:33], vcc, v[24:25], v[22:23], v[24:25]
	v_fma_f64 v[34:35], -v[18:19], v[20:21], 1.0
	v_fmac_f64_e32 v[20:21], v[20:21], v[34:35]
	v_fma_f64 v[34:35], -v[18:19], v[20:21], 1.0
	v_fmac_f64_e32 v[20:21], v[20:21], v[34:35]
	v_mul_f64 v[34:35], v[32:33], v[20:21]
	v_fma_f64 v[18:19], -v[18:19], v[34:35], v[32:33]
	v_div_fmas_f64 v[18:19], v[18:19], v[20:21], v[34:35]
	v_div_fixup_f64 v[20:21], v[18:19], v[22:23], v[24:25]
	v_fmac_f64_e32 v[22:23], v[24:25], v[20:21]
	v_div_scale_f64 v[18:19], s[10:11], v[22:23], v[22:23], 1.0
	v_rcp_f64_e32 v[24:25], v[18:19]
	v_fma_f64 v[32:33], -v[18:19], v[24:25], 1.0
	v_fmac_f64_e32 v[24:25], v[24:25], v[32:33]
	v_fma_f64 v[32:33], -v[18:19], v[24:25], 1.0
	v_fmac_f64_e32 v[24:25], v[24:25], v[32:33]
	v_div_scale_f64 v[32:33], vcc, 1.0, v[22:23], 1.0
	v_mul_f64 v[34:35], v[32:33], v[24:25]
	v_fma_f64 v[18:19], -v[18:19], v[34:35], v[32:33]
	s_nop 1
	v_div_fmas_f64 v[18:19], v[18:19], v[24:25], v[34:35]
	v_div_fixup_f64 v[22:23], v[18:19], v[22:23], 1.0
	v_fma_f64 v[18:19], v[16:17], v[20:21], v[14:15]
	v_fma_f64 v[14:15], -v[14:15], v[20:21], v[16:17]
	v_mul_f64 v[18:19], v[18:19], v[22:23]
	v_mul_f64 v[20:21], v[14:15], v[22:23]
.LBB238_67:                             ;   in Loop: Header=BB238_61 Depth=1
	s_add_i32 s10, s20, s22
	s_lshl_b32 s10, s10, 4
	v_mov_b32_e32 v14, s10
	ds_read_b128 v[22:25], v14
	s_add_i32 s22, s23, 0xfffffdf0
	v_mov_b32_e32 v14, s22
	ds_read_b128 v[14:17], v14
	ds_write_b128 v30, v[18:21]
	s_waitcnt lgkmcnt(2)
	v_mul_f64 v[30:31], v[20:21], v[24:25]
	v_fma_f64 v[30:31], v[18:19], v[22:23], -v[30:31]
	v_mul_f64 v[24:25], v[18:19], v[24:25]
	v_fmac_f64_e32 v[24:25], v[20:21], v[22:23]
	v_add_f64 v[22:23], v[10:11], -v[30:31]
	s_waitcnt lgkmcnt(1)
	v_xor_b32_e32 v10, 0x80000000, v15
	v_cmp_gt_f64_e32 vcc, 0, v[14:15]
	v_add_f64 v[24:25], v[12:13], -v[24:25]
	v_cndmask_b32_e32 v11, v15, v10, vcc
	v_xor_b32_e32 v12, 0x80000000, v17
	v_cmp_gt_f64_e32 vcc, 0, v[16:17]
	v_mov_b32_e32 v10, v14
	v_cndmask_b32_e32 v13, v17, v12, vcc
	v_mov_b32_e32 v12, v16
	v_cmp_ngt_f64_e32 vcc, v[10:11], v[12:13]
	s_cbranch_vccz .LBB238_69
; %bb.68:                               ;   in Loop: Header=BB238_61 Depth=1
	v_div_scale_f64 v[10:11], s[10:11], v[16:17], v[16:17], v[14:15]
	v_rcp_f64_e32 v[12:13], v[10:11]
	v_div_scale_f64 v[30:31], vcc, v[14:15], v[16:17], v[14:15]
	v_fma_f64 v[32:33], -v[10:11], v[12:13], 1.0
	v_fmac_f64_e32 v[12:13], v[12:13], v[32:33]
	v_fma_f64 v[32:33], -v[10:11], v[12:13], 1.0
	v_fmac_f64_e32 v[12:13], v[12:13], v[32:33]
	v_mul_f64 v[32:33], v[30:31], v[12:13]
	v_fma_f64 v[10:11], -v[10:11], v[32:33], v[30:31]
	v_div_fmas_f64 v[10:11], v[10:11], v[12:13], v[32:33]
	v_div_fixup_f64 v[12:13], v[10:11], v[16:17], v[14:15]
	v_fma_f64 v[10:11], v[14:15], v[12:13], v[16:17]
	v_div_scale_f64 v[30:31], s[10:11], v[10:11], v[10:11], 1.0
	v_rcp_f64_e32 v[32:33], v[30:31]
	v_fma_f64 v[34:35], -v[30:31], v[32:33], 1.0
	v_fmac_f64_e32 v[32:33], v[32:33], v[34:35]
	v_fma_f64 v[34:35], -v[30:31], v[32:33], 1.0
	v_fmac_f64_e32 v[32:33], v[32:33], v[34:35]
	v_div_scale_f64 v[34:35], vcc, 1.0, v[10:11], 1.0
	v_mul_f64 v[36:37], v[34:35], v[32:33]
	v_fma_f64 v[30:31], -v[30:31], v[36:37], v[34:35]
	s_nop 1
	v_div_fmas_f64 v[30:31], v[30:31], v[32:33], v[36:37]
	v_div_fixup_f64 v[30:31], v[30:31], v[10:11], 1.0
	v_fma_f64 v[10:11], v[12:13], v[22:23], v[24:25]
	v_fma_f64 v[12:13], v[12:13], v[24:25], -v[22:23]
	v_mul_f64 v[10:11], v[10:11], v[30:31]
	v_mul_f64 v[12:13], v[12:13], v[30:31]
	s_cbranch_execz .LBB238_70
	s_branch .LBB238_71
.LBB238_69:                             ;   in Loop: Header=BB238_61 Depth=1
                                        ; implicit-def: $vgpr12_vgpr13
.LBB238_70:                             ;   in Loop: Header=BB238_61 Depth=1
	v_div_scale_f64 v[10:11], s[10:11], v[14:15], v[14:15], v[16:17]
	v_rcp_f64_e32 v[12:13], v[10:11]
	v_div_scale_f64 v[30:31], vcc, v[16:17], v[14:15], v[16:17]
	v_fma_f64 v[32:33], -v[10:11], v[12:13], 1.0
	v_fmac_f64_e32 v[12:13], v[12:13], v[32:33]
	v_fma_f64 v[32:33], -v[10:11], v[12:13], 1.0
	v_fmac_f64_e32 v[12:13], v[12:13], v[32:33]
	v_mul_f64 v[32:33], v[30:31], v[12:13]
	v_fma_f64 v[10:11], -v[10:11], v[32:33], v[30:31]
	v_div_fmas_f64 v[10:11], v[10:11], v[12:13], v[32:33]
	v_div_fixup_f64 v[12:13], v[10:11], v[14:15], v[16:17]
	v_fmac_f64_e32 v[14:15], v[16:17], v[12:13]
	v_div_scale_f64 v[10:11], s[10:11], v[14:15], v[14:15], 1.0
	v_rcp_f64_e32 v[16:17], v[10:11]
	v_fma_f64 v[30:31], -v[10:11], v[16:17], 1.0
	v_fmac_f64_e32 v[16:17], v[16:17], v[30:31]
	v_fma_f64 v[30:31], -v[10:11], v[16:17], 1.0
	v_fmac_f64_e32 v[16:17], v[16:17], v[30:31]
	v_div_scale_f64 v[30:31], vcc, 1.0, v[14:15], 1.0
	v_mul_f64 v[32:33], v[30:31], v[16:17]
	v_fma_f64 v[10:11], -v[10:11], v[32:33], v[30:31]
	s_nop 1
	v_div_fmas_f64 v[10:11], v[10:11], v[16:17], v[32:33]
	v_div_fixup_f64 v[14:15], v[10:11], v[14:15], 1.0
	v_fma_f64 v[10:11], v[12:13], v[24:25], v[22:23]
	v_fma_f64 v[12:13], -v[12:13], v[22:23], v[24:25]
	v_mul_f64 v[10:11], v[10:11], v[14:15]
	v_mul_f64 v[12:13], v[12:13], v[14:15]
.LBB238_71:                             ;   in Loop: Header=BB238_61 Depth=1
	s_add_i32 s10, s20, s21
	s_lshl_b32 s10, s10, 4
	v_mov_b32_e32 v14, s10
	s_add_i32 s10, s18, s21
	ds_read_b128 v[14:17], v14
	s_lshl_b32 s10, s10, 4
	v_mov_b32_e32 v22, s10
	ds_read_b128 v[22:25], v22
	s_add_i32 s21, s22, 0xfffffdf0
	s_waitcnt lgkmcnt(1)
	v_mul_f64 v[30:31], v[20:21], v[16:17]
	v_fma_f64 v[30:31], v[18:19], v[14:15], -v[30:31]
	v_mul_f64 v[16:17], v[18:19], v[16:17]
	v_fmac_f64_e32 v[16:17], v[20:21], v[14:15]
	v_add_f64 v[14:15], v[6:7], -v[30:31]
	s_waitcnt lgkmcnt(0)
	v_mul_f64 v[6:7], v[12:13], v[24:25]
	v_fma_f64 v[30:31], v[10:11], v[22:23], -v[6:7]
	v_mov_b32_e32 v6, s21
	v_add_f64 v[16:17], v[8:9], -v[16:17]
	ds_read_b128 v[6:9], v6
	v_mul_f64 v[24:25], v[10:11], v[24:25]
	v_fmac_f64_e32 v[24:25], v[12:13], v[22:23]
	v_add_f64 v[22:23], v[14:15], -v[30:31]
	v_add_f64 v[24:25], v[16:17], -v[24:25]
	s_waitcnt lgkmcnt(0)
	v_xor_b32_e32 v14, 0x80000000, v7
	v_cmp_gt_f64_e32 vcc, 0, v[6:7]
	v_cndmask_b32_e32 v15, v7, v14, vcc
	v_xor_b32_e32 v16, 0x80000000, v9
	v_cmp_gt_f64_e32 vcc, 0, v[8:9]
	v_mov_b32_e32 v14, v6
	v_cndmask_b32_e32 v17, v9, v16, vcc
	v_mov_b32_e32 v16, v8
	v_cmp_ngt_f64_e32 vcc, v[14:15], v[16:17]
	ds_write_b128 v29, v[10:13]
	s_cbranch_vccz .LBB238_73
; %bb.72:                               ;   in Loop: Header=BB238_61 Depth=1
	v_div_scale_f64 v[14:15], s[10:11], v[8:9], v[8:9], v[6:7]
	v_rcp_f64_e32 v[16:17], v[14:15]
	v_div_scale_f64 v[30:31], vcc, v[6:7], v[8:9], v[6:7]
	v_fma_f64 v[32:33], -v[14:15], v[16:17], 1.0
	v_fmac_f64_e32 v[16:17], v[16:17], v[32:33]
	v_fma_f64 v[32:33], -v[14:15], v[16:17], 1.0
	v_fmac_f64_e32 v[16:17], v[16:17], v[32:33]
	v_mul_f64 v[32:33], v[30:31], v[16:17]
	v_fma_f64 v[14:15], -v[14:15], v[32:33], v[30:31]
	v_div_fmas_f64 v[14:15], v[14:15], v[16:17], v[32:33]
	v_div_fixup_f64 v[16:17], v[14:15], v[8:9], v[6:7]
	v_fma_f64 v[14:15], v[6:7], v[16:17], v[8:9]
	v_div_scale_f64 v[30:31], s[10:11], v[14:15], v[14:15], 1.0
	v_rcp_f64_e32 v[32:33], v[30:31]
	v_fma_f64 v[34:35], -v[30:31], v[32:33], 1.0
	v_fmac_f64_e32 v[32:33], v[32:33], v[34:35]
	v_fma_f64 v[34:35], -v[30:31], v[32:33], 1.0
	v_fmac_f64_e32 v[32:33], v[32:33], v[34:35]
	v_div_scale_f64 v[34:35], vcc, 1.0, v[14:15], 1.0
	v_mul_f64 v[36:37], v[34:35], v[32:33]
	v_fma_f64 v[30:31], -v[30:31], v[36:37], v[34:35]
	s_nop 1
	v_div_fmas_f64 v[30:31], v[30:31], v[32:33], v[36:37]
	v_div_fixup_f64 v[30:31], v[30:31], v[14:15], 1.0
	v_fma_f64 v[14:15], v[16:17], v[22:23], v[24:25]
	v_fma_f64 v[16:17], v[16:17], v[24:25], -v[22:23]
	v_mul_f64 v[14:15], v[14:15], v[30:31]
	v_mul_f64 v[16:17], v[16:17], v[30:31]
	s_cbranch_execz .LBB238_74
	s_branch .LBB238_75
.LBB238_73:                             ;   in Loop: Header=BB238_61 Depth=1
                                        ; implicit-def: $vgpr16_vgpr17
.LBB238_74:                             ;   in Loop: Header=BB238_61 Depth=1
	v_div_scale_f64 v[14:15], s[10:11], v[6:7], v[6:7], v[8:9]
	v_rcp_f64_e32 v[16:17], v[14:15]
	v_div_scale_f64 v[30:31], vcc, v[8:9], v[6:7], v[8:9]
	v_fma_f64 v[32:33], -v[14:15], v[16:17], 1.0
	v_fmac_f64_e32 v[16:17], v[16:17], v[32:33]
	v_fma_f64 v[32:33], -v[14:15], v[16:17], 1.0
	v_fmac_f64_e32 v[16:17], v[16:17], v[32:33]
	v_mul_f64 v[32:33], v[30:31], v[16:17]
	v_fma_f64 v[14:15], -v[14:15], v[32:33], v[30:31]
	v_div_fmas_f64 v[14:15], v[14:15], v[16:17], v[32:33]
	v_div_fixup_f64 v[16:17], v[14:15], v[6:7], v[8:9]
	v_fmac_f64_e32 v[6:7], v[8:9], v[16:17]
	v_div_scale_f64 v[8:9], s[10:11], v[6:7], v[6:7], 1.0
	v_rcp_f64_e32 v[14:15], v[8:9]
	v_fma_f64 v[30:31], -v[8:9], v[14:15], 1.0
	v_fmac_f64_e32 v[14:15], v[14:15], v[30:31]
	v_fma_f64 v[30:31], -v[8:9], v[14:15], 1.0
	v_fmac_f64_e32 v[14:15], v[14:15], v[30:31]
	v_div_scale_f64 v[30:31], vcc, 1.0, v[6:7], 1.0
	v_mul_f64 v[32:33], v[30:31], v[14:15]
	v_fma_f64 v[8:9], -v[8:9], v[32:33], v[30:31]
	s_nop 1
	v_div_fmas_f64 v[8:9], v[8:9], v[14:15], v[32:33]
	v_div_fixup_f64 v[6:7], v[8:9], v[6:7], 1.0
	v_fma_f64 v[8:9], v[16:17], v[24:25], v[22:23]
	v_mul_f64 v[14:15], v[8:9], v[6:7]
	v_fma_f64 v[8:9], -v[16:17], v[22:23], v[24:25]
	v_mul_f64 v[16:17], v[8:9], v[6:7]
.LBB238_75:                             ;   in Loop: Header=BB238_61 Depth=1
	s_add_i32 s20, s20, s19
	s_lshl_b32 s10, s20, 4
	s_add_i32 s18, s18, s19
	v_mov_b32_e32 v6, s10
	s_lshl_b32 s10, s18, 4
	ds_read_b128 v[6:9], v6
	v_mov_b32_e32 v22, s10
	ds_read_b128 v[22:25], v22
	ds_write_b128 v28, v[14:17]
	s_add_i32 s17, s17, s19
	s_waitcnt lgkmcnt(2)
	v_mul_f64 v[28:29], v[20:21], v[8:9]
	v_mul_f64 v[8:9], v[18:19], v[8:9]
	v_fma_f64 v[28:29], v[18:19], v[6:7], -v[28:29]
	v_fmac_f64_e32 v[8:9], v[20:21], v[6:7]
	s_waitcnt lgkmcnt(1)
	v_mul_f64 v[6:7], v[12:13], v[24:25]
	v_add_f64 v[2:3], v[2:3], -v[28:29]
	v_fma_f64 v[6:7], v[10:11], v[22:23], -v[6:7]
	v_mul_f64 v[10:11], v[10:11], v[24:25]
	s_lshl_b32 s10, s17, 4
	v_fmac_f64_e32 v[10:11], v[12:13], v[22:23]
	v_add_f64 v[12:13], v[2:3], -v[6:7]
	v_mov_b32_e32 v2, s10
	s_add_i32 s10, s21, 0xfffffdf0
	v_add_f64 v[4:5], v[4:5], -v[8:9]
	ds_read_b128 v[6:9], v2
	v_mov_b32_e32 v2, s10
	v_add_f64 v[18:19], v[4:5], -v[10:11]
	ds_read_b128 v[2:5], v2
	s_waitcnt lgkmcnt(1)
	v_mul_f64 v[10:11], v[16:17], v[8:9]
	v_mul_f64 v[8:9], v[14:15], v[8:9]
	v_fma_f64 v[10:11], v[14:15], v[6:7], -v[10:11]
	v_fmac_f64_e32 v[8:9], v[16:17], v[6:7]
	s_waitcnt lgkmcnt(0)
	v_xor_b32_e32 v6, 0x80000000, v3
	v_cmp_gt_f64_e32 vcc, 0, v[2:3]
	v_add_f64 v[10:11], v[12:13], -v[10:11]
	v_add_f64 v[12:13], v[18:19], -v[8:9]
	v_cndmask_b32_e32 v7, v3, v6, vcc
	v_xor_b32_e32 v8, 0x80000000, v5
	v_cmp_gt_f64_e32 vcc, 0, v[4:5]
	v_mov_b32_e32 v6, v2
	v_cndmask_b32_e32 v9, v5, v8, vcc
	v_mov_b32_e32 v8, v4
	v_cmp_ngt_f64_e32 vcc, v[6:7], v[8:9]
	s_cbranch_vccz .LBB238_77
; %bb.76:                               ;   in Loop: Header=BB238_61 Depth=1
	v_div_scale_f64 v[6:7], s[10:11], v[4:5], v[4:5], v[2:3]
	v_rcp_f64_e32 v[8:9], v[6:7]
	v_div_scale_f64 v[14:15], vcc, v[2:3], v[4:5], v[2:3]
	v_fma_f64 v[16:17], -v[6:7], v[8:9], 1.0
	v_fmac_f64_e32 v[8:9], v[8:9], v[16:17]
	v_fma_f64 v[16:17], -v[6:7], v[8:9], 1.0
	v_fmac_f64_e32 v[8:9], v[8:9], v[16:17]
	v_mul_f64 v[16:17], v[14:15], v[8:9]
	v_fma_f64 v[6:7], -v[6:7], v[16:17], v[14:15]
	v_div_fmas_f64 v[6:7], v[6:7], v[8:9], v[16:17]
	v_div_fixup_f64 v[8:9], v[6:7], v[4:5], v[2:3]
	v_fma_f64 v[6:7], v[2:3], v[8:9], v[4:5]
	v_div_scale_f64 v[14:15], s[10:11], v[6:7], v[6:7], 1.0
	v_rcp_f64_e32 v[16:17], v[14:15]
	v_fma_f64 v[18:19], -v[14:15], v[16:17], 1.0
	v_fmac_f64_e32 v[16:17], v[16:17], v[18:19]
	v_fma_f64 v[18:19], -v[14:15], v[16:17], 1.0
	v_fmac_f64_e32 v[16:17], v[16:17], v[18:19]
	v_div_scale_f64 v[18:19], vcc, 1.0, v[6:7], 1.0
	v_mul_f64 v[20:21], v[18:19], v[16:17]
	v_fma_f64 v[14:15], -v[14:15], v[20:21], v[18:19]
	s_nop 1
	v_div_fmas_f64 v[14:15], v[14:15], v[16:17], v[20:21]
	v_div_fixup_f64 v[14:15], v[14:15], v[6:7], 1.0
	v_fma_f64 v[6:7], v[8:9], v[10:11], v[12:13]
	v_fma_f64 v[8:9], v[8:9], v[12:13], -v[10:11]
	v_mul_f64 v[6:7], v[6:7], v[14:15]
	v_mul_f64 v[8:9], v[8:9], v[14:15]
	s_cbranch_execz .LBB238_78
	s_branch .LBB238_79
.LBB238_77:                             ;   in Loop: Header=BB238_61 Depth=1
                                        ; implicit-def: $vgpr8_vgpr9
.LBB238_78:                             ;   in Loop: Header=BB238_61 Depth=1
	v_div_scale_f64 v[6:7], s[10:11], v[2:3], v[2:3], v[4:5]
	v_rcp_f64_e32 v[8:9], v[6:7]
	v_div_scale_f64 v[14:15], vcc, v[4:5], v[2:3], v[4:5]
	v_fma_f64 v[16:17], -v[6:7], v[8:9], 1.0
	v_fmac_f64_e32 v[8:9], v[8:9], v[16:17]
	v_fma_f64 v[16:17], -v[6:7], v[8:9], 1.0
	v_fmac_f64_e32 v[8:9], v[8:9], v[16:17]
	v_mul_f64 v[16:17], v[14:15], v[8:9]
	v_fma_f64 v[6:7], -v[6:7], v[16:17], v[14:15]
	v_div_fmas_f64 v[6:7], v[6:7], v[8:9], v[16:17]
	v_div_fixup_f64 v[8:9], v[6:7], v[2:3], v[4:5]
	v_fmac_f64_e32 v[2:3], v[4:5], v[8:9]
	v_div_scale_f64 v[4:5], s[10:11], v[2:3], v[2:3], 1.0
	v_rcp_f64_e32 v[6:7], v[4:5]
	v_fma_f64 v[14:15], -v[4:5], v[6:7], 1.0
	v_fmac_f64_e32 v[6:7], v[6:7], v[14:15]
	v_fma_f64 v[14:15], -v[4:5], v[6:7], 1.0
	v_fmac_f64_e32 v[6:7], v[6:7], v[14:15]
	v_div_scale_f64 v[14:15], vcc, 1.0, v[2:3], 1.0
	v_mul_f64 v[16:17], v[14:15], v[6:7]
	v_fma_f64 v[4:5], -v[4:5], v[16:17], v[14:15]
	s_nop 1
	v_div_fmas_f64 v[4:5], v[4:5], v[6:7], v[16:17]
	v_div_fixup_f64 v[2:3], v[4:5], v[2:3], 1.0
	v_fma_f64 v[4:5], v[8:9], v[12:13], v[10:11]
	v_mul_f64 v[6:7], v[4:5], v[2:3]
	v_fma_f64 v[4:5], -v[8:9], v[10:11], v[12:13]
	v_mul_f64 v[8:9], v[4:5], v[2:3]
.LBB238_79:                             ;   in Loop: Header=BB238_61 Depth=1
	s_add_i32 s17, s16, -4
	s_sub_i32 s1, s1, 64
	s_cmp_lt_i32 s16, 7
	ds_write_b128 v27, v[6:9]
	s_cbranch_scc1 .LBB238_81
; %bb.80:                               ;   in Loop: Header=BB238_61 Depth=1
	s_mov_b32 s16, s17
	s_branch .LBB238_61
.LBB238_81:
	s_cmp_lt_i32 s17, 0
	s_cbranch_scc1 .LBB238_90
; %bb.82:
	s_lshl_b32 s1, s34, 9
	s_lshl_b32 s10, s17, 4
	v_lshl_or_b32 v1, v0, 4, s1
	s_add_i32 s1, s1, s10
	v_add_u32_e32 v1, 0x3e00, v1
	s_addk_i32 s1, 0xfe00
	v_lshlrev_b32_e32 v14, 4, v0
	s_branch .LBB238_84
.LBB238_83:                             ;   in Loop: Header=BB238_84 Depth=1
	s_add_i32 s10, s17, -1
	s_add_i32 s1, s1, -16
	s_cmp_lt_i32 s17, 1
	s_mov_b32 s17, s10
	ds_write_b128 v15, v[10:13]
	s_cbranch_scc1 .LBB238_90
.LBB238_84:                             ; =>This Loop Header: Depth=1
                                        ;     Child Loop BB238_85 Depth 2
	v_lshl_or_b32 v6, s17, 9, v14
	ds_read_b128 v[2:5], v6 offset:16384
	s_cmp_le_i32 s35, s17
	s_mov_b32 s10, s1
	v_mov_b32_e32 v7, v1
	s_mov_b32 s11, s35
	s_cbranch_scc1 .LBB238_86
.LBB238_85:                             ;   Parent Loop BB238_84 Depth=1
                                        ; =>  This Inner Loop Header: Depth=2
	v_mov_b32_e32 v12, s10
	ds_read_b128 v[8:11], v7
	ds_read_b128 v[16:19], v12
	s_add_i32 s11, s11, -1
	s_addk_i32 s10, 0xfe00
	v_add_u32_e32 v7, 0xfffffe00, v7
	s_cmp_le_i32 s11, s17
	s_waitcnt lgkmcnt(0)
	v_mul_f64 v[12:13], v[18:19], v[10:11]
	v_mul_f64 v[10:11], v[16:17], v[10:11]
	v_fma_f64 v[12:13], v[16:17], v[8:9], -v[12:13]
	v_fmac_f64_e32 v[10:11], v[18:19], v[8:9]
	v_add_f64 v[2:3], v[2:3], -v[12:13]
	v_add_f64 v[4:5], v[4:5], -v[10:11]
	s_cbranch_scc0 .LBB238_85
.LBB238_86:                             ;   in Loop: Header=BB238_84 Depth=1
	s_mul_i32 s10, s17, 0x210
	v_add_u32_e32 v15, 0x4000, v6
	v_mov_b32_e32 v6, s10
	ds_read_b128 v[6:9], v6
	s_waitcnt lgkmcnt(0)
	v_xor_b32_e32 v11, 0x80000000, v7
	v_cmp_gt_f64_e32 vcc, 0, v[6:7]
	v_xor_b32_e32 v12, 0x80000000, v9
	v_cndmask_b32_e32 v11, v7, v11, vcc
	v_cmp_gt_f64_e32 vcc, 0, v[8:9]
	v_mov_b32_e32 v10, v6
	v_cndmask_b32_e32 v13, v9, v12, vcc
	v_mov_b32_e32 v12, v8
	v_cmp_ngt_f64_e32 vcc, v[10:11], v[12:13]
	s_cbranch_vccz .LBB238_88
; %bb.87:                               ;   in Loop: Header=BB238_84 Depth=1
	v_div_scale_f64 v[10:11], s[10:11], v[8:9], v[8:9], v[6:7]
	v_rcp_f64_e32 v[12:13], v[10:11]
	v_div_scale_f64 v[16:17], vcc, v[6:7], v[8:9], v[6:7]
	v_fma_f64 v[18:19], -v[10:11], v[12:13], 1.0
	v_fmac_f64_e32 v[12:13], v[12:13], v[18:19]
	v_fma_f64 v[18:19], -v[10:11], v[12:13], 1.0
	v_fmac_f64_e32 v[12:13], v[12:13], v[18:19]
	v_mul_f64 v[18:19], v[16:17], v[12:13]
	v_fma_f64 v[10:11], -v[10:11], v[18:19], v[16:17]
	v_div_fmas_f64 v[10:11], v[10:11], v[12:13], v[18:19]
	v_div_fixup_f64 v[12:13], v[10:11], v[8:9], v[6:7]
	v_fma_f64 v[10:11], v[6:7], v[12:13], v[8:9]
	v_div_scale_f64 v[16:17], s[10:11], v[10:11], v[10:11], 1.0
	v_rcp_f64_e32 v[18:19], v[16:17]
	v_fma_f64 v[20:21], -v[16:17], v[18:19], 1.0
	v_fmac_f64_e32 v[18:19], v[18:19], v[20:21]
	v_fma_f64 v[20:21], -v[16:17], v[18:19], 1.0
	v_fmac_f64_e32 v[18:19], v[18:19], v[20:21]
	v_div_scale_f64 v[20:21], vcc, 1.0, v[10:11], 1.0
	v_mul_f64 v[22:23], v[20:21], v[18:19]
	v_fma_f64 v[16:17], -v[16:17], v[22:23], v[20:21]
	s_nop 1
	v_div_fmas_f64 v[16:17], v[16:17], v[18:19], v[22:23]
	v_div_fixup_f64 v[16:17], v[16:17], v[10:11], 1.0
	v_fma_f64 v[10:11], v[2:3], v[12:13], v[4:5]
	v_fma_f64 v[12:13], v[4:5], v[12:13], -v[2:3]
	v_mul_f64 v[10:11], v[10:11], v[16:17]
	v_mul_f64 v[12:13], v[12:13], v[16:17]
	s_cbranch_execnz .LBB238_83
	s_branch .LBB238_89
.LBB238_88:                             ;   in Loop: Header=BB238_84 Depth=1
                                        ; implicit-def: $vgpr10_vgpr11
.LBB238_89:                             ;   in Loop: Header=BB238_84 Depth=1
	v_div_scale_f64 v[10:11], s[10:11], v[6:7], v[6:7], v[8:9]
	v_rcp_f64_e32 v[12:13], v[10:11]
	v_div_scale_f64 v[16:17], vcc, v[8:9], v[6:7], v[8:9]
	v_fma_f64 v[18:19], -v[10:11], v[12:13], 1.0
	v_fmac_f64_e32 v[12:13], v[12:13], v[18:19]
	v_fma_f64 v[18:19], -v[10:11], v[12:13], 1.0
	v_fmac_f64_e32 v[12:13], v[12:13], v[18:19]
	v_mul_f64 v[18:19], v[16:17], v[12:13]
	v_fma_f64 v[10:11], -v[10:11], v[18:19], v[16:17]
	v_div_fmas_f64 v[10:11], v[10:11], v[12:13], v[18:19]
	v_div_fixup_f64 v[12:13], v[10:11], v[6:7], v[8:9]
	v_fmac_f64_e32 v[6:7], v[8:9], v[12:13]
	v_div_scale_f64 v[8:9], s[10:11], v[6:7], v[6:7], 1.0
	v_rcp_f64_e32 v[10:11], v[8:9]
	v_fma_f64 v[16:17], -v[8:9], v[10:11], 1.0
	v_fmac_f64_e32 v[10:11], v[10:11], v[16:17]
	v_fma_f64 v[16:17], -v[8:9], v[10:11], 1.0
	v_fmac_f64_e32 v[10:11], v[10:11], v[16:17]
	v_div_scale_f64 v[16:17], vcc, 1.0, v[6:7], 1.0
	v_mul_f64 v[18:19], v[16:17], v[10:11]
	v_fma_f64 v[8:9], -v[8:9], v[18:19], v[16:17]
	s_nop 1
	v_div_fmas_f64 v[8:9], v[8:9], v[10:11], v[18:19]
	v_div_fixup_f64 v[6:7], v[8:9], v[6:7], 1.0
	v_fma_f64 v[8:9], v[4:5], v[12:13], v[2:3]
	v_fma_f64 v[2:3], -v[2:3], v[12:13], v[4:5]
	v_mul_f64 v[10:11], v[8:9], v[6:7]
	v_mul_f64 v[12:13], v[2:3], v[6:7]
	s_branch .LBB238_83
.LBB238_90:
	s_mov_b64 s[16:17], 0
.LBB238_91:
	s_andn2_b64 vcc, exec, s[16:17]
	s_cbranch_vccnz .LBB238_123
; %bb.92:
	s_andn2_b64 vcc, exec, s[8:9]
	s_mov_b32 s11, s35
	s_cbranch_vccnz .LBB238_114
; %bb.93:
	v_lshlrev_b32_e32 v1, 4, v0
	v_lshl_or_b32 v1, s34, 9, v1
	s_mul_i32 s1, s34, 0x210
	v_add_u32_e32 v1, 0x3c00, v1
	s_addk_i32 s1, 0xf7e0
	s_mov_b32 s10, s35
.LBB238_94:                             ; =>This Loop Header: Depth=1
                                        ;     Child Loop BB238_95 Depth 2
	s_lshl_b32 s17, s10, 5
	s_add_i32 s16, s10, -1
	v_or_b32_e32 v2, s17, v0
	s_lshl_b32 s19, s16, 5
	s_add_i32 s11, s10, -2
	v_lshlrev_b32_e32 v18, 4, v2
	v_or_b32_e32 v2, s19, v0
	s_lshl_b32 s18, s11, 5
	v_lshlrev_b32_e32 v19, 4, v2
	v_or_b32_e32 v2, s18, v0
	s_addk_i32 s17, 0xffa0
	v_lshlrev_b32_e32 v20, 4, v2
	v_or_b32_e32 v2, s17, v0
	ds_read_b128 v[14:17], v18 offset:16384
	ds_read_b128 v[10:13], v19 offset:16384
	v_lshlrev_b32_e32 v21, 4, v2
	ds_read_b128 v[6:9], v20 offset:16384
	ds_read_b128 v[2:5], v21 offset:16384
	s_cmp_le_i32 s35, s10
	s_mov_b32 s8, s1
	v_mov_b32_e32 v22, v1
	s_mov_b32 s9, s35
	s_cbranch_scc1 .LBB238_96
.LBB238_95:                             ;   Parent Loop BB238_94 Depth=1
                                        ; =>  This Inner Loop Header: Depth=2
	v_mov_b32_e32 v23, s8
	ds_read_b128 v[24:27], v22 offset:512
	ds_read_b128 v[28:31], v22
	ds_read_b128 v[32:35], v23
	ds_read_b128 v[36:39], v23 offset:16
	ds_read_b128 v[40:43], v23 offset:1552
	;; [unrolled: 1-line block ×7, first 2 shown]
	s_add_i32 s9, s9, -2
	s_sub_i32 s8, s8, 32
	s_waitcnt lgkmcnt(5)
	v_mul_f64 v[64:65], v[26:27], v[42:43]
	v_mul_f64 v[42:43], v[24:25], v[42:43]
	s_waitcnt lgkmcnt(3)
	v_mul_f64 v[66:67], v[26:27], v[50:51]
	v_mul_f64 v[50:51], v[24:25], v[50:51]
	;; [unrolled: 3-line block ×3, first 2 shown]
	v_mul_f64 v[70:71], v[26:27], v[38:39]
	v_mul_f64 v[38:39], v[24:25], v[38:39]
	;; [unrolled: 1-line block ×6, first 2 shown]
	s_waitcnt lgkmcnt(0)
	v_mul_f64 v[76:77], v[30:31], v[62:63]
	v_mul_f64 v[62:63], v[28:29], v[62:63]
	;; [unrolled: 1-line block ×4, first 2 shown]
	v_fma_f64 v[64:65], v[24:25], v[40:41], -v[64:65]
	v_fmac_f64_e32 v[42:43], v[26:27], v[40:41]
	v_fma_f64 v[40:41], v[24:25], v[48:49], -v[66:67]
	v_fmac_f64_e32 v[50:51], v[26:27], v[48:49]
	v_fma_f64 v[48:49], v[24:25], v[56:57], -v[68:69]
	v_fmac_f64_e32 v[58:59], v[26:27], v[56:57]
	v_fma_f64 v[24:25], v[24:25], v[36:37], -v[70:71]
	v_fmac_f64_e32 v[38:39], v[26:27], v[36:37]
	v_fma_f64 v[26:27], v[28:29], v[44:45], -v[72:73]
	v_fmac_f64_e32 v[46:47], v[30:31], v[44:45]
	v_fma_f64 v[36:37], v[28:29], v[52:53], -v[74:75]
	v_fmac_f64_e32 v[54:55], v[30:31], v[52:53]
	v_fma_f64 v[44:45], v[28:29], v[60:61], -v[76:77]
	v_fmac_f64_e32 v[62:63], v[30:31], v[60:61]
	v_fma_f64 v[28:29], v[28:29], v[32:33], -v[78:79]
	v_fmac_f64_e32 v[34:35], v[30:31], v[32:33]
	v_add_f64 v[14:15], v[14:15], -v[64:65]
	v_add_f64 v[16:17], v[16:17], -v[42:43]
	;; [unrolled: 1-line block ×8, first 2 shown]
	v_add_u32_e32 v22, 0xfffffc00, v22
	s_cmp_le_i32 s9, s10
	v_add_f64 v[14:15], v[14:15], -v[26:27]
	v_add_f64 v[16:17], v[16:17], -v[46:47]
	;; [unrolled: 1-line block ×8, first 2 shown]
	s_cbranch_scc0 .LBB238_95
.LBB238_96:                             ;   in Loop: Header=BB238_94 Depth=1
	s_mul_i32 s20, s10, 0x210
	v_add_u32_e32 v29, 0x4000, v18
	v_mov_b32_e32 v18, s20
	ds_read_b128 v[22:25], v18
	v_add_u32_e32 v28, 0x4000, v19
	v_add_u32_e32 v27, 0x4000, v20
	;; [unrolled: 1-line block ×3, first 2 shown]
	s_waitcnt lgkmcnt(0)
	v_xor_b32_e32 v19, 0x80000000, v23
	v_cmp_gt_f64_e32 vcc, 0, v[22:23]
	v_xor_b32_e32 v20, 0x80000000, v25
	v_cndmask_b32_e32 v19, v23, v19, vcc
	v_cmp_gt_f64_e32 vcc, 0, v[24:25]
	v_mov_b32_e32 v18, v22
	v_cndmask_b32_e32 v21, v25, v20, vcc
	v_mov_b32_e32 v20, v24
	v_cmp_ngt_f64_e32 vcc, v[18:19], v[20:21]
	s_cbranch_vccz .LBB238_98
; %bb.97:                               ;   in Loop: Header=BB238_94 Depth=1
	v_div_scale_f64 v[18:19], s[8:9], v[24:25], v[24:25], v[22:23]
	v_rcp_f64_e32 v[20:21], v[18:19]
	v_div_scale_f64 v[30:31], vcc, v[22:23], v[24:25], v[22:23]
	v_fma_f64 v[32:33], -v[18:19], v[20:21], 1.0
	v_fmac_f64_e32 v[20:21], v[20:21], v[32:33]
	v_fma_f64 v[32:33], -v[18:19], v[20:21], 1.0
	v_fmac_f64_e32 v[20:21], v[20:21], v[32:33]
	v_mul_f64 v[32:33], v[30:31], v[20:21]
	v_fma_f64 v[18:19], -v[18:19], v[32:33], v[30:31]
	v_div_fmas_f64 v[18:19], v[18:19], v[20:21], v[32:33]
	v_div_fixup_f64 v[20:21], v[18:19], v[24:25], v[22:23]
	v_fma_f64 v[18:19], v[22:23], v[20:21], v[24:25]
	v_div_scale_f64 v[30:31], s[8:9], v[18:19], v[18:19], 1.0
	v_rcp_f64_e32 v[32:33], v[30:31]
	v_fma_f64 v[34:35], -v[30:31], v[32:33], 1.0
	v_fmac_f64_e32 v[32:33], v[32:33], v[34:35]
	v_fma_f64 v[34:35], -v[30:31], v[32:33], 1.0
	v_fmac_f64_e32 v[32:33], v[32:33], v[34:35]
	v_div_scale_f64 v[34:35], vcc, 1.0, v[18:19], 1.0
	v_mul_f64 v[36:37], v[34:35], v[32:33]
	v_fma_f64 v[30:31], -v[30:31], v[36:37], v[34:35]
	s_nop 1
	v_div_fmas_f64 v[30:31], v[30:31], v[32:33], v[36:37]
	v_div_fixup_f64 v[30:31], v[30:31], v[18:19], 1.0
	v_fma_f64 v[18:19], v[14:15], v[20:21], v[16:17]
	v_fma_f64 v[20:21], v[16:17], v[20:21], -v[14:15]
	v_mul_f64 v[18:19], v[18:19], v[30:31]
	v_mul_f64 v[20:21], v[20:21], v[30:31]
	s_cbranch_execz .LBB238_99
	s_branch .LBB238_100
.LBB238_98:                             ;   in Loop: Header=BB238_94 Depth=1
                                        ; implicit-def: $vgpr20_vgpr21
.LBB238_99:                             ;   in Loop: Header=BB238_94 Depth=1
	v_div_scale_f64 v[18:19], s[8:9], v[22:23], v[22:23], v[24:25]
	v_rcp_f64_e32 v[20:21], v[18:19]
	v_div_scale_f64 v[30:31], vcc, v[24:25], v[22:23], v[24:25]
	v_fma_f64 v[32:33], -v[18:19], v[20:21], 1.0
	v_fmac_f64_e32 v[20:21], v[20:21], v[32:33]
	v_fma_f64 v[32:33], -v[18:19], v[20:21], 1.0
	v_fmac_f64_e32 v[20:21], v[20:21], v[32:33]
	v_mul_f64 v[32:33], v[30:31], v[20:21]
	v_fma_f64 v[18:19], -v[18:19], v[32:33], v[30:31]
	v_div_fmas_f64 v[18:19], v[18:19], v[20:21], v[32:33]
	v_div_fixup_f64 v[20:21], v[18:19], v[22:23], v[24:25]
	v_fmac_f64_e32 v[22:23], v[24:25], v[20:21]
	v_div_scale_f64 v[18:19], s[8:9], v[22:23], v[22:23], 1.0
	v_rcp_f64_e32 v[24:25], v[18:19]
	v_fma_f64 v[30:31], -v[18:19], v[24:25], 1.0
	v_fmac_f64_e32 v[24:25], v[24:25], v[30:31]
	v_fma_f64 v[30:31], -v[18:19], v[24:25], 1.0
	v_fmac_f64_e32 v[24:25], v[24:25], v[30:31]
	v_div_scale_f64 v[30:31], vcc, 1.0, v[22:23], 1.0
	v_mul_f64 v[32:33], v[30:31], v[24:25]
	v_fma_f64 v[18:19], -v[18:19], v[32:33], v[30:31]
	s_nop 1
	v_div_fmas_f64 v[18:19], v[18:19], v[24:25], v[32:33]
	v_div_fixup_f64 v[22:23], v[18:19], v[22:23], 1.0
	v_fma_f64 v[18:19], v[16:17], v[20:21], v[14:15]
	v_fma_f64 v[14:15], -v[14:15], v[20:21], v[16:17]
	v_mul_f64 v[18:19], v[18:19], v[22:23]
	v_mul_f64 v[20:21], v[14:15], v[22:23]
.LBB238_100:                            ;   in Loop: Header=BB238_94 Depth=1
	s_add_i32 s19, s19, s10
	s_lshl_b32 s8, s19, 4
	v_mov_b32_e32 v14, s8
	ds_read_b128 v[22:25], v14
	s_add_i32 s19, s20, 0xfffffdf0
	v_mov_b32_e32 v14, s19
	ds_read_b128 v[14:17], v14
	ds_write_b128 v29, v[18:21]
	s_waitcnt lgkmcnt(2)
	v_mul_f64 v[30:31], v[20:21], v[24:25]
	v_fma_f64 v[30:31], v[18:19], v[22:23], -v[30:31]
	v_mul_f64 v[24:25], v[18:19], v[24:25]
	v_fmac_f64_e32 v[24:25], v[20:21], v[22:23]
	v_add_f64 v[22:23], v[10:11], -v[30:31]
	s_waitcnt lgkmcnt(1)
	v_xor_b32_e32 v10, 0x80000000, v15
	v_cmp_gt_f64_e32 vcc, 0, v[14:15]
	v_add_f64 v[24:25], v[12:13], -v[24:25]
	v_cndmask_b32_e32 v11, v15, v10, vcc
	v_xor_b32_e32 v12, 0x80000000, v17
	v_cmp_gt_f64_e32 vcc, 0, v[16:17]
	v_mov_b32_e32 v10, v14
	v_cndmask_b32_e32 v13, v17, v12, vcc
	v_mov_b32_e32 v12, v16
	v_cmp_ngt_f64_e32 vcc, v[10:11], v[12:13]
	s_cbranch_vccz .LBB238_102
; %bb.101:                              ;   in Loop: Header=BB238_94 Depth=1
	v_div_scale_f64 v[10:11], s[8:9], v[16:17], v[16:17], v[14:15]
	v_rcp_f64_e32 v[12:13], v[10:11]
	v_div_scale_f64 v[30:31], vcc, v[14:15], v[16:17], v[14:15]
	v_fma_f64 v[32:33], -v[10:11], v[12:13], 1.0
	v_fmac_f64_e32 v[12:13], v[12:13], v[32:33]
	v_fma_f64 v[32:33], -v[10:11], v[12:13], 1.0
	v_fmac_f64_e32 v[12:13], v[12:13], v[32:33]
	v_mul_f64 v[32:33], v[30:31], v[12:13]
	v_fma_f64 v[10:11], -v[10:11], v[32:33], v[30:31]
	v_div_fmas_f64 v[10:11], v[10:11], v[12:13], v[32:33]
	v_div_fixup_f64 v[12:13], v[10:11], v[16:17], v[14:15]
	v_fma_f64 v[10:11], v[14:15], v[12:13], v[16:17]
	v_div_scale_f64 v[30:31], s[8:9], v[10:11], v[10:11], 1.0
	v_rcp_f64_e32 v[32:33], v[30:31]
	v_fma_f64 v[34:35], -v[30:31], v[32:33], 1.0
	v_fmac_f64_e32 v[32:33], v[32:33], v[34:35]
	v_fma_f64 v[34:35], -v[30:31], v[32:33], 1.0
	v_fmac_f64_e32 v[32:33], v[32:33], v[34:35]
	v_div_scale_f64 v[34:35], vcc, 1.0, v[10:11], 1.0
	v_mul_f64 v[36:37], v[34:35], v[32:33]
	v_fma_f64 v[30:31], -v[30:31], v[36:37], v[34:35]
	s_nop 1
	v_div_fmas_f64 v[30:31], v[30:31], v[32:33], v[36:37]
	v_div_fixup_f64 v[30:31], v[30:31], v[10:11], 1.0
	v_fma_f64 v[10:11], v[12:13], v[22:23], v[24:25]
	v_fma_f64 v[12:13], v[12:13], v[24:25], -v[22:23]
	v_mul_f64 v[10:11], v[10:11], v[30:31]
	v_mul_f64 v[12:13], v[12:13], v[30:31]
	s_cbranch_execz .LBB238_103
	s_branch .LBB238_104
.LBB238_102:                            ;   in Loop: Header=BB238_94 Depth=1
                                        ; implicit-def: $vgpr12_vgpr13
.LBB238_103:                            ;   in Loop: Header=BB238_94 Depth=1
	v_div_scale_f64 v[10:11], s[8:9], v[14:15], v[14:15], v[16:17]
	v_rcp_f64_e32 v[12:13], v[10:11]
	v_div_scale_f64 v[30:31], vcc, v[16:17], v[14:15], v[16:17]
	v_fma_f64 v[32:33], -v[10:11], v[12:13], 1.0
	v_fmac_f64_e32 v[12:13], v[12:13], v[32:33]
	v_fma_f64 v[32:33], -v[10:11], v[12:13], 1.0
	v_fmac_f64_e32 v[12:13], v[12:13], v[32:33]
	v_mul_f64 v[32:33], v[30:31], v[12:13]
	v_fma_f64 v[10:11], -v[10:11], v[32:33], v[30:31]
	v_div_fmas_f64 v[10:11], v[10:11], v[12:13], v[32:33]
	v_div_fixup_f64 v[12:13], v[10:11], v[14:15], v[16:17]
	v_fmac_f64_e32 v[14:15], v[16:17], v[12:13]
	v_div_scale_f64 v[10:11], s[8:9], v[14:15], v[14:15], 1.0
	v_rcp_f64_e32 v[16:17], v[10:11]
	v_fma_f64 v[30:31], -v[10:11], v[16:17], 1.0
	v_fmac_f64_e32 v[16:17], v[16:17], v[30:31]
	v_fma_f64 v[30:31], -v[10:11], v[16:17], 1.0
	v_fmac_f64_e32 v[16:17], v[16:17], v[30:31]
	v_div_scale_f64 v[30:31], vcc, 1.0, v[14:15], 1.0
	v_mul_f64 v[32:33], v[30:31], v[16:17]
	v_fma_f64 v[10:11], -v[10:11], v[32:33], v[30:31]
	s_nop 1
	v_div_fmas_f64 v[10:11], v[10:11], v[16:17], v[32:33]
	v_div_fixup_f64 v[14:15], v[10:11], v[14:15], 1.0
	v_fma_f64 v[10:11], v[12:13], v[24:25], v[22:23]
	v_fma_f64 v[12:13], -v[12:13], v[22:23], v[24:25]
	v_mul_f64 v[10:11], v[10:11], v[14:15]
	v_mul_f64 v[12:13], v[12:13], v[14:15]
.LBB238_104:                            ;   in Loop: Header=BB238_94 Depth=1
	s_add_i32 s8, s18, s10
	s_lshl_b32 s8, s8, 4
	v_mov_b32_e32 v14, s8
	s_add_i32 s18, s18, s16
	ds_read_b128 v[14:17], v14
	s_lshl_b32 s8, s18, 4
	v_mov_b32_e32 v22, s8
	ds_read_b128 v[22:25], v22
	ds_write_b128 v28, v[10:13]
	s_waitcnt lgkmcnt(2)
	v_mul_f64 v[28:29], v[20:21], v[16:17]
	v_fma_f64 v[28:29], v[18:19], v[14:15], -v[28:29]
	v_mul_f64 v[16:17], v[18:19], v[16:17]
	v_fmac_f64_e32 v[16:17], v[20:21], v[14:15]
	v_add_f64 v[14:15], v[6:7], -v[28:29]
	s_waitcnt lgkmcnt(1)
	v_mul_f64 v[6:7], v[12:13], v[24:25]
	s_add_i32 s18, s19, 0xfffffdf0
	v_fma_f64 v[28:29], v[10:11], v[22:23], -v[6:7]
	v_mov_b32_e32 v6, s18
	v_add_f64 v[16:17], v[8:9], -v[16:17]
	ds_read_b128 v[6:9], v6
	v_mul_f64 v[24:25], v[10:11], v[24:25]
	v_fmac_f64_e32 v[24:25], v[12:13], v[22:23]
	v_add_f64 v[22:23], v[14:15], -v[28:29]
	v_add_f64 v[24:25], v[16:17], -v[24:25]
	s_waitcnt lgkmcnt(0)
	v_xor_b32_e32 v14, 0x80000000, v7
	v_cmp_gt_f64_e32 vcc, 0, v[6:7]
	v_cndmask_b32_e32 v15, v7, v14, vcc
	v_xor_b32_e32 v16, 0x80000000, v9
	v_cmp_gt_f64_e32 vcc, 0, v[8:9]
	v_mov_b32_e32 v14, v6
	v_cndmask_b32_e32 v17, v9, v16, vcc
	v_mov_b32_e32 v16, v8
	v_cmp_ngt_f64_e32 vcc, v[14:15], v[16:17]
	s_cbranch_vccz .LBB238_106
; %bb.105:                              ;   in Loop: Header=BB238_94 Depth=1
	v_div_scale_f64 v[14:15], s[8:9], v[8:9], v[8:9], v[6:7]
	v_rcp_f64_e32 v[16:17], v[14:15]
	v_div_scale_f64 v[28:29], vcc, v[6:7], v[8:9], v[6:7]
	v_fma_f64 v[30:31], -v[14:15], v[16:17], 1.0
	v_fmac_f64_e32 v[16:17], v[16:17], v[30:31]
	v_fma_f64 v[30:31], -v[14:15], v[16:17], 1.0
	v_fmac_f64_e32 v[16:17], v[16:17], v[30:31]
	v_mul_f64 v[30:31], v[28:29], v[16:17]
	v_fma_f64 v[14:15], -v[14:15], v[30:31], v[28:29]
	v_div_fmas_f64 v[14:15], v[14:15], v[16:17], v[30:31]
	v_div_fixup_f64 v[16:17], v[14:15], v[8:9], v[6:7]
	v_fma_f64 v[14:15], v[6:7], v[16:17], v[8:9]
	v_div_scale_f64 v[28:29], s[8:9], v[14:15], v[14:15], 1.0
	v_rcp_f64_e32 v[30:31], v[28:29]
	v_fma_f64 v[32:33], -v[28:29], v[30:31], 1.0
	v_fmac_f64_e32 v[30:31], v[30:31], v[32:33]
	v_fma_f64 v[32:33], -v[28:29], v[30:31], 1.0
	v_fmac_f64_e32 v[30:31], v[30:31], v[32:33]
	v_div_scale_f64 v[32:33], vcc, 1.0, v[14:15], 1.0
	v_mul_f64 v[34:35], v[32:33], v[30:31]
	v_fma_f64 v[28:29], -v[28:29], v[34:35], v[32:33]
	s_nop 1
	v_div_fmas_f64 v[28:29], v[28:29], v[30:31], v[34:35]
	v_div_fixup_f64 v[28:29], v[28:29], v[14:15], 1.0
	v_fma_f64 v[14:15], v[16:17], v[22:23], v[24:25]
	v_fma_f64 v[16:17], v[16:17], v[24:25], -v[22:23]
	v_mul_f64 v[14:15], v[14:15], v[28:29]
	v_mul_f64 v[16:17], v[16:17], v[28:29]
	s_cbranch_execz .LBB238_107
	s_branch .LBB238_108
.LBB238_106:                            ;   in Loop: Header=BB238_94 Depth=1
                                        ; implicit-def: $vgpr16_vgpr17
.LBB238_107:                            ;   in Loop: Header=BB238_94 Depth=1
	v_div_scale_f64 v[14:15], s[8:9], v[6:7], v[6:7], v[8:9]
	v_rcp_f64_e32 v[16:17], v[14:15]
	v_div_scale_f64 v[28:29], vcc, v[8:9], v[6:7], v[8:9]
	v_fma_f64 v[30:31], -v[14:15], v[16:17], 1.0
	v_fmac_f64_e32 v[16:17], v[16:17], v[30:31]
	v_fma_f64 v[30:31], -v[14:15], v[16:17], 1.0
	v_fmac_f64_e32 v[16:17], v[16:17], v[30:31]
	v_mul_f64 v[30:31], v[28:29], v[16:17]
	v_fma_f64 v[14:15], -v[14:15], v[30:31], v[28:29]
	v_div_fmas_f64 v[14:15], v[14:15], v[16:17], v[30:31]
	v_div_fixup_f64 v[16:17], v[14:15], v[6:7], v[8:9]
	v_fmac_f64_e32 v[6:7], v[8:9], v[16:17]
	v_div_scale_f64 v[8:9], s[8:9], v[6:7], v[6:7], 1.0
	v_rcp_f64_e32 v[14:15], v[8:9]
	v_fma_f64 v[28:29], -v[8:9], v[14:15], 1.0
	v_fmac_f64_e32 v[14:15], v[14:15], v[28:29]
	v_fma_f64 v[28:29], -v[8:9], v[14:15], 1.0
	v_fmac_f64_e32 v[14:15], v[14:15], v[28:29]
	v_div_scale_f64 v[28:29], vcc, 1.0, v[6:7], 1.0
	v_mul_f64 v[30:31], v[28:29], v[14:15]
	v_fma_f64 v[8:9], -v[8:9], v[30:31], v[28:29]
	s_nop 1
	v_div_fmas_f64 v[8:9], v[8:9], v[14:15], v[30:31]
	v_div_fixup_f64 v[6:7], v[8:9], v[6:7], 1.0
	v_fma_f64 v[8:9], v[16:17], v[24:25], v[22:23]
	v_mul_f64 v[14:15], v[8:9], v[6:7]
	v_fma_f64 v[8:9], -v[16:17], v[22:23], v[24:25]
	v_mul_f64 v[16:17], v[8:9], v[6:7]
.LBB238_108:                            ;   in Loop: Header=BB238_94 Depth=1
	s_add_i32 s8, s17, s10
	s_lshl_b32 s8, s8, 4
	v_mov_b32_e32 v6, s8
	s_add_i32 s8, s17, s16
	s_lshl_b32 s8, s8, 4
	ds_read_b128 v[6:9], v6
	v_mov_b32_e32 v22, s8
	ds_read_b128 v[22:25], v22
	s_add_i32 s17, s17, s11
	s_lshl_b32 s8, s17, 4
	s_waitcnt lgkmcnt(1)
	v_mul_f64 v[28:29], v[20:21], v[8:9]
	v_mul_f64 v[8:9], v[18:19], v[8:9]
	v_fma_f64 v[28:29], v[18:19], v[6:7], -v[28:29]
	v_fmac_f64_e32 v[8:9], v[20:21], v[6:7]
	s_waitcnt lgkmcnt(0)
	v_mul_f64 v[6:7], v[12:13], v[24:25]
	v_add_f64 v[2:3], v[2:3], -v[28:29]
	v_fma_f64 v[6:7], v[10:11], v[22:23], -v[6:7]
	v_mul_f64 v[10:11], v[10:11], v[24:25]
	v_fmac_f64_e32 v[10:11], v[12:13], v[22:23]
	v_add_f64 v[12:13], v[2:3], -v[6:7]
	v_mov_b32_e32 v2, s8
	s_add_i32 s8, s18, 0xfffffdf0
	v_add_f64 v[4:5], v[4:5], -v[8:9]
	ds_read_b128 v[6:9], v2
	v_mov_b32_e32 v2, s8
	v_add_f64 v[18:19], v[4:5], -v[10:11]
	ds_read_b128 v[2:5], v2
	ds_write_b128 v27, v[14:17]
	s_waitcnt lgkmcnt(2)
	v_mul_f64 v[10:11], v[16:17], v[8:9]
	v_mul_f64 v[8:9], v[14:15], v[8:9]
	v_fma_f64 v[10:11], v[14:15], v[6:7], -v[10:11]
	v_fmac_f64_e32 v[8:9], v[16:17], v[6:7]
	s_waitcnt lgkmcnt(1)
	v_xor_b32_e32 v6, 0x80000000, v3
	v_cmp_gt_f64_e32 vcc, 0, v[2:3]
	v_add_f64 v[10:11], v[12:13], -v[10:11]
	v_add_f64 v[12:13], v[18:19], -v[8:9]
	v_cndmask_b32_e32 v7, v3, v6, vcc
	v_xor_b32_e32 v8, 0x80000000, v5
	v_cmp_gt_f64_e32 vcc, 0, v[4:5]
	v_mov_b32_e32 v6, v2
	v_cndmask_b32_e32 v9, v5, v8, vcc
	v_mov_b32_e32 v8, v4
	v_cmp_ngt_f64_e32 vcc, v[6:7], v[8:9]
	s_cbranch_vccz .LBB238_110
; %bb.109:                              ;   in Loop: Header=BB238_94 Depth=1
	v_div_scale_f64 v[6:7], s[8:9], v[4:5], v[4:5], v[2:3]
	v_rcp_f64_e32 v[8:9], v[6:7]
	v_div_scale_f64 v[14:15], vcc, v[2:3], v[4:5], v[2:3]
	v_fma_f64 v[16:17], -v[6:7], v[8:9], 1.0
	v_fmac_f64_e32 v[8:9], v[8:9], v[16:17]
	v_fma_f64 v[16:17], -v[6:7], v[8:9], 1.0
	v_fmac_f64_e32 v[8:9], v[8:9], v[16:17]
	v_mul_f64 v[16:17], v[14:15], v[8:9]
	v_fma_f64 v[6:7], -v[6:7], v[16:17], v[14:15]
	v_div_fmas_f64 v[6:7], v[6:7], v[8:9], v[16:17]
	v_div_fixup_f64 v[8:9], v[6:7], v[4:5], v[2:3]
	v_fma_f64 v[6:7], v[2:3], v[8:9], v[4:5]
	v_div_scale_f64 v[14:15], s[8:9], v[6:7], v[6:7], 1.0
	v_rcp_f64_e32 v[16:17], v[14:15]
	v_fma_f64 v[18:19], -v[14:15], v[16:17], 1.0
	v_fmac_f64_e32 v[16:17], v[16:17], v[18:19]
	v_fma_f64 v[18:19], -v[14:15], v[16:17], 1.0
	v_fmac_f64_e32 v[16:17], v[16:17], v[18:19]
	v_div_scale_f64 v[18:19], vcc, 1.0, v[6:7], 1.0
	v_mul_f64 v[20:21], v[18:19], v[16:17]
	v_fma_f64 v[14:15], -v[14:15], v[20:21], v[18:19]
	s_nop 1
	v_div_fmas_f64 v[14:15], v[14:15], v[16:17], v[20:21]
	v_div_fixup_f64 v[14:15], v[14:15], v[6:7], 1.0
	v_fma_f64 v[6:7], v[8:9], v[10:11], v[12:13]
	v_fma_f64 v[8:9], v[8:9], v[12:13], -v[10:11]
	v_mul_f64 v[6:7], v[6:7], v[14:15]
	v_mul_f64 v[8:9], v[8:9], v[14:15]
	s_cbranch_execz .LBB238_111
	s_branch .LBB238_112
.LBB238_110:                            ;   in Loop: Header=BB238_94 Depth=1
                                        ; implicit-def: $vgpr8_vgpr9
.LBB238_111:                            ;   in Loop: Header=BB238_94 Depth=1
	v_div_scale_f64 v[6:7], s[8:9], v[2:3], v[2:3], v[4:5]
	v_rcp_f64_e32 v[8:9], v[6:7]
	v_div_scale_f64 v[14:15], vcc, v[4:5], v[2:3], v[4:5]
	v_fma_f64 v[16:17], -v[6:7], v[8:9], 1.0
	v_fmac_f64_e32 v[8:9], v[8:9], v[16:17]
	v_fma_f64 v[16:17], -v[6:7], v[8:9], 1.0
	v_fmac_f64_e32 v[8:9], v[8:9], v[16:17]
	v_mul_f64 v[16:17], v[14:15], v[8:9]
	v_fma_f64 v[6:7], -v[6:7], v[16:17], v[14:15]
	v_div_fmas_f64 v[6:7], v[6:7], v[8:9], v[16:17]
	v_div_fixup_f64 v[8:9], v[6:7], v[2:3], v[4:5]
	v_fmac_f64_e32 v[2:3], v[4:5], v[8:9]
	v_div_scale_f64 v[4:5], s[8:9], v[2:3], v[2:3], 1.0
	v_rcp_f64_e32 v[6:7], v[4:5]
	v_fma_f64 v[14:15], -v[4:5], v[6:7], 1.0
	v_fmac_f64_e32 v[6:7], v[6:7], v[14:15]
	v_fma_f64 v[14:15], -v[4:5], v[6:7], 1.0
	v_fmac_f64_e32 v[6:7], v[6:7], v[14:15]
	v_div_scale_f64 v[14:15], vcc, 1.0, v[2:3], 1.0
	v_mul_f64 v[16:17], v[14:15], v[6:7]
	v_fma_f64 v[4:5], -v[4:5], v[16:17], v[14:15]
	s_nop 1
	v_div_fmas_f64 v[4:5], v[4:5], v[6:7], v[16:17]
	v_div_fixup_f64 v[2:3], v[4:5], v[2:3], 1.0
	v_fma_f64 v[4:5], v[8:9], v[12:13], v[10:11]
	v_mul_f64 v[6:7], v[4:5], v[2:3]
	v_fma_f64 v[4:5], -v[8:9], v[10:11], v[12:13]
	v_mul_f64 v[8:9], v[4:5], v[2:3]
.LBB238_112:                            ;   in Loop: Header=BB238_94 Depth=1
	s_add_i32 s11, s10, -4
	s_addk_i32 s1, 0xf800
	s_cmp_lt_i32 s10, 7
	ds_write_b128 v26, v[6:9]
	s_cbranch_scc1 .LBB238_114
; %bb.113:                              ;   in Loop: Header=BB238_94 Depth=1
	s_mov_b32 s10, s11
	s_branch .LBB238_94
.LBB238_114:
	s_cmp_lt_i32 s11, 0
	s_cbranch_scc1 .LBB238_123
; %bb.115:
	v_lshlrev_b32_e32 v1, 4, v0
	s_lshl_b32 s1, s11, 9
	s_lshl_b32 s8, s34, 4
	v_lshl_or_b32 v2, s34, 9, v1
	s_add_i32 s1, s1, s8
	v_add_u32_e32 v14, 0x3e00, v2
	s_add_i32 s1, s1, -16
	s_branch .LBB238_117
.LBB238_116:                            ;   in Loop: Header=BB238_117 Depth=1
	s_add_i32 s8, s11, -1
	s_addk_i32 s1, 0xfe00
	s_cmp_lt_i32 s11, 1
	s_mov_b32 s11, s8
	ds_write_b128 v15, v[10:13]
	s_cbranch_scc1 .LBB238_123
.LBB238_117:                            ; =>This Loop Header: Depth=1
                                        ;     Child Loop BB238_118 Depth 2
	v_lshl_or_b32 v6, s11, 9, v1
	ds_read_b128 v[2:5], v6 offset:16384
	s_cmp_le_i32 s35, s11
	s_mov_b32 s8, s1
	v_mov_b32_e32 v7, v14
	s_mov_b32 s9, s35
	s_cbranch_scc1 .LBB238_119
.LBB238_118:                            ;   Parent Loop BB238_117 Depth=1
                                        ; =>  This Inner Loop Header: Depth=2
	v_mov_b32_e32 v12, s8
	ds_read_b128 v[8:11], v7
	ds_read_b128 v[16:19], v12
	s_add_i32 s9, s9, -1
	s_add_i32 s8, s8, -16
	v_add_u32_e32 v7, 0xfffffe00, v7
	s_cmp_le_i32 s9, s11
	s_waitcnt lgkmcnt(0)
	v_mul_f64 v[12:13], v[18:19], v[10:11]
	v_mul_f64 v[10:11], v[16:17], v[10:11]
	v_fma_f64 v[12:13], v[16:17], v[8:9], -v[12:13]
	v_fmac_f64_e32 v[10:11], v[18:19], v[8:9]
	v_add_f64 v[2:3], v[2:3], -v[12:13]
	v_add_f64 v[4:5], v[4:5], -v[10:11]
	s_cbranch_scc0 .LBB238_118
.LBB238_119:                            ;   in Loop: Header=BB238_117 Depth=1
	s_mul_i32 s8, s11, 0x210
	v_add_u32_e32 v15, 0x4000, v6
	v_mov_b32_e32 v6, s8
	ds_read_b128 v[6:9], v6
	s_waitcnt lgkmcnt(0)
	v_xor_b32_e32 v11, 0x80000000, v7
	v_cmp_gt_f64_e32 vcc, 0, v[6:7]
	v_xor_b32_e32 v12, 0x80000000, v9
	v_cndmask_b32_e32 v11, v7, v11, vcc
	v_cmp_gt_f64_e32 vcc, 0, v[8:9]
	v_mov_b32_e32 v10, v6
	v_cndmask_b32_e32 v13, v9, v12, vcc
	v_mov_b32_e32 v12, v8
	v_cmp_ngt_f64_e32 vcc, v[10:11], v[12:13]
	s_cbranch_vccz .LBB238_121
; %bb.120:                              ;   in Loop: Header=BB238_117 Depth=1
	v_div_scale_f64 v[10:11], s[8:9], v[8:9], v[8:9], v[6:7]
	v_rcp_f64_e32 v[12:13], v[10:11]
	v_div_scale_f64 v[16:17], vcc, v[6:7], v[8:9], v[6:7]
	v_fma_f64 v[18:19], -v[10:11], v[12:13], 1.0
	v_fmac_f64_e32 v[12:13], v[12:13], v[18:19]
	v_fma_f64 v[18:19], -v[10:11], v[12:13], 1.0
	v_fmac_f64_e32 v[12:13], v[12:13], v[18:19]
	v_mul_f64 v[18:19], v[16:17], v[12:13]
	v_fma_f64 v[10:11], -v[10:11], v[18:19], v[16:17]
	v_div_fmas_f64 v[10:11], v[10:11], v[12:13], v[18:19]
	v_div_fixup_f64 v[12:13], v[10:11], v[8:9], v[6:7]
	v_fma_f64 v[10:11], v[6:7], v[12:13], v[8:9]
	v_div_scale_f64 v[16:17], s[8:9], v[10:11], v[10:11], 1.0
	v_rcp_f64_e32 v[18:19], v[16:17]
	v_fma_f64 v[20:21], -v[16:17], v[18:19], 1.0
	v_fmac_f64_e32 v[18:19], v[18:19], v[20:21]
	v_fma_f64 v[20:21], -v[16:17], v[18:19], 1.0
	v_fmac_f64_e32 v[18:19], v[18:19], v[20:21]
	v_div_scale_f64 v[20:21], vcc, 1.0, v[10:11], 1.0
	v_mul_f64 v[22:23], v[20:21], v[18:19]
	v_fma_f64 v[16:17], -v[16:17], v[22:23], v[20:21]
	s_nop 1
	v_div_fmas_f64 v[16:17], v[16:17], v[18:19], v[22:23]
	v_div_fixup_f64 v[16:17], v[16:17], v[10:11], 1.0
	v_fma_f64 v[10:11], v[2:3], v[12:13], v[4:5]
	v_fma_f64 v[12:13], v[4:5], v[12:13], -v[2:3]
	v_mul_f64 v[10:11], v[10:11], v[16:17]
	v_mul_f64 v[12:13], v[12:13], v[16:17]
	s_cbranch_execnz .LBB238_116
	s_branch .LBB238_122
.LBB238_121:                            ;   in Loop: Header=BB238_117 Depth=1
                                        ; implicit-def: $vgpr10_vgpr11
.LBB238_122:                            ;   in Loop: Header=BB238_117 Depth=1
	v_div_scale_f64 v[10:11], s[8:9], v[6:7], v[6:7], v[8:9]
	v_rcp_f64_e32 v[12:13], v[10:11]
	v_div_scale_f64 v[16:17], vcc, v[8:9], v[6:7], v[8:9]
	v_fma_f64 v[18:19], -v[10:11], v[12:13], 1.0
	v_fmac_f64_e32 v[12:13], v[12:13], v[18:19]
	v_fma_f64 v[18:19], -v[10:11], v[12:13], 1.0
	v_fmac_f64_e32 v[12:13], v[12:13], v[18:19]
	v_mul_f64 v[18:19], v[16:17], v[12:13]
	v_fma_f64 v[10:11], -v[10:11], v[18:19], v[16:17]
	v_div_fmas_f64 v[10:11], v[10:11], v[12:13], v[18:19]
	v_div_fixup_f64 v[12:13], v[10:11], v[6:7], v[8:9]
	v_fmac_f64_e32 v[6:7], v[8:9], v[12:13]
	v_div_scale_f64 v[8:9], s[8:9], v[6:7], v[6:7], 1.0
	v_rcp_f64_e32 v[10:11], v[8:9]
	v_fma_f64 v[16:17], -v[8:9], v[10:11], 1.0
	v_fmac_f64_e32 v[10:11], v[10:11], v[16:17]
	v_fma_f64 v[16:17], -v[8:9], v[10:11], 1.0
	v_fmac_f64_e32 v[10:11], v[10:11], v[16:17]
	v_div_scale_f64 v[16:17], vcc, 1.0, v[6:7], 1.0
	v_mul_f64 v[18:19], v[16:17], v[10:11]
	v_fma_f64 v[8:9], -v[8:9], v[18:19], v[16:17]
	s_nop 1
	v_div_fmas_f64 v[8:9], v[8:9], v[10:11], v[18:19]
	v_div_fixup_f64 v[6:7], v[8:9], v[6:7], 1.0
	v_fma_f64 v[8:9], v[4:5], v[12:13], v[2:3]
	v_fma_f64 v[2:3], -v[2:3], v[12:13], v[4:5]
	v_mul_f64 v[10:11], v[8:9], v[6:7]
	v_mul_f64 v[12:13], v[2:3], v[6:7]
	s_branch .LBB238_116
.LBB238_123:
	s_mov_b64 s[18:19], 0
.LBB238_124:
	s_andn2_b64 vcc, exec, s[18:19]
	s_cbranch_vccnz .LBB238_163
; %bb.125:
	s_cmp_lt_i32 s33, 4
	s_mov_b32 s11, 0
	s_cbranch_scc1 .LBB238_148
; %bb.126:
	v_mov_b32_e32 v1, 0x4000
	v_lshl_or_b32 v1, v0, 4, v1
	s_mov_b32 s1, 0
	s_mov_b32 s10, 0
.LBB238_127:                            ; =>This Loop Header: Depth=1
                                        ;     Child Loop BB238_129 Depth 2
	s_lshl_b32 s8, s10, 5
	v_or_b32_e32 v2, s8, v0
	s_or_b32 s18, s8, 32
	v_lshlrev_b32_e32 v18, 4, v2
	v_or_b32_e32 v2, s18, v0
	s_or_b32 s16, s8, 64
	v_lshlrev_b32_e32 v19, 4, v2
	;; [unrolled: 3-line block ×3, first 2 shown]
	v_or_b32_e32 v2, s11, v0
	ds_read_b128 v[14:17], v18 offset:16384
	ds_read_b128 v[10:13], v19 offset:16384
	v_lshlrev_b32_e32 v21, 4, v2
	ds_read_b128 v[6:9], v20 offset:16384
	ds_read_b128 v[2:5], v21 offset:16384
	s_cmp_eq_u32 s10, 0
	s_cbranch_scc1 .LBB238_130
; %bb.128:                              ;   in Loop: Header=BB238_127 Depth=1
	s_mov_b32 s8, 0
	s_mov_b32 s9, s1
	v_mov_b32_e32 v22, v1
.LBB238_129:                            ;   Parent Loop BB238_127 Depth=1
                                        ; =>  This Inner Loop Header: Depth=2
	v_mov_b32_e32 v23, s9
	ds_read_b128 v[24:27], v22
	ds_read_b128 v[28:31], v22 offset:512
	ds_read_b128 v[32:35], v23
	ds_read_b128 v[36:39], v23 offset:16
	ds_read_b128 v[40:43], v23 offset:512
	ds_read_b128 v[44:47], v23 offset:528
	ds_read_b128 v[48:51], v23 offset:1024
	ds_read_b128 v[52:55], v23 offset:1040
	ds_read_b128 v[56:59], v23 offset:1536
	ds_read_b128 v[60:63], v23 offset:1552
	s_add_i32 s8, s8, 2
	s_add_i32 s9, s9, 32
	s_waitcnt lgkmcnt(7)
	v_mul_f64 v[64:65], v[26:27], v[34:35]
	v_mul_f64 v[34:35], v[24:25], v[34:35]
	s_waitcnt lgkmcnt(5)
	v_mul_f64 v[66:67], v[26:27], v[42:43]
	v_mul_f64 v[42:43], v[24:25], v[42:43]
	;; [unrolled: 3-line block ×4, first 2 shown]
	v_mul_f64 v[72:73], v[30:31], v[38:39]
	v_mul_f64 v[38:39], v[28:29], v[38:39]
	;; [unrolled: 1-line block ×6, first 2 shown]
	s_waitcnt lgkmcnt(0)
	v_mul_f64 v[78:79], v[30:31], v[62:63]
	v_mul_f64 v[62:63], v[28:29], v[62:63]
	v_fma_f64 v[64:65], v[24:25], v[32:33], -v[64:65]
	v_fmac_f64_e32 v[34:35], v[26:27], v[32:33]
	v_fma_f64 v[32:33], v[24:25], v[40:41], -v[66:67]
	v_fmac_f64_e32 v[42:43], v[26:27], v[40:41]
	;; [unrolled: 2-line block ×8, first 2 shown]
	v_add_f64 v[14:15], v[14:15], -v[64:65]
	v_add_f64 v[16:17], v[16:17], -v[34:35]
	v_add_f64 v[10:11], v[10:11], -v[32:33]
	v_add_f64 v[12:13], v[12:13], -v[42:43]
	v_add_f64 v[6:7], v[6:7], -v[40:41]
	v_add_f64 v[8:9], v[8:9], -v[50:51]
	v_add_f64 v[2:3], v[2:3], -v[24:25]
	v_add_f64 v[4:5], v[4:5], -v[58:59]
	v_add_u32_e32 v22, 0x400, v22
	s_cmp_ge_u32 s8, s10
	v_add_f64 v[14:15], v[14:15], -v[26:27]
	v_add_f64 v[16:17], v[16:17], -v[38:39]
	;; [unrolled: 1-line block ×8, first 2 shown]
	s_cbranch_scc0 .LBB238_129
.LBB238_130:                            ;   in Loop: Header=BB238_127 Depth=1
	s_mul_i32 s17, s10, 0x210
	v_add_u32_e32 v29, 0x4000, v18
	v_mov_b32_e32 v18, s17
	ds_read_b128 v[22:25], v18
	v_add_u32_e32 v28, 0x4000, v19
	v_add_u32_e32 v27, 0x4000, v20
	;; [unrolled: 1-line block ×3, first 2 shown]
	s_waitcnt lgkmcnt(0)
	v_xor_b32_e32 v19, 0x80000000, v23
	v_cmp_gt_f64_e32 vcc, 0, v[22:23]
	v_xor_b32_e32 v20, 0x80000000, v25
	v_cndmask_b32_e32 v19, v23, v19, vcc
	v_cmp_gt_f64_e32 vcc, 0, v[24:25]
	v_mov_b32_e32 v18, v22
	v_cndmask_b32_e32 v21, v25, v20, vcc
	v_mov_b32_e32 v20, v24
	v_cmp_ngt_f64_e32 vcc, v[18:19], v[20:21]
	s_cbranch_vccz .LBB238_132
; %bb.131:                              ;   in Loop: Header=BB238_127 Depth=1
	v_div_scale_f64 v[18:19], s[8:9], v[24:25], v[24:25], v[22:23]
	v_rcp_f64_e32 v[20:21], v[18:19]
	v_div_scale_f64 v[30:31], vcc, v[22:23], v[24:25], v[22:23]
	v_fma_f64 v[32:33], -v[18:19], v[20:21], 1.0
	v_fmac_f64_e32 v[20:21], v[20:21], v[32:33]
	v_fma_f64 v[32:33], -v[18:19], v[20:21], 1.0
	v_fmac_f64_e32 v[20:21], v[20:21], v[32:33]
	v_mul_f64 v[32:33], v[30:31], v[20:21]
	v_fma_f64 v[18:19], -v[18:19], v[32:33], v[30:31]
	v_div_fmas_f64 v[18:19], v[18:19], v[20:21], v[32:33]
	v_div_fixup_f64 v[20:21], v[18:19], v[24:25], v[22:23]
	v_fma_f64 v[18:19], v[22:23], v[20:21], v[24:25]
	v_div_scale_f64 v[30:31], s[8:9], v[18:19], v[18:19], 1.0
	v_rcp_f64_e32 v[32:33], v[30:31]
	v_fma_f64 v[34:35], -v[30:31], v[32:33], 1.0
	v_fmac_f64_e32 v[32:33], v[32:33], v[34:35]
	v_fma_f64 v[34:35], -v[30:31], v[32:33], 1.0
	v_fmac_f64_e32 v[32:33], v[32:33], v[34:35]
	v_div_scale_f64 v[34:35], vcc, 1.0, v[18:19], 1.0
	v_mul_f64 v[36:37], v[34:35], v[32:33]
	v_fma_f64 v[30:31], -v[30:31], v[36:37], v[34:35]
	s_nop 1
	v_div_fmas_f64 v[30:31], v[30:31], v[32:33], v[36:37]
	v_div_fixup_f64 v[30:31], v[30:31], v[18:19], 1.0
	v_fma_f64 v[18:19], v[14:15], v[20:21], v[16:17]
	v_fma_f64 v[20:21], v[16:17], v[20:21], -v[14:15]
	v_mul_f64 v[18:19], v[18:19], v[30:31]
	v_mul_f64 v[20:21], v[20:21], v[30:31]
	s_cbranch_execz .LBB238_133
	s_branch .LBB238_134
.LBB238_132:                            ;   in Loop: Header=BB238_127 Depth=1
                                        ; implicit-def: $vgpr20_vgpr21
.LBB238_133:                            ;   in Loop: Header=BB238_127 Depth=1
	v_div_scale_f64 v[18:19], s[8:9], v[22:23], v[22:23], v[24:25]
	v_rcp_f64_e32 v[20:21], v[18:19]
	v_div_scale_f64 v[30:31], vcc, v[24:25], v[22:23], v[24:25]
	v_fma_f64 v[32:33], -v[18:19], v[20:21], 1.0
	v_fmac_f64_e32 v[20:21], v[20:21], v[32:33]
	v_fma_f64 v[32:33], -v[18:19], v[20:21], 1.0
	v_fmac_f64_e32 v[20:21], v[20:21], v[32:33]
	v_mul_f64 v[32:33], v[30:31], v[20:21]
	v_fma_f64 v[18:19], -v[18:19], v[32:33], v[30:31]
	v_div_fmas_f64 v[18:19], v[18:19], v[20:21], v[32:33]
	v_div_fixup_f64 v[20:21], v[18:19], v[22:23], v[24:25]
	v_fmac_f64_e32 v[22:23], v[24:25], v[20:21]
	v_div_scale_f64 v[18:19], s[8:9], v[22:23], v[22:23], 1.0
	v_rcp_f64_e32 v[24:25], v[18:19]
	v_fma_f64 v[30:31], -v[18:19], v[24:25], 1.0
	v_fmac_f64_e32 v[24:25], v[24:25], v[30:31]
	v_fma_f64 v[30:31], -v[18:19], v[24:25], 1.0
	v_fmac_f64_e32 v[24:25], v[24:25], v[30:31]
	v_div_scale_f64 v[30:31], vcc, 1.0, v[22:23], 1.0
	v_mul_f64 v[32:33], v[30:31], v[24:25]
	v_fma_f64 v[18:19], -v[18:19], v[32:33], v[30:31]
	s_nop 1
	v_div_fmas_f64 v[18:19], v[18:19], v[24:25], v[32:33]
	v_div_fixup_f64 v[22:23], v[18:19], v[22:23], 1.0
	v_fma_f64 v[18:19], v[16:17], v[20:21], v[14:15]
	v_fma_f64 v[14:15], -v[14:15], v[20:21], v[16:17]
	v_mul_f64 v[18:19], v[18:19], v[22:23]
	v_mul_f64 v[20:21], v[14:15], v[22:23]
.LBB238_134:                            ;   in Loop: Header=BB238_127 Depth=1
	s_add_i32 s18, s18, s10
	s_lshl_b32 s8, s18, 4
	v_mov_b32_e32 v14, s8
	ds_read_b128 v[22:25], v14
	v_mov_b32_e32 v14, s17
	ds_read_b128 v[14:17], v14 offset:528
	ds_write_b128 v29, v[18:21]
	s_waitcnt lgkmcnt(2)
	v_mul_f64 v[30:31], v[20:21], v[24:25]
	v_mul_f64 v[24:25], v[18:19], v[24:25]
	v_fma_f64 v[30:31], v[18:19], v[22:23], -v[30:31]
	v_fmac_f64_e32 v[24:25], v[20:21], v[22:23]
	v_add_f64 v[22:23], v[10:11], -v[30:31]
	s_waitcnt lgkmcnt(1)
	v_xor_b32_e32 v10, 0x80000000, v15
	v_cmp_gt_f64_e32 vcc, 0, v[14:15]
	v_add_f64 v[24:25], v[12:13], -v[24:25]
	v_cndmask_b32_e32 v11, v15, v10, vcc
	v_xor_b32_e32 v12, 0x80000000, v17
	v_cmp_gt_f64_e32 vcc, 0, v[16:17]
	v_mov_b32_e32 v10, v14
	v_cndmask_b32_e32 v13, v17, v12, vcc
	v_mov_b32_e32 v12, v16
	v_cmp_ngt_f64_e32 vcc, v[10:11], v[12:13]
	s_cbranch_vccz .LBB238_136
; %bb.135:                              ;   in Loop: Header=BB238_127 Depth=1
	v_div_scale_f64 v[10:11], s[8:9], v[16:17], v[16:17], v[14:15]
	v_rcp_f64_e32 v[12:13], v[10:11]
	v_div_scale_f64 v[30:31], vcc, v[14:15], v[16:17], v[14:15]
	v_fma_f64 v[32:33], -v[10:11], v[12:13], 1.0
	v_fmac_f64_e32 v[12:13], v[12:13], v[32:33]
	v_fma_f64 v[32:33], -v[10:11], v[12:13], 1.0
	v_fmac_f64_e32 v[12:13], v[12:13], v[32:33]
	v_mul_f64 v[32:33], v[30:31], v[12:13]
	v_fma_f64 v[10:11], -v[10:11], v[32:33], v[30:31]
	v_div_fmas_f64 v[10:11], v[10:11], v[12:13], v[32:33]
	v_div_fixup_f64 v[12:13], v[10:11], v[16:17], v[14:15]
	v_fma_f64 v[10:11], v[14:15], v[12:13], v[16:17]
	v_div_scale_f64 v[30:31], s[8:9], v[10:11], v[10:11], 1.0
	v_rcp_f64_e32 v[32:33], v[30:31]
	v_fma_f64 v[34:35], -v[30:31], v[32:33], 1.0
	v_fmac_f64_e32 v[32:33], v[32:33], v[34:35]
	v_fma_f64 v[34:35], -v[30:31], v[32:33], 1.0
	v_fmac_f64_e32 v[32:33], v[32:33], v[34:35]
	v_div_scale_f64 v[34:35], vcc, 1.0, v[10:11], 1.0
	v_mul_f64 v[36:37], v[34:35], v[32:33]
	v_fma_f64 v[30:31], -v[30:31], v[36:37], v[34:35]
	s_nop 1
	v_div_fmas_f64 v[30:31], v[30:31], v[32:33], v[36:37]
	v_div_fixup_f64 v[30:31], v[30:31], v[10:11], 1.0
	v_fma_f64 v[10:11], v[12:13], v[22:23], v[24:25]
	v_fma_f64 v[12:13], v[12:13], v[24:25], -v[22:23]
	v_mul_f64 v[10:11], v[10:11], v[30:31]
	v_mul_f64 v[12:13], v[12:13], v[30:31]
	s_cbranch_execz .LBB238_137
	s_branch .LBB238_138
.LBB238_136:                            ;   in Loop: Header=BB238_127 Depth=1
                                        ; implicit-def: $vgpr12_vgpr13
.LBB238_137:                            ;   in Loop: Header=BB238_127 Depth=1
	v_div_scale_f64 v[10:11], s[8:9], v[14:15], v[14:15], v[16:17]
	v_rcp_f64_e32 v[12:13], v[10:11]
	v_div_scale_f64 v[30:31], vcc, v[16:17], v[14:15], v[16:17]
	v_fma_f64 v[32:33], -v[10:11], v[12:13], 1.0
	v_fmac_f64_e32 v[12:13], v[12:13], v[32:33]
	v_fma_f64 v[32:33], -v[10:11], v[12:13], 1.0
	v_fmac_f64_e32 v[12:13], v[12:13], v[32:33]
	v_mul_f64 v[32:33], v[30:31], v[12:13]
	v_fma_f64 v[10:11], -v[10:11], v[32:33], v[30:31]
	v_div_fmas_f64 v[10:11], v[10:11], v[12:13], v[32:33]
	v_div_fixup_f64 v[12:13], v[10:11], v[14:15], v[16:17]
	v_fmac_f64_e32 v[14:15], v[16:17], v[12:13]
	v_div_scale_f64 v[10:11], s[8:9], v[14:15], v[14:15], 1.0
	v_rcp_f64_e32 v[16:17], v[10:11]
	v_fma_f64 v[30:31], -v[10:11], v[16:17], 1.0
	v_fmac_f64_e32 v[16:17], v[16:17], v[30:31]
	v_fma_f64 v[30:31], -v[10:11], v[16:17], 1.0
	v_fmac_f64_e32 v[16:17], v[16:17], v[30:31]
	v_div_scale_f64 v[30:31], vcc, 1.0, v[14:15], 1.0
	v_mul_f64 v[32:33], v[30:31], v[16:17]
	v_fma_f64 v[10:11], -v[10:11], v[32:33], v[30:31]
	s_nop 1
	v_div_fmas_f64 v[10:11], v[10:11], v[16:17], v[32:33]
	v_div_fixup_f64 v[14:15], v[10:11], v[14:15], 1.0
	v_fma_f64 v[10:11], v[12:13], v[24:25], v[22:23]
	v_fma_f64 v[12:13], -v[12:13], v[22:23], v[24:25]
	v_mul_f64 v[10:11], v[10:11], v[14:15]
	v_mul_f64 v[12:13], v[12:13], v[14:15]
.LBB238_138:                            ;   in Loop: Header=BB238_127 Depth=1
	s_add_i32 s16, s16, s10
	s_lshl_b32 s8, s16, 4
	v_mov_b32_e32 v22, s8
	ds_read_b128 v[14:17], v22
	ds_read_b128 v[22:25], v22 offset:16
	ds_write_b128 v28, v[10:13]
	s_waitcnt lgkmcnt(2)
	v_mul_f64 v[28:29], v[20:21], v[16:17]
	v_mul_f64 v[16:17], v[18:19], v[16:17]
	v_fma_f64 v[28:29], v[18:19], v[14:15], -v[28:29]
	v_fmac_f64_e32 v[16:17], v[20:21], v[14:15]
	v_add_f64 v[14:15], v[6:7], -v[28:29]
	s_waitcnt lgkmcnt(1)
	v_mul_f64 v[6:7], v[12:13], v[24:25]
	v_fma_f64 v[28:29], v[10:11], v[22:23], -v[6:7]
	v_mov_b32_e32 v6, s17
	v_add_f64 v[16:17], v[8:9], -v[16:17]
	ds_read_b128 v[6:9], v6 offset:1056
	v_mul_f64 v[24:25], v[10:11], v[24:25]
	v_fmac_f64_e32 v[24:25], v[12:13], v[22:23]
	v_add_f64 v[22:23], v[14:15], -v[28:29]
	v_add_f64 v[24:25], v[16:17], -v[24:25]
	s_waitcnt lgkmcnt(0)
	v_xor_b32_e32 v14, 0x80000000, v7
	v_cmp_gt_f64_e32 vcc, 0, v[6:7]
	v_cndmask_b32_e32 v15, v7, v14, vcc
	v_xor_b32_e32 v16, 0x80000000, v9
	v_cmp_gt_f64_e32 vcc, 0, v[8:9]
	v_mov_b32_e32 v14, v6
	v_cndmask_b32_e32 v17, v9, v16, vcc
	v_mov_b32_e32 v16, v8
	v_cmp_ngt_f64_e32 vcc, v[14:15], v[16:17]
	s_cbranch_vccz .LBB238_140
; %bb.139:                              ;   in Loop: Header=BB238_127 Depth=1
	v_div_scale_f64 v[14:15], s[8:9], v[8:9], v[8:9], v[6:7]
	v_rcp_f64_e32 v[16:17], v[14:15]
	v_div_scale_f64 v[28:29], vcc, v[6:7], v[8:9], v[6:7]
	v_fma_f64 v[30:31], -v[14:15], v[16:17], 1.0
	v_fmac_f64_e32 v[16:17], v[16:17], v[30:31]
	v_fma_f64 v[30:31], -v[14:15], v[16:17], 1.0
	v_fmac_f64_e32 v[16:17], v[16:17], v[30:31]
	v_mul_f64 v[30:31], v[28:29], v[16:17]
	v_fma_f64 v[14:15], -v[14:15], v[30:31], v[28:29]
	v_div_fmas_f64 v[14:15], v[14:15], v[16:17], v[30:31]
	v_div_fixup_f64 v[16:17], v[14:15], v[8:9], v[6:7]
	v_fma_f64 v[14:15], v[6:7], v[16:17], v[8:9]
	v_div_scale_f64 v[28:29], s[8:9], v[14:15], v[14:15], 1.0
	v_rcp_f64_e32 v[30:31], v[28:29]
	v_fma_f64 v[32:33], -v[28:29], v[30:31], 1.0
	v_fmac_f64_e32 v[30:31], v[30:31], v[32:33]
	v_fma_f64 v[32:33], -v[28:29], v[30:31], 1.0
	v_fmac_f64_e32 v[30:31], v[30:31], v[32:33]
	v_div_scale_f64 v[32:33], vcc, 1.0, v[14:15], 1.0
	v_mul_f64 v[34:35], v[32:33], v[30:31]
	v_fma_f64 v[28:29], -v[28:29], v[34:35], v[32:33]
	s_nop 1
	v_div_fmas_f64 v[28:29], v[28:29], v[30:31], v[34:35]
	v_div_fixup_f64 v[28:29], v[28:29], v[14:15], 1.0
	v_fma_f64 v[14:15], v[16:17], v[22:23], v[24:25]
	v_fma_f64 v[16:17], v[16:17], v[24:25], -v[22:23]
	v_mul_f64 v[14:15], v[14:15], v[28:29]
	v_mul_f64 v[16:17], v[16:17], v[28:29]
	s_cbranch_execz .LBB238_141
	s_branch .LBB238_142
.LBB238_140:                            ;   in Loop: Header=BB238_127 Depth=1
                                        ; implicit-def: $vgpr16_vgpr17
.LBB238_141:                            ;   in Loop: Header=BB238_127 Depth=1
	v_div_scale_f64 v[14:15], s[8:9], v[6:7], v[6:7], v[8:9]
	v_rcp_f64_e32 v[16:17], v[14:15]
	v_div_scale_f64 v[28:29], vcc, v[8:9], v[6:7], v[8:9]
	v_fma_f64 v[30:31], -v[14:15], v[16:17], 1.0
	v_fmac_f64_e32 v[16:17], v[16:17], v[30:31]
	v_fma_f64 v[30:31], -v[14:15], v[16:17], 1.0
	v_fmac_f64_e32 v[16:17], v[16:17], v[30:31]
	v_mul_f64 v[30:31], v[28:29], v[16:17]
	v_fma_f64 v[14:15], -v[14:15], v[30:31], v[28:29]
	v_div_fmas_f64 v[14:15], v[14:15], v[16:17], v[30:31]
	v_div_fixup_f64 v[16:17], v[14:15], v[6:7], v[8:9]
	v_fmac_f64_e32 v[6:7], v[8:9], v[16:17]
	v_div_scale_f64 v[8:9], s[8:9], v[6:7], v[6:7], 1.0
	v_rcp_f64_e32 v[14:15], v[8:9]
	v_fma_f64 v[28:29], -v[8:9], v[14:15], 1.0
	v_fmac_f64_e32 v[14:15], v[14:15], v[28:29]
	v_fma_f64 v[28:29], -v[8:9], v[14:15], 1.0
	v_fmac_f64_e32 v[14:15], v[14:15], v[28:29]
	v_div_scale_f64 v[28:29], vcc, 1.0, v[6:7], 1.0
	v_mul_f64 v[30:31], v[28:29], v[14:15]
	v_fma_f64 v[8:9], -v[8:9], v[30:31], v[28:29]
	s_nop 1
	v_div_fmas_f64 v[8:9], v[8:9], v[14:15], v[30:31]
	v_div_fixup_f64 v[6:7], v[8:9], v[6:7], 1.0
	v_fma_f64 v[8:9], v[16:17], v[24:25], v[22:23]
	v_mul_f64 v[14:15], v[8:9], v[6:7]
	v_fma_f64 v[8:9], -v[16:17], v[22:23], v[24:25]
	v_mul_f64 v[16:17], v[8:9], v[6:7]
.LBB238_142:                            ;   in Loop: Header=BB238_127 Depth=1
	s_add_i32 s11, s11, s10
	s_lshl_b32 s8, s11, 4
	v_mov_b32_e32 v30, s8
	ds_read_b128 v[6:9], v30
	ds_read_b128 v[22:25], v30 offset:16
	ds_write_b128 v27, v[14:17]
	s_waitcnt lgkmcnt(2)
	v_mul_f64 v[28:29], v[20:21], v[8:9]
	v_mul_f64 v[8:9], v[18:19], v[8:9]
	v_fma_f64 v[18:19], v[18:19], v[6:7], -v[28:29]
	v_fmac_f64_e32 v[8:9], v[20:21], v[6:7]
	s_waitcnt lgkmcnt(1)
	v_mul_f64 v[6:7], v[12:13], v[24:25]
	v_add_f64 v[2:3], v[2:3], -v[18:19]
	v_fma_f64 v[18:19], v[10:11], v[22:23], -v[6:7]
	v_mul_f64 v[10:11], v[10:11], v[24:25]
	v_add_f64 v[4:5], v[4:5], -v[8:9]
	v_fmac_f64_e32 v[10:11], v[12:13], v[22:23]
	ds_read_b128 v[6:9], v30 offset:32
	v_add_f64 v[12:13], v[2:3], -v[18:19]
	v_mov_b32_e32 v2, s17
	v_add_f64 v[18:19], v[4:5], -v[10:11]
	ds_read_b128 v[2:5], v2 offset:1584
	s_waitcnt lgkmcnt(1)
	v_mul_f64 v[10:11], v[16:17], v[8:9]
	v_mul_f64 v[8:9], v[14:15], v[8:9]
	v_fma_f64 v[10:11], v[14:15], v[6:7], -v[10:11]
	v_fmac_f64_e32 v[8:9], v[16:17], v[6:7]
	s_waitcnt lgkmcnt(0)
	v_xor_b32_e32 v6, 0x80000000, v3
	v_cmp_gt_f64_e32 vcc, 0, v[2:3]
	v_add_f64 v[10:11], v[12:13], -v[10:11]
	v_add_f64 v[12:13], v[18:19], -v[8:9]
	v_cndmask_b32_e32 v7, v3, v6, vcc
	v_xor_b32_e32 v8, 0x80000000, v5
	v_cmp_gt_f64_e32 vcc, 0, v[4:5]
	v_mov_b32_e32 v6, v2
	v_cndmask_b32_e32 v9, v5, v8, vcc
	v_mov_b32_e32 v8, v4
	v_cmp_ngt_f64_e32 vcc, v[6:7], v[8:9]
	s_cbranch_vccz .LBB238_144
; %bb.143:                              ;   in Loop: Header=BB238_127 Depth=1
	v_div_scale_f64 v[6:7], s[8:9], v[4:5], v[4:5], v[2:3]
	v_rcp_f64_e32 v[8:9], v[6:7]
	v_div_scale_f64 v[14:15], vcc, v[2:3], v[4:5], v[2:3]
	v_fma_f64 v[16:17], -v[6:7], v[8:9], 1.0
	v_fmac_f64_e32 v[8:9], v[8:9], v[16:17]
	v_fma_f64 v[16:17], -v[6:7], v[8:9], 1.0
	v_fmac_f64_e32 v[8:9], v[8:9], v[16:17]
	v_mul_f64 v[16:17], v[14:15], v[8:9]
	v_fma_f64 v[6:7], -v[6:7], v[16:17], v[14:15]
	v_div_fmas_f64 v[6:7], v[6:7], v[8:9], v[16:17]
	v_div_fixup_f64 v[8:9], v[6:7], v[4:5], v[2:3]
	v_fma_f64 v[6:7], v[2:3], v[8:9], v[4:5]
	v_div_scale_f64 v[14:15], s[8:9], v[6:7], v[6:7], 1.0
	v_rcp_f64_e32 v[16:17], v[14:15]
	v_fma_f64 v[18:19], -v[14:15], v[16:17], 1.0
	v_fmac_f64_e32 v[16:17], v[16:17], v[18:19]
	v_fma_f64 v[18:19], -v[14:15], v[16:17], 1.0
	v_fmac_f64_e32 v[16:17], v[16:17], v[18:19]
	v_div_scale_f64 v[18:19], vcc, 1.0, v[6:7], 1.0
	v_mul_f64 v[20:21], v[18:19], v[16:17]
	v_fma_f64 v[14:15], -v[14:15], v[20:21], v[18:19]
	s_nop 1
	v_div_fmas_f64 v[14:15], v[14:15], v[16:17], v[20:21]
	v_div_fixup_f64 v[14:15], v[14:15], v[6:7], 1.0
	v_fma_f64 v[6:7], v[8:9], v[10:11], v[12:13]
	v_fma_f64 v[8:9], v[8:9], v[12:13], -v[10:11]
	v_mul_f64 v[6:7], v[6:7], v[14:15]
	v_mul_f64 v[8:9], v[8:9], v[14:15]
	s_cbranch_execz .LBB238_145
	s_branch .LBB238_146
.LBB238_144:                            ;   in Loop: Header=BB238_127 Depth=1
                                        ; implicit-def: $vgpr8_vgpr9
.LBB238_145:                            ;   in Loop: Header=BB238_127 Depth=1
	v_div_scale_f64 v[6:7], s[8:9], v[2:3], v[2:3], v[4:5]
	v_rcp_f64_e32 v[8:9], v[6:7]
	v_div_scale_f64 v[14:15], vcc, v[4:5], v[2:3], v[4:5]
	v_fma_f64 v[16:17], -v[6:7], v[8:9], 1.0
	v_fmac_f64_e32 v[8:9], v[8:9], v[16:17]
	v_fma_f64 v[16:17], -v[6:7], v[8:9], 1.0
	v_fmac_f64_e32 v[8:9], v[8:9], v[16:17]
	v_mul_f64 v[16:17], v[14:15], v[8:9]
	v_fma_f64 v[6:7], -v[6:7], v[16:17], v[14:15]
	v_div_fmas_f64 v[6:7], v[6:7], v[8:9], v[16:17]
	v_div_fixup_f64 v[8:9], v[6:7], v[2:3], v[4:5]
	v_fmac_f64_e32 v[2:3], v[4:5], v[8:9]
	v_div_scale_f64 v[4:5], s[8:9], v[2:3], v[2:3], 1.0
	v_rcp_f64_e32 v[6:7], v[4:5]
	v_fma_f64 v[14:15], -v[4:5], v[6:7], 1.0
	v_fmac_f64_e32 v[6:7], v[6:7], v[14:15]
	v_fma_f64 v[14:15], -v[4:5], v[6:7], 1.0
	v_fmac_f64_e32 v[6:7], v[6:7], v[14:15]
	v_div_scale_f64 v[14:15], vcc, 1.0, v[2:3], 1.0
	v_mul_f64 v[16:17], v[14:15], v[6:7]
	v_fma_f64 v[4:5], -v[4:5], v[16:17], v[14:15]
	s_nop 1
	v_div_fmas_f64 v[4:5], v[4:5], v[6:7], v[16:17]
	v_div_fixup_f64 v[2:3], v[4:5], v[2:3], 1.0
	v_fma_f64 v[4:5], v[8:9], v[12:13], v[10:11]
	v_mul_f64 v[6:7], v[4:5], v[2:3]
	v_fma_f64 v[4:5], -v[8:9], v[10:11], v[12:13]
	v_mul_f64 v[8:9], v[4:5], v[2:3]
.LBB238_146:                            ;   in Loop: Header=BB238_127 Depth=1
	s_add_i32 s11, s10, 4
	s_add_i32 s8, s10, 7
	s_addk_i32 s1, 0x800
	s_cmp_ge_i32 s8, s34
	ds_write_b128 v26, v[6:9]
	s_cbranch_scc1 .LBB238_148
; %bb.147:                              ;   in Loop: Header=BB238_127 Depth=1
	s_mov_b32 s10, s11
	s_branch .LBB238_127
.LBB238_148:
	s_cmp_ge_i32 s11, s34
	s_cbranch_scc1 .LBB238_163
; %bb.149:
	v_mov_b32_e32 v1, 0x4000
	s_add_i32 s1, s11, -1
	v_lshl_or_b32 v1, v0, 4, v1
	s_lshl_b32 s10, s11, 9
	s_mov_b32 s16, 0
	v_lshlrev_b32_e32 v14, 4, v0
	s_mov_b32 s17, s11
	s_branch .LBB238_151
.LBB238_150:                            ;   in Loop: Header=BB238_151 Depth=1
	s_add_i32 s11, s11, 1
	s_add_i32 s16, s16, 1
	s_addk_i32 s10, 0x200
	v_add_u16_e64 v2, s17, 1
	s_cmp_ge_i32 s11, s34
	v_readfirstlane_b32 s17, v2
	ds_write_b128 v15, v[10:13]
	s_cbranch_scc1 .LBB238_163
.LBB238_151:                            ; =>This Loop Header: Depth=1
                                        ;     Child Loop BB238_154 Depth 2
                                        ;     Child Loop BB238_158 Depth 2
	v_lshl_or_b32 v6, s11, 9, v14
	ds_read_b128 v[2:5], v6 offset:16384
	s_cmp_eq_u32 s11, 0
	s_cbranch_scc1 .LBB238_159
; %bb.152:                              ;   in Loop: Header=BB238_151 Depth=1
	s_add_i32 s8, s1, s16
	s_cmp_lt_u32 s8, 7
	s_cbranch_scc1 .LBB238_156
; %bb.153:                              ;   in Loop: Header=BB238_151 Depth=1
	s_and_b32 s8, s11, -8
	s_mov_b32 s9, 0
	s_mov_b32 s18, s10
	v_mov_b32_e32 v7, v1
.LBB238_154:                            ;   Parent Loop BB238_151 Depth=1
                                        ; =>  This Inner Loop Header: Depth=2
	v_mov_b32_e32 v12, s18
	ds_read_b128 v[8:11], v7
	ds_read_b128 v[16:19], v7 offset:512
	ds_read_b128 v[20:23], v7 offset:1024
	;; [unrolled: 1-line block ×7, first 2 shown]
	ds_read_b128 v[44:47], v12
	ds_read_b128 v[48:51], v12 offset:16
	ds_read_b128 v[52:55], v12 offset:32
	;; [unrolled: 1-line block ×7, first 2 shown]
	s_waitcnt lgkmcnt(7)
	v_mul_f64 v[12:13], v[46:47], v[10:11]
	v_mul_f64 v[10:11], v[44:45], v[10:11]
	s_waitcnt lgkmcnt(6)
	v_mul_f64 v[76:77], v[50:51], v[18:19]
	v_mul_f64 v[18:19], v[48:49], v[18:19]
	v_fma_f64 v[12:13], v[44:45], v[8:9], -v[12:13]
	v_fmac_f64_e32 v[10:11], v[46:47], v[8:9]
	s_waitcnt lgkmcnt(5)
	v_mul_f64 v[78:79], v[54:55], v[22:23]
	v_mul_f64 v[22:23], v[52:53], v[22:23]
	v_fma_f64 v[8:9], v[48:49], v[16:17], -v[76:77]
	v_fmac_f64_e32 v[18:19], v[50:51], v[16:17]
	v_add_f64 v[2:3], v[2:3], -v[12:13]
	v_add_f64 v[4:5], v[4:5], -v[10:11]
	s_waitcnt lgkmcnt(4)
	v_mul_f64 v[80:81], v[58:59], v[26:27]
	v_mul_f64 v[26:27], v[56:57], v[26:27]
	v_fma_f64 v[16:17], v[52:53], v[20:21], -v[78:79]
	v_fmac_f64_e32 v[22:23], v[54:55], v[20:21]
	v_add_f64 v[2:3], v[2:3], -v[8:9]
	v_add_f64 v[4:5], v[4:5], -v[18:19]
	;; [unrolled: 7-line block ×6, first 2 shown]
	s_add_i32 s9, s9, 8
	s_addk_i32 s18, 0x80
	v_fma_f64 v[36:37], v[72:73], v[40:41], -v[88:89]
	v_fmac_f64_e32 v[42:43], v[74:75], v[40:41]
	v_add_f64 v[2:3], v[2:3], -v[32:33]
	v_add_f64 v[4:5], v[4:5], -v[38:39]
	v_add_u32_e32 v7, 0x1000, v7
	s_cmp_eq_u32 s8, s9
	v_add_f64 v[2:3], v[2:3], -v[36:37]
	v_add_f64 v[4:5], v[4:5], -v[42:43]
	s_cbranch_scc0 .LBB238_154
; %bb.155:                              ;   in Loop: Header=BB238_151 Depth=1
	s_and_b32 s9, s11, 7
	s_cmp_eq_u32 s9, 0
	s_cbranch_scc0 .LBB238_157
	s_branch .LBB238_159
.LBB238_156:                            ;   in Loop: Header=BB238_151 Depth=1
	s_mov_b32 s8, 0
	s_and_b32 s9, s11, 7
	s_cmp_eq_u32 s9, 0
	s_cbranch_scc1 .LBB238_159
.LBB238_157:                            ;   in Loop: Header=BB238_151 Depth=1
	s_and_b32 s9, s17, 7
	s_lshl_b32 s18, s8, 4
	v_lshl_add_u32 v7, s8, 9, v1
.LBB238_158:                            ;   Parent Loop BB238_151 Depth=1
                                        ; =>  This Inner Loop Header: Depth=2
	s_add_i32 s8, s10, s18
	v_mov_b32_e32 v12, s8
	ds_read_b128 v[8:11], v7
	ds_read_b128 v[16:19], v12
	s_add_i32 s18, s18, 16
	s_add_i32 s9, s9, -1
	v_add_u32_e32 v7, 0x200, v7
	s_cmp_lg_u32 s9, 0
	s_waitcnt lgkmcnt(0)
	v_mul_f64 v[12:13], v[18:19], v[10:11]
	v_mul_f64 v[10:11], v[16:17], v[10:11]
	v_fma_f64 v[12:13], v[16:17], v[8:9], -v[12:13]
	v_fmac_f64_e32 v[10:11], v[18:19], v[8:9]
	v_add_f64 v[2:3], v[2:3], -v[12:13]
	v_add_f64 v[4:5], v[4:5], -v[10:11]
	s_cbranch_scc1 .LBB238_158
.LBB238_159:                            ;   in Loop: Header=BB238_151 Depth=1
	s_mul_i32 s8, s11, 0x210
	v_add_u32_e32 v15, 0x4000, v6
	v_mov_b32_e32 v6, s8
	ds_read_b128 v[6:9], v6
	s_waitcnt lgkmcnt(0)
	v_xor_b32_e32 v11, 0x80000000, v7
	v_cmp_gt_f64_e32 vcc, 0, v[6:7]
	v_xor_b32_e32 v12, 0x80000000, v9
	v_cndmask_b32_e32 v11, v7, v11, vcc
	v_cmp_gt_f64_e32 vcc, 0, v[8:9]
	v_mov_b32_e32 v10, v6
	v_cndmask_b32_e32 v13, v9, v12, vcc
	v_mov_b32_e32 v12, v8
	v_cmp_ngt_f64_e32 vcc, v[10:11], v[12:13]
	s_cbranch_vccz .LBB238_161
; %bb.160:                              ;   in Loop: Header=BB238_151 Depth=1
	v_div_scale_f64 v[10:11], s[8:9], v[8:9], v[8:9], v[6:7]
	v_rcp_f64_e32 v[12:13], v[10:11]
	v_div_scale_f64 v[16:17], vcc, v[6:7], v[8:9], v[6:7]
	v_fma_f64 v[18:19], -v[10:11], v[12:13], 1.0
	v_fmac_f64_e32 v[12:13], v[12:13], v[18:19]
	v_fma_f64 v[18:19], -v[10:11], v[12:13], 1.0
	v_fmac_f64_e32 v[12:13], v[12:13], v[18:19]
	v_mul_f64 v[18:19], v[16:17], v[12:13]
	v_fma_f64 v[10:11], -v[10:11], v[18:19], v[16:17]
	v_div_fmas_f64 v[10:11], v[10:11], v[12:13], v[18:19]
	v_div_fixup_f64 v[12:13], v[10:11], v[8:9], v[6:7]
	v_fma_f64 v[10:11], v[6:7], v[12:13], v[8:9]
	v_div_scale_f64 v[16:17], s[8:9], v[10:11], v[10:11], 1.0
	v_rcp_f64_e32 v[18:19], v[16:17]
	v_fma_f64 v[20:21], -v[16:17], v[18:19], 1.0
	v_fmac_f64_e32 v[18:19], v[18:19], v[20:21]
	v_fma_f64 v[20:21], -v[16:17], v[18:19], 1.0
	v_fmac_f64_e32 v[18:19], v[18:19], v[20:21]
	v_div_scale_f64 v[20:21], vcc, 1.0, v[10:11], 1.0
	v_mul_f64 v[22:23], v[20:21], v[18:19]
	v_fma_f64 v[16:17], -v[16:17], v[22:23], v[20:21]
	s_nop 1
	v_div_fmas_f64 v[16:17], v[16:17], v[18:19], v[22:23]
	v_div_fixup_f64 v[16:17], v[16:17], v[10:11], 1.0
	v_fma_f64 v[10:11], v[2:3], v[12:13], v[4:5]
	v_fma_f64 v[12:13], v[4:5], v[12:13], -v[2:3]
	v_mul_f64 v[10:11], v[10:11], v[16:17]
	v_mul_f64 v[12:13], v[12:13], v[16:17]
	s_cbranch_execnz .LBB238_150
	s_branch .LBB238_162
.LBB238_161:                            ;   in Loop: Header=BB238_151 Depth=1
                                        ; implicit-def: $vgpr10_vgpr11
.LBB238_162:                            ;   in Loop: Header=BB238_151 Depth=1
	v_div_scale_f64 v[10:11], s[8:9], v[6:7], v[6:7], v[8:9]
	v_rcp_f64_e32 v[12:13], v[10:11]
	v_div_scale_f64 v[16:17], vcc, v[8:9], v[6:7], v[8:9]
	v_fma_f64 v[18:19], -v[10:11], v[12:13], 1.0
	v_fmac_f64_e32 v[12:13], v[12:13], v[18:19]
	v_fma_f64 v[18:19], -v[10:11], v[12:13], 1.0
	v_fmac_f64_e32 v[12:13], v[12:13], v[18:19]
	v_mul_f64 v[18:19], v[16:17], v[12:13]
	v_fma_f64 v[10:11], -v[10:11], v[18:19], v[16:17]
	v_div_fmas_f64 v[10:11], v[10:11], v[12:13], v[18:19]
	v_div_fixup_f64 v[12:13], v[10:11], v[6:7], v[8:9]
	v_fmac_f64_e32 v[6:7], v[8:9], v[12:13]
	v_div_scale_f64 v[8:9], s[8:9], v[6:7], v[6:7], 1.0
	v_rcp_f64_e32 v[10:11], v[8:9]
	v_fma_f64 v[16:17], -v[8:9], v[10:11], 1.0
	v_fmac_f64_e32 v[10:11], v[10:11], v[16:17]
	v_fma_f64 v[16:17], -v[8:9], v[10:11], 1.0
	v_fmac_f64_e32 v[10:11], v[10:11], v[16:17]
	v_div_scale_f64 v[16:17], vcc, 1.0, v[6:7], 1.0
	v_mul_f64 v[18:19], v[16:17], v[10:11]
	v_fma_f64 v[8:9], -v[8:9], v[18:19], v[16:17]
	s_nop 1
	v_div_fmas_f64 v[8:9], v[8:9], v[10:11], v[18:19]
	v_div_fixup_f64 v[6:7], v[8:9], v[6:7], 1.0
	v_fma_f64 v[8:9], v[4:5], v[12:13], v[2:3]
	v_fma_f64 v[2:3], -v[2:3], v[12:13], v[4:5]
	v_mul_f64 v[10:11], v[8:9], v[6:7]
	v_mul_f64 v[12:13], v[2:3], v[6:7]
	s_branch .LBB238_150
.LBB238_163:
	s_and_saveexec_b64 s[8:9], s[14:15]
	s_cbranch_execz .LBB238_170
; %bb.164:
	s_ashr_i32 s1, s0, 31
	s_mov_b32 s16, 0
	s_cmp_lt_u32 s33, 4
	v_lshlrev_b32_e32 v4, 4, v0
	s_cbranch_scc1 .LBB238_167
; %bb.165:
	v_mov_b32_e32 v1, s25
	v_add_co_u32_e32 v2, vcc, s24, v4
	v_addc_co_u32_e32 v3, vcc, 0, v1, vcc
	v_mov_b32_e32 v1, 0x4000
	s_mul_hi_i32 s19, s0, 48
	s_lshl_b64 s[8:9], s[0:1], 6
	s_lshl_b64 s[10:11], s[0:1], 5
	;; [unrolled: 1-line block ×3, first 2 shown]
	s_and_b32 s16, s33, 0x7ffffffc
	v_lshl_or_b32 v0, v0, 4, v1
	s_mul_i32 s17, s0, 48
	s_mov_b32 s18, 0
	v_mov_b32_e32 v1, s15
	v_mov_b32_e32 v5, s11
	;; [unrolled: 1-line block ×4, first 2 shown]
.LBB238_166:                            ; =>This Inner Loop Header: Depth=1
	v_add_co_u32_e32 v24, vcc, s14, v2
	v_addc_co_u32_e32 v25, vcc, v3, v1, vcc
	ds_read2_b64 v[8:11], v0 offset1:1
	ds_read2_b64 v[12:15], v0 offset0:64 offset1:65
	ds_read2_b64 v[16:19], v0 offset0:128 offset1:129
	;; [unrolled: 1-line block ×3, first 2 shown]
	v_add_co_u32_e32 v26, vcc, s10, v2
	v_addc_co_u32_e32 v27, vcc, v3, v5, vcc
	v_add_co_u32_e32 v28, vcc, s17, v2
	v_addc_co_u32_e32 v29, vcc, v3, v6, vcc
	s_add_i32 s18, s18, 4
	s_waitcnt lgkmcnt(3)
	global_store_dwordx4 v[2:3], v[8:11], off
	s_waitcnt lgkmcnt(2)
	global_store_dwordx4 v[24:25], v[12:15], off
	;; [unrolled: 2-line block ×4, first 2 shown]
	v_add_co_u32_e32 v2, vcc, s8, v2
	v_add_u32_e32 v0, 0x800, v0
	s_cmp_lg_u32 s16, s18
	v_addc_co_u32_e32 v3, vcc, v3, v7, vcc
	s_cbranch_scc1 .LBB238_166
.LBB238_167:
	s_and_b32 s8, s33, 3
	s_cmp_eq_u32 s8, 0
	s_cbranch_scc1 .LBB238_170
; %bb.168:
	s_mul_hi_i32 s11, s0, s16
	s_mul_i32 s10, s0, s16
	s_lshl_b64 s[10:11], s[10:11], 4
	s_add_u32 s9, s12, s10
	s_addc_u32 s10, s13, s11
	s_add_u32 s6, s9, s6
	s_addc_u32 s7, s10, s7
	;; [unrolled: 2-line block ×4, first 2 shown]
	v_mov_b32_e32 v1, s3
	v_add_co_u32_e32 v0, vcc, s2, v4
	s_lshl_b64 s[0:1], s[0:1], 4
	v_lshl_or_b32 v2, s16, 9, v4
	v_addc_co_u32_e32 v1, vcc, 0, v1, vcc
	v_add_u32_e32 v2, 0x4000, v2
	v_mov_b32_e32 v3, s1
.LBB238_169:                            ; =>This Inner Loop Header: Depth=1
	ds_read2_b64 v[4:7], v2 offset1:1
	s_add_i32 s8, s8, -1
	v_add_u32_e32 v2, 0x200, v2
	s_cmp_lg_u32 s8, 0
	s_waitcnt lgkmcnt(0)
	global_store_dwordx4 v[0:1], v[4:7], off
	v_add_co_u32_e32 v0, vcc, s0, v0
	v_addc_co_u32_e32 v1, vcc, v1, v3, vcc
	s_cbranch_scc1 .LBB238_169
.LBB238_170:
	s_endpgm
	.section	.rodata,"a",@progbits
	.p2align	6, 0x0
	.amdhsa_kernel _ZL31rocblas_trsm_small_right_deviceI19rocblas_complex_numIdES1_PKS1_PS1_Li32EEv13rocblas_fill_18rocblas_operation_17rocblas_diagonal_iiT0_T1_lilT2_lili
		.amdhsa_group_segment_fixed_size 32768
		.amdhsa_private_segment_fixed_size 0
		.amdhsa_kernarg_size 368
		.amdhsa_user_sgpr_count 6
		.amdhsa_user_sgpr_private_segment_buffer 1
		.amdhsa_user_sgpr_dispatch_ptr 0
		.amdhsa_user_sgpr_queue_ptr 0
		.amdhsa_user_sgpr_kernarg_segment_ptr 1
		.amdhsa_user_sgpr_dispatch_id 0
		.amdhsa_user_sgpr_flat_scratch_init 0
		.amdhsa_user_sgpr_kernarg_preload_length 0
		.amdhsa_user_sgpr_kernarg_preload_offset 0
		.amdhsa_user_sgpr_private_segment_size 0
		.amdhsa_uses_dynamic_stack 0
		.amdhsa_system_sgpr_private_segment_wavefront_offset 0
		.amdhsa_system_sgpr_workgroup_id_x 1
		.amdhsa_system_sgpr_workgroup_id_y 0
		.amdhsa_system_sgpr_workgroup_id_z 1
		.amdhsa_system_sgpr_workgroup_info 0
		.amdhsa_system_vgpr_workitem_id 0
		.amdhsa_next_free_vgpr 90
		.amdhsa_next_free_sgpr 39
		.amdhsa_accum_offset 92
		.amdhsa_reserve_vcc 1
		.amdhsa_reserve_flat_scratch 0
		.amdhsa_float_round_mode_32 0
		.amdhsa_float_round_mode_16_64 0
		.amdhsa_float_denorm_mode_32 3
		.amdhsa_float_denorm_mode_16_64 3
		.amdhsa_dx10_clamp 1
		.amdhsa_ieee_mode 1
		.amdhsa_fp16_overflow 0
		.amdhsa_tg_split 0
		.amdhsa_exception_fp_ieee_invalid_op 0
		.amdhsa_exception_fp_denorm_src 0
		.amdhsa_exception_fp_ieee_div_zero 0
		.amdhsa_exception_fp_ieee_overflow 0
		.amdhsa_exception_fp_ieee_underflow 0
		.amdhsa_exception_fp_ieee_inexact 0
		.amdhsa_exception_int_div_zero 0
	.end_amdhsa_kernel
	.section	.text._ZL31rocblas_trsm_small_right_deviceI19rocblas_complex_numIdES1_PKS1_PS1_Li32EEv13rocblas_fill_18rocblas_operation_17rocblas_diagonal_iiT0_T1_lilT2_lili,"axG",@progbits,_ZL31rocblas_trsm_small_right_deviceI19rocblas_complex_numIdES1_PKS1_PS1_Li32EEv13rocblas_fill_18rocblas_operation_17rocblas_diagonal_iiT0_T1_lilT2_lili,comdat
.Lfunc_end238:
	.size	_ZL31rocblas_trsm_small_right_deviceI19rocblas_complex_numIdES1_PKS1_PS1_Li32EEv13rocblas_fill_18rocblas_operation_17rocblas_diagonal_iiT0_T1_lilT2_lili, .Lfunc_end238-_ZL31rocblas_trsm_small_right_deviceI19rocblas_complex_numIdES1_PKS1_PS1_Li32EEv13rocblas_fill_18rocblas_operation_17rocblas_diagonal_iiT0_T1_lilT2_lili
                                        ; -- End function
	.section	.AMDGPU.csdata,"",@progbits
; Kernel info:
; codeLenInByte = 17628
; NumSgprs: 43
; NumVgprs: 90
; NumAgprs: 0
; TotalNumVgprs: 90
; ScratchSize: 0
; MemoryBound: 0
; FloatMode: 240
; IeeeMode: 1
; LDSByteSize: 32768 bytes/workgroup (compile time only)
; SGPRBlocks: 5
; VGPRBlocks: 11
; NumSGPRsForWavesPerEU: 43
; NumVGPRsForWavesPerEU: 90
; AccumOffset: 92
; Occupancy: 1
; WaveLimiterHint : 0
; COMPUTE_PGM_RSRC2:SCRATCH_EN: 0
; COMPUTE_PGM_RSRC2:USER_SGPR: 6
; COMPUTE_PGM_RSRC2:TRAP_HANDLER: 0
; COMPUTE_PGM_RSRC2:TGID_X_EN: 1
; COMPUTE_PGM_RSRC2:TGID_Y_EN: 0
; COMPUTE_PGM_RSRC2:TGID_Z_EN: 1
; COMPUTE_PGM_RSRC2:TIDIG_COMP_CNT: 0
; COMPUTE_PGM_RSRC3_GFX90A:ACCUM_OFFSET: 22
; COMPUTE_PGM_RSRC3_GFX90A:TG_SPLIT: 0
	.section	.text._ZL33rocblas_trsm_small_64_left_deviceI19rocblas_complex_numIdES1_PKS1_PS1_Li64EEv13rocblas_fill_18rocblas_operation_17rocblas_diagonal_iiT0_T1_lilT2_lili,"axG",@progbits,_ZL33rocblas_trsm_small_64_left_deviceI19rocblas_complex_numIdES1_PKS1_PS1_Li64EEv13rocblas_fill_18rocblas_operation_17rocblas_diagonal_iiT0_T1_lilT2_lili,comdat
	.globl	_ZL33rocblas_trsm_small_64_left_deviceI19rocblas_complex_numIdES1_PKS1_PS1_Li64EEv13rocblas_fill_18rocblas_operation_17rocblas_diagonal_iiT0_T1_lilT2_lili ; -- Begin function _ZL33rocblas_trsm_small_64_left_deviceI19rocblas_complex_numIdES1_PKS1_PS1_Li64EEv13rocblas_fill_18rocblas_operation_17rocblas_diagonal_iiT0_T1_lilT2_lili
	.p2align	8
	.type	_ZL33rocblas_trsm_small_64_left_deviceI19rocblas_complex_numIdES1_PKS1_PS1_Li64EEv13rocblas_fill_18rocblas_operation_17rocblas_diagonal_iiT0_T1_lilT2_lili,@function
_ZL33rocblas_trsm_small_64_left_deviceI19rocblas_complex_numIdES1_PKS1_PS1_Li64EEv13rocblas_fill_18rocblas_operation_17rocblas_diagonal_iiT0_T1_lilT2_lili: ; @_ZL33rocblas_trsm_small_64_left_deviceI19rocblas_complex_numIdES1_PKS1_PS1_Li64EEv13rocblas_fill_18rocblas_operation_17rocblas_diagonal_iiT0_T1_lilT2_lili
; %bb.0:
	s_load_dwordx4 s[24:27], s[4:5], 0x0
	s_load_dword s3, s[4:5], 0x10
	s_load_dwordx8 s[8:15], s[4:5], 0x18
	s_load_dword s28, s[4:5], 0x58
	s_load_dwordx2 s[0:1], s[4:5], 0x60
	s_load_dwordx2 s[16:17], s[4:5], 0x50
	s_load_dwordx4 s[20:23], s[4:5], 0x40
	s_load_dword s18, s[4:5], 0x70
	s_waitcnt lgkmcnt(0)
	s_ashr_i32 s29, s28, 31
	s_mul_i32 s1, s7, s1
	s_mul_hi_u32 s19, s7, s0
	s_add_i32 s1, s19, s1
	s_mul_i32 s0, s7, s0
	s_lshl_b64 s[30:31], s[0:1], 4
	s_add_u32 s0, s22, s30
	s_addc_u32 s1, s23, s31
	s_lshl_b64 s[34:35], s[16:17], 4
	s_add_u32 s16, s0, s34
	s_addc_u32 s17, s1, s35
	s_lshl_b32 s36, s6, 6
	s_min_i32 s58, s27, 64
	s_add_i32 s18, s18, -1
	s_sub_i32 s0, s3, s36
	s_cmp_ge_u32 s6, s18
	s_cselect_b32 s33, s0, 64
	s_mul_hi_i32 s1, s28, s36
	s_mul_i32 s0, s28, s36
	s_ashr_i32 s37, s36, 31
	s_lshl_b64 s[0:1], s[0:1], 4
	s_add_u32 s56, s16, s0
	s_addc_u32 s57, s17, s1
	s_cmp_gt_i32 s33, 0
	v_cmp_gt_i32_e32 vcc, s58, v0
	s_cselect_b64 s[38:39], -1, 0
	s_mov_b32 s2, 0
	s_and_b64 s[16:17], vcc, s[38:39]
	s_and_saveexec_b64 s[0:1], s[16:17]
	s_cbranch_execz .LBB239_7
; %bb.1:
	s_cmp_lt_u32 s33, 4
	s_cbranch_scc1 .LBB239_4
; %bb.2:
	v_lshlrev_b32_e32 v1, 4, v0
	v_mov_b32_e32 v3, s57
	v_add_co_u32_e32 v2, vcc, s56, v1
	s_lshl_b64 s[16:17], s[28:29], 6
	s_lshl_b64 s[18:19], s[28:29], 4
	v_addc_co_u32_e32 v3, vcc, 0, v3, vcc
	s_and_b32 s2, s33, 0x7ffffffc
	s_mov_b32 s3, 0
	v_mov_b32_e32 v4, s19
	v_mov_b32_e32 v5, s17
.LBB239_3:                              ; =>This Inner Loop Header: Depth=1
	v_add_co_u32_e32 v14, vcc, s18, v2
	v_addc_co_u32_e32 v15, vcc, v3, v4, vcc
	v_add_co_u32_e32 v18, vcc, s18, v14
	global_load_dwordx4 v[6:9], v[2:3], off
	global_load_dwordx4 v[10:13], v[14:15], off
	v_addc_co_u32_e32 v19, vcc, v15, v4, vcc
	global_load_dwordx4 v[14:17], v[18:19], off
	v_add_co_u32_e32 v18, vcc, s18, v18
	v_addc_co_u32_e32 v19, vcc, v19, v4, vcc
	global_load_dwordx4 v[18:21], v[18:19], off
	s_add_i32 s3, s3, 4
	v_add_co_u32_e32 v2, vcc, s16, v2
	s_cmp_lg_u32 s2, s3
	v_addc_co_u32_e32 v3, vcc, v3, v5, vcc
	s_waitcnt vmcnt(3)
	v_mul_f64 v[22:23], s[10:11], v[8:9]
	v_mul_f64 v[24:25], s[8:9], v[8:9]
	v_fma_f64 v[22:23], s[8:9], v[6:7], -v[22:23]
	v_fmac_f64_e32 v[24:25], s[10:11], v[6:7]
	s_waitcnt vmcnt(2)
	v_mul_f64 v[6:7], s[10:11], v[12:13]
	v_mul_f64 v[8:9], s[8:9], v[12:13]
	v_fma_f64 v[6:7], s[8:9], v[10:11], -v[6:7]
	v_fmac_f64_e32 v[8:9], s[10:11], v[10:11]
	s_waitcnt vmcnt(1)
	v_mul_f64 v[12:13], s[10:11], v[16:17]
	v_mul_f64 v[10:11], s[8:9], v[16:17]
	ds_write_b128 v1, v[6:9] offset:1024
	v_fma_f64 v[8:9], s[8:9], v[14:15], -v[12:13]
	v_fmac_f64_e32 v[10:11], s[10:11], v[14:15]
	s_waitcnt vmcnt(0)
	v_mul_f64 v[6:7], s[10:11], v[20:21]
	v_mul_f64 v[12:13], s[8:9], v[20:21]
	ds_write_b128 v1, v[8:11] offset:2048
	v_fma_f64 v[10:11], s[8:9], v[18:19], -v[6:7]
	v_fmac_f64_e32 v[12:13], s[10:11], v[18:19]
	ds_write_b128 v1, v[22:25]
	ds_write_b128 v1, v[10:13] offset:3072
	v_add_u32_e32 v1, 0x1000, v1
	s_cbranch_scc1 .LBB239_3
.LBB239_4:
	s_and_b32 s6, s33, 3
	s_cmp_eq_u32 s6, 0
	s_mov_b32 s3, 0
	s_cbranch_scc1 .LBB239_7
; %bb.5:
	v_lshlrev_b32_e32 v2, 4, v0
	v_lshl_or_b32 v1, s2, 10, v2
	s_lshl_b64 s[16:17], s[36:37], 4
	s_lshl_b64 s[2:3], s[2:3], 4
	s_add_u32 s2, s16, s2
	s_addc_u32 s3, s17, s3
	s_mul_i32 s16, s2, s29
	s_mul_hi_u32 s17, s2, s28
	s_add_i32 s16, s17, s16
	s_mul_i32 s3, s3, s28
	s_add_i32 s16, s16, s3
	s_mul_i32 s2, s2, s28
	s_add_u32 s2, s30, s2
	s_addc_u32 s3, s31, s16
	s_add_u32 s2, s2, s34
	s_addc_u32 s3, s3, s35
	;; [unrolled: 2-line block ×3, first 2 shown]
	v_mov_b32_e32 v3, s3
	v_add_co_u32_e32 v2, vcc, s2, v2
	v_addc_co_u32_e32 v3, vcc, 0, v3, vcc
	v_add_co_u32_e32 v2, vcc, 8, v2
	s_lshl_b64 s[2:3], s[28:29], 4
	v_addc_co_u32_e32 v3, vcc, 0, v3, vcc
	v_mov_b32_e32 v4, s3
.LBB239_6:                              ; =>This Inner Loop Header: Depth=1
	global_load_dwordx4 v[6:9], v[2:3], off offset:-8
	v_add_co_u32_e32 v2, vcc, s2, v2
	s_add_i32 s6, s6, -1
	v_addc_co_u32_e32 v3, vcc, v3, v4, vcc
	s_cmp_lg_u32 s6, 0
	s_waitcnt vmcnt(0)
	v_mul_f64 v[12:13], s[10:11], v[8:9]
	v_mul_f64 v[10:11], s[8:9], v[8:9]
	v_fma_f64 v[8:9], s[8:9], v[6:7], -v[12:13]
	v_fmac_f64_e32 v[10:11], s[10:11], v[6:7]
	ds_write_b128 v1, v[8:11]
	v_add_u32_e32 v1, 0x400, v1
	s_cbranch_scc1 .LBB239_6
.LBB239_7:
	s_or_b64 exec, exec, s[0:1]
	s_mul_i32 s0, s7, s21
	s_mul_hi_u32 s1, s7, s20
	s_add_i32 s1, s1, s0
	s_mul_i32 s0, s7, s20
	s_lshl_b64 s[0:1], s[0:1], 4
	s_load_dword s40, s[4:5], 0x38
	s_add_u32 s4, s12, s0
	s_addc_u32 s5, s13, s1
	s_lshl_b64 s[2:3], s[14:15], 4
	s_add_u32 s20, s4, s2
	s_addc_u32 s21, s5, s3
	s_cmpk_eq_i32 s24, 0x7a
	s_cselect_b64 s[6:7], -1, 0
	s_cmpk_lg_i32 s24, 0x7a
	s_cselect_b64 s[4:5], -1, 0
	s_cmpk_eq_i32 s25, 0x6f
	s_cselect_b64 s[8:9], -1, 0
	s_and_b64 s[10:11], s[6:7], s[8:9]
	s_andn2_b64 vcc, exec, s[10:11]
	s_mov_b64 s[10:11], -1
	s_waitcnt lgkmcnt(0)
	; wave barrier
	s_waitcnt lgkmcnt(0)
	s_cbranch_vccz .LBB239_66
; %bb.8:
	s_xor_b64 s[6:7], s[6:7], -1
	s_add_i32 s59, s58, -1
	s_and_b64 s[6:7], s[8:9], s[6:7]
	s_cmp_gt_i32 s27, 0
	s_cselect_b64 s[42:43], -1, 0
	s_andn2_b64 vcc, exec, s[6:7]
	s_mov_b64 s[6:7], -1
	s_cbranch_vccz .LBB239_47
; %bb.9:
	s_cmpk_eq_i32 s25, 0x71
	s_cselect_b64 s[24:25], -1, 0
	s_andn2_b64 vcc, exec, s[4:5]
	s_mov_b64 s[4:5], -1
	s_cbranch_vccnz .LBB239_28
; %bb.10:
	s_andn2_b64 vcc, exec, s[42:43]
	s_cbranch_vccnz .LBB239_27
; %bb.11:
	s_ashr_i32 s41, s40, 31
	s_cmpk_lg_i32 s26, 0x84
	s_cselect_b64 s[44:45], -1, 0
	s_add_u32 s60, s40, 1
	s_addc_u32 s61, s41, 0
	s_add_u32 s0, s0, s2
	s_addc_u32 s1, s1, s3
	s_add_u32 s0, s0, s12
	s_addc_u32 s1, s1, s13
	s_add_u32 s46, s0, 0x78
	v_lshlrev_b32_e32 v1, 6, v0
	v_lshlrev_b32_e32 v10, 10, v0
	s_addc_u32 s47, s1, 0
	s_lshl_b64 s[48:49], s[40:41], 4
	s_mov_b32 s51, 0
	s_mov_b32 s41, 0
	s_mov_b64 s[52:53], s[20:21]
	s_mov_b32 s62, 0
	s_branch .LBB239_14
.LBB239_12:                             ;   in Loop: Header=BB239_14 Depth=1
	ds_write_b128 v11, v[6:9]
.LBB239_13:                             ;   in Loop: Header=BB239_14 Depth=1
	s_add_i32 s62, s62, 1
	s_add_u32 s46, s46, s48
	s_addc_u32 s47, s47, s49
	s_add_u32 s52, s52, s48
	s_addc_u32 s53, s53, s49
	v_add_u16_e64 v2, s41, 1
	s_cmp_lg_u32 s62, s58
	v_readfirstlane_b32 s41, v2
	s_cbranch_scc0 .LBB239_27
.LBB239_14:                             ; =>This Loop Header: Depth=1
                                        ;     Child Loop BB239_17 Depth 2
                                        ;     Child Loop BB239_21 Depth 2
	v_add_lshl_u32 v11, s62, v1, 4
	ds_read_b128 v[2:5], v11
	s_cmp_eq_u32 s62, 0
	s_cbranch_scc1 .LBB239_22
; %bb.15:                               ;   in Loop: Header=BB239_14 Depth=1
	s_cmp_lt_u32 s62, 8
	s_cbranch_scc1 .LBB239_19
; %bb.16:                               ;   in Loop: Header=BB239_14 Depth=1
	s_and_b32 s50, s62, -8
	s_mov_b32 s63, 0
	s_mov_b64 s[54:55], s[46:47]
	v_mov_b32_e32 v6, v10
.LBB239_17:                             ;   Parent Loop BB239_14 Depth=1
                                        ; =>  This Inner Loop Header: Depth=2
	s_add_u32 s0, s54, 0xffffff88
	s_addc_u32 s1, s55, -1
	ds_read_b128 v[12:15], v6
	ds_read_b128 v[16:19], v6 offset:16
	ds_read_b128 v[20:23], v6 offset:32
	;; [unrolled: 1-line block ×7, first 2 shown]
	s_load_dwordx16 s[4:19], s[0:1], 0x0
	v_add_u32_e32 v6, 0x80, v6
	s_waitcnt lgkmcnt(0)
	s_xor_b32 s2, s7, 0x80000000
	s_and_b64 s[0:1], s[24:25], exec
	v_mul_f64 v[8:9], s[4:5], v[14:15]
	s_cselect_b32 s1, s2, s7
	s_cselect_b32 s0, s6, s6
	s_xor_b32 s2, s11, 0x80000000
	v_mul_f64 v[14:15], s[0:1], v[14:15]
	v_fmac_f64_e32 v[8:9], s[0:1], v[12:13]
	s_and_b64 s[0:1], s[24:25], exec
	v_mul_f64 v[44:45], s[8:9], v[18:19]
	s_cselect_b32 s1, s2, s11
	s_cselect_b32 s0, s10, s10
	s_xor_b32 s2, s15, 0x80000000
	v_fma_f64 v[12:13], s[4:5], v[12:13], -v[14:15]
	v_add_f64 v[4:5], v[4:5], -v[8:9]
	v_mul_f64 v[8:9], s[0:1], v[18:19]
	v_fmac_f64_e32 v[44:45], s[0:1], v[16:17]
	s_and_b64 s[0:1], s[24:25], exec
	v_mul_f64 v[46:47], s[12:13], v[22:23]
	v_add_f64 v[2:3], v[2:3], -v[12:13]
	v_fma_f64 v[8:9], s[8:9], v[16:17], -v[8:9]
	s_cselect_b32 s1, s2, s15
	s_cselect_b32 s0, s14, s14
	s_xor_b32 s2, s19, 0x80000000
	v_add_f64 v[2:3], v[2:3], -v[8:9]
	v_mul_f64 v[8:9], s[0:1], v[22:23]
	v_fmac_f64_e32 v[46:47], s[0:1], v[20:21]
	s_and_b64 s[0:1], s[24:25], exec
	s_cselect_b32 s1, s2, s19
	s_cselect_b32 s0, s18, s18
	s_add_u32 s2, s54, 0xffffffc8
	v_mul_f64 v[48:49], s[16:17], v[26:27]
	v_fma_f64 v[8:9], s[12:13], v[20:21], -v[8:9]
	s_addc_u32 s3, s55, -1
	v_add_f64 v[2:3], v[2:3], -v[8:9]
	v_mul_f64 v[8:9], s[0:1], v[26:27]
	v_fmac_f64_e32 v[48:49], s[0:1], v[24:25]
	s_load_dwordx16 s[0:15], s[2:3], 0x0
	v_fma_f64 v[8:9], s[16:17], v[24:25], -v[8:9]
	v_add_f64 v[4:5], v[4:5], -v[44:45]
	v_add_f64 v[2:3], v[2:3], -v[8:9]
	;; [unrolled: 1-line block ×3, first 2 shown]
	s_waitcnt lgkmcnt(0)
	s_xor_b32 s18, s3, 0x80000000
	s_and_b64 s[16:17], s[24:25], exec
	v_mul_f64 v[8:9], s[0:1], v[30:31]
	s_cselect_b32 s3, s18, s3
	s_cselect_b32 s2, s2, s2
	s_xor_b32 s16, s7, 0x80000000
	v_mul_f64 v[18:19], s[2:3], v[30:31]
	v_fmac_f64_e32 v[8:9], s[2:3], v[28:29]
	s_and_b64 s[2:3], s[24:25], exec
	v_add_f64 v[4:5], v[4:5], -v[48:49]
	v_mul_f64 v[12:13], s[4:5], v[34:35]
	v_fma_f64 v[18:19], s[0:1], v[28:29], -v[18:19]
	s_cselect_b32 s1, s16, s7
	s_cselect_b32 s0, s6, s6
	s_xor_b32 s2, s11, 0x80000000
	v_add_f64 v[4:5], v[4:5], -v[8:9]
	v_mul_f64 v[8:9], s[0:1], v[34:35]
	v_fmac_f64_e32 v[12:13], s[0:1], v[32:33]
	s_and_b64 s[0:1], s[24:25], exec
	v_mul_f64 v[14:15], s[8:9], v[38:39]
	v_add_f64 v[2:3], v[2:3], -v[18:19]
	v_fma_f64 v[8:9], s[4:5], v[32:33], -v[8:9]
	s_cselect_b32 s1, s2, s11
	s_cselect_b32 s0, s10, s10
	s_xor_b32 s2, s15, 0x80000000
	v_add_f64 v[2:3], v[2:3], -v[8:9]
	v_mul_f64 v[8:9], s[0:1], v[38:39]
	v_fmac_f64_e32 v[14:15], s[0:1], v[36:37]
	s_and_b64 s[0:1], s[24:25], exec
	v_fma_f64 v[8:9], s[8:9], v[36:37], -v[8:9]
	s_cselect_b32 s1, s2, s15
	s_cselect_b32 s0, s14, s14
	s_add_i32 s63, s63, 8
	v_mul_f64 v[16:17], s[12:13], v[42:43]
	v_add_f64 v[4:5], v[4:5], -v[12:13]
	v_add_f64 v[2:3], v[2:3], -v[8:9]
	v_mul_f64 v[8:9], s[0:1], v[42:43]
	s_add_u32 s54, s54, 0x80
	v_add_f64 v[4:5], v[4:5], -v[14:15]
	v_fmac_f64_e32 v[16:17], s[0:1], v[40:41]
	v_fma_f64 v[8:9], s[12:13], v[40:41], -v[8:9]
	s_addc_u32 s55, s55, 0
	v_add_f64 v[4:5], v[4:5], -v[16:17]
	s_cmp_eq_u32 s50, s63
	v_add_f64 v[2:3], v[2:3], -v[8:9]
	s_cbranch_scc0 .LBB239_17
; %bb.18:                               ;   in Loop: Header=BB239_14 Depth=1
	s_and_b32 s0, s62, 7
	s_cmp_eq_u32 s0, 0
	s_cbranch_scc0 .LBB239_20
	s_branch .LBB239_22
.LBB239_19:                             ;   in Loop: Header=BB239_14 Depth=1
	s_mov_b32 s50, 0
	s_and_b32 s0, s62, 7
	s_cmp_eq_u32 s0, 0
	s_cbranch_scc1 .LBB239_22
.LBB239_20:                             ;   in Loop: Header=BB239_14 Depth=1
	s_and_b32 s0, s41, 7
	s_lshl_b32 s2, s0, 4
	s_lshl_b64 s[0:1], s[50:51], 4
	s_add_u32 s3, s52, s0
	v_lshl_add_u32 v6, s50, 4, v10
	s_addc_u32 s4, s53, s1
	s_mov_b64 s[0:1], 0
.LBB239_21:                             ;   Parent Loop BB239_14 Depth=1
                                        ; =>  This Inner Loop Header: Depth=2
	s_add_u32 s6, s3, s0
	s_addc_u32 s7, s4, s1
	s_load_dwordx4 s[8:11], s[6:7], 0x0
	ds_read_b128 v[12:15], v6
	v_add_u32_e32 v6, 16, v6
	s_waitcnt lgkmcnt(0)
	s_xor_b32 s5, s11, 0x80000000
	s_and_b64 s[6:7], s[24:25], exec
	s_cselect_b32 s7, s5, s11
	s_cselect_b32 s6, s10, s10
	v_mul_f64 v[8:9], s[8:9], v[14:15]
	s_add_u32 s0, s0, 16
	v_mul_f64 v[14:15], s[6:7], v[14:15]
	v_fmac_f64_e32 v[8:9], s[6:7], v[12:13]
	s_addc_u32 s1, s1, 0
	v_fma_f64 v[12:13], s[8:9], v[12:13], -v[14:15]
	v_add_f64 v[4:5], v[4:5], -v[8:9]
	s_cmp_lg_u32 s2, s0
	v_add_f64 v[2:3], v[2:3], -v[12:13]
	s_cbranch_scc1 .LBB239_21
.LBB239_22:                             ;   in Loop: Header=BB239_14 Depth=1
	s_and_b64 vcc, exec, s[44:45]
	s_waitcnt lgkmcnt(0)
	ds_write_b128 v11, v[2:5]
	s_cbranch_vccz .LBB239_13
; %bb.23:                               ;   in Loop: Header=BB239_14 Depth=1
	s_mul_i32 s0, s61, s62
	s_mul_hi_u32 s1, s60, s62
	s_add_i32 s1, s1, s0
	s_mul_i32 s0, s60, s62
	s_lshl_b64 s[0:1], s[0:1], 4
	s_add_u32 s0, s20, s0
	s_addc_u32 s1, s21, s1
	s_load_dwordx4 s[0:3], s[0:1], 0x0
	s_waitcnt lgkmcnt(0)
	s_xor_b32 s8, s3, 0x80000000
	s_and_b64 s[6:7], s[24:25], exec
	v_cmp_lt_f64_e64 s[4:5], s[0:1], 0
	s_cselect_b32 s3, s8, s3
	s_cselect_b32 s2, s2, s2
	s_xor_b32 s6, s1, 0x80000000
	s_and_b64 s[4:5], s[4:5], exec
	s_cselect_b32 s5, s6, s1
	s_cselect_b32 s4, s0, s0
	v_cmp_lt_f64_e64 s[6:7], s[2:3], 0
	s_xor_b32 s8, s3, 0x80000000
	s_and_b64 s[6:7], s[6:7], exec
	s_cselect_b32 s6, s8, s3
	s_cselect_b32 s7, s2, s2
	v_mov_b32_e32 v6, s7
	v_mov_b32_e32 v7, s6
	v_cmp_ngt_f64_e32 vcc, s[4:5], v[6:7]
	s_cbranch_vccz .LBB239_25
; %bb.24:                               ;   in Loop: Header=BB239_14 Depth=1
	v_pk_mov_b32 v[6:7], s[0:1], s[0:1] op_sel:[0,1]
	v_div_scale_f64 v[8:9], s[4:5], s[2:3], s[2:3], v[6:7]
	v_rcp_f64_e32 v[12:13], v[8:9]
	v_pk_mov_b32 v[14:15], s[2:3], s[2:3] op_sel:[0,1]
	v_fma_f64 v[16:17], -v[8:9], v[12:13], 1.0
	v_fmac_f64_e32 v[12:13], v[12:13], v[16:17]
	v_fma_f64 v[16:17], -v[8:9], v[12:13], 1.0
	v_fmac_f64_e32 v[12:13], v[12:13], v[16:17]
	v_div_scale_f64 v[16:17], vcc, s[0:1], v[14:15], s[0:1]
	v_mul_f64 v[18:19], v[16:17], v[12:13]
	v_fma_f64 v[8:9], -v[8:9], v[18:19], v[16:17]
	s_nop 1
	v_div_fmas_f64 v[8:9], v[8:9], v[12:13], v[18:19]
	v_div_fixup_f64 v[8:9], v[8:9], s[2:3], v[6:7]
	v_fma_f64 v[6:7], s[0:1], v[8:9], v[14:15]
	v_div_scale_f64 v[12:13], s[4:5], v[6:7], v[6:7], 1.0
	v_rcp_f64_e32 v[14:15], v[12:13]
	v_fma_f64 v[16:17], -v[12:13], v[14:15], 1.0
	v_fmac_f64_e32 v[14:15], v[14:15], v[16:17]
	v_fma_f64 v[16:17], -v[12:13], v[14:15], 1.0
	v_fmac_f64_e32 v[14:15], v[14:15], v[16:17]
	v_div_scale_f64 v[16:17], vcc, 1.0, v[6:7], 1.0
	v_mul_f64 v[18:19], v[16:17], v[14:15]
	v_fma_f64 v[12:13], -v[12:13], v[18:19], v[16:17]
	s_nop 1
	v_div_fmas_f64 v[12:13], v[12:13], v[14:15], v[18:19]
	v_div_fixup_f64 v[12:13], v[12:13], v[6:7], 1.0
	v_fma_f64 v[6:7], v[2:3], v[8:9], v[4:5]
	v_fma_f64 v[8:9], v[4:5], v[8:9], -v[2:3]
	v_mul_f64 v[6:7], v[6:7], v[12:13]
	v_mul_f64 v[8:9], v[8:9], v[12:13]
	s_cbranch_execnz .LBB239_12
	s_branch .LBB239_26
.LBB239_25:                             ;   in Loop: Header=BB239_14 Depth=1
                                        ; implicit-def: $vgpr8_vgpr9
.LBB239_26:                             ;   in Loop: Header=BB239_14 Depth=1
	v_pk_mov_b32 v[6:7], s[2:3], s[2:3] op_sel:[0,1]
	v_div_scale_f64 v[8:9], s[4:5], s[0:1], s[0:1], v[6:7]
	v_rcp_f64_e32 v[12:13], v[8:9]
	v_pk_mov_b32 v[14:15], s[0:1], s[0:1] op_sel:[0,1]
	v_fma_f64 v[16:17], -v[8:9], v[12:13], 1.0
	v_fmac_f64_e32 v[12:13], v[12:13], v[16:17]
	v_fma_f64 v[16:17], -v[8:9], v[12:13], 1.0
	v_fmac_f64_e32 v[12:13], v[12:13], v[16:17]
	v_div_scale_f64 v[16:17], vcc, s[2:3], v[14:15], s[2:3]
	v_mul_f64 v[18:19], v[16:17], v[12:13]
	v_fma_f64 v[8:9], -v[8:9], v[18:19], v[16:17]
	s_nop 1
	v_div_fmas_f64 v[8:9], v[8:9], v[12:13], v[18:19]
	v_div_fixup_f64 v[8:9], v[8:9], s[0:1], v[6:7]
	v_fma_f64 v[6:7], s[2:3], v[8:9], v[14:15]
	v_div_scale_f64 v[12:13], s[0:1], v[6:7], v[6:7], 1.0
	v_rcp_f64_e32 v[14:15], v[12:13]
	v_fma_f64 v[16:17], -v[12:13], v[14:15], 1.0
	v_fmac_f64_e32 v[14:15], v[14:15], v[16:17]
	v_fma_f64 v[16:17], -v[12:13], v[14:15], 1.0
	v_fmac_f64_e32 v[14:15], v[14:15], v[16:17]
	v_div_scale_f64 v[16:17], vcc, 1.0, v[6:7], 1.0
	v_mul_f64 v[18:19], v[16:17], v[14:15]
	v_fma_f64 v[12:13], -v[12:13], v[18:19], v[16:17]
	s_nop 1
	v_div_fmas_f64 v[12:13], v[12:13], v[14:15], v[18:19]
	v_div_fixup_f64 v[12:13], v[12:13], v[6:7], 1.0
	v_fma_f64 v[6:7], v[4:5], v[8:9], v[2:3]
	v_fma_f64 v[2:3], -v[2:3], v[8:9], v[4:5]
	v_mul_f64 v[6:7], v[6:7], v[12:13]
	v_mul_f64 v[8:9], v[2:3], v[12:13]
	s_branch .LBB239_12
.LBB239_27:
	s_mov_b64 s[4:5], 0
.LBB239_28:
	s_andn2_b64 vcc, exec, s[4:5]
	s_cbranch_vccnz .LBB239_46
; %bb.29:
	s_andn2_b64 vcc, exec, s[42:43]
	s_cbranch_vccnz .LBB239_46
; %bb.30:
	s_ashr_i32 s41, s40, 31
	s_cmpk_lg_i32 s26, 0x84
	s_cselect_b64 s[4:5], -1, 0
	s_add_u32 s44, s40, 1
	s_addc_u32 s45, s41, 0
	v_lshlrev_b32_e32 v2, 10, v0
	s_lshl_b32 s0, s58, 4
	v_lshlrev_b32_e32 v1, 6, v0
	v_add3_u32 v14, v2, s0, -16
	v_add_u32_e32 v15, 0xffffff90, v2
	s_mov_b32 s7, 0
	s_mov_b32 s46, 0
	;; [unrolled: 1-line block ×4, first 2 shown]
	s_branch .LBB239_33
.LBB239_31:                             ;   in Loop: Header=BB239_33 Depth=1
	ds_write_b128 v16, v[6:9]
.LBB239_32:                             ;   in Loop: Header=BB239_33 Depth=1
	s_add_i32 s0, s48, -1
	s_add_i32 s47, s47, 1
	v_add_u16_e64 v2, s46, 1
	v_readfirstlane_b32 s46, v2
	s_cmp_lt_i32 s48, 1
	s_mov_b32 s48, s0
	s_cbranch_scc1 .LBB239_46
.LBB239_33:                             ; =>This Loop Header: Depth=1
                                        ;     Child Loop BB239_36 Depth 2
                                        ;     Child Loop BB239_40 Depth 2
	v_add_lshl_u32 v16, s48, v1, 4
	ds_read_b128 v[2:5], v16
	s_cmp_le_i32 s59, s48
	s_cbranch_scc1 .LBB239_41
; %bb.34:                               ;   in Loop: Header=BB239_33 Depth=1
	s_mul_i32 s0, s48, s41
	s_mul_hi_u32 s1, s48, s40
	s_add_i32 s1, s1, s0
	s_mul_i32 s0, s48, s40
	s_lshl_b64 s[0:1], s[0:1], 4
	s_add_u32 s49, s20, s0
	s_addc_u32 s50, s21, s1
	s_and_b32 s0, s47, 7
	s_cmp_eq_u32 s0, 0
	s_cbranch_scc1 .LBB239_38
; %bb.35:                               ;   in Loop: Header=BB239_33 Depth=1
	s_and_b32 s0, s46, 7
	v_mov_b32_e32 v6, v14
	s_mov_b32 s6, s59
.LBB239_36:                             ;   Parent Loop BB239_33 Depth=1
                                        ; =>  This Inner Loop Header: Depth=2
	s_lshl_b64 s[2:3], s[6:7], 4
	s_add_u32 s2, s49, s2
	s_addc_u32 s3, s50, s3
	s_load_dwordx4 s[8:11], s[2:3], 0x0
	ds_read_b128 v[8:11], v6
	v_add_u32_e32 v6, -16, v6
	s_waitcnt lgkmcnt(0)
	s_xor_b32 s1, s11, 0x80000000
	s_and_b64 s[2:3], s[24:25], exec
	s_cselect_b32 s3, s1, s11
	s_cselect_b32 s2, s10, s10
	v_mul_f64 v[12:13], s[8:9], v[10:11]
	v_mul_f64 v[10:11], s[2:3], v[10:11]
	s_add_i32 s6, s6, -1
	s_add_i32 s0, s0, -1
	v_fmac_f64_e32 v[12:13], s[2:3], v[8:9]
	v_fma_f64 v[8:9], s[8:9], v[8:9], -v[10:11]
	s_cmp_lg_u32 s0, 0
	v_add_f64 v[4:5], v[4:5], -v[12:13]
	v_add_f64 v[2:3], v[2:3], -v[8:9]
	s_cbranch_scc1 .LBB239_36
; %bb.37:                               ;   in Loop: Header=BB239_33 Depth=1
	s_add_i32 s0, s47, -1
	s_cmp_lt_u32 s0, 7
	s_cbranch_scc0 .LBB239_39
	s_branch .LBB239_41
.LBB239_38:                             ;   in Loop: Header=BB239_33 Depth=1
	s_mov_b32 s6, s59
	s_add_i32 s0, s47, -1
	s_cmp_lt_u32 s0, 7
	s_cbranch_scc1 .LBB239_41
.LBB239_39:                             ;   in Loop: Header=BB239_33 Depth=1
	v_lshl_add_u32 v17, s6, 4, v15
.LBB239_40:                             ;   Parent Loop BB239_33 Depth=1
                                        ; =>  This Inner Loop Header: Depth=2
	s_lshl_b64 s[0:1], s[6:7], 4
	s_add_u32 s0, s49, s0
	s_addc_u32 s1, s50, s1
	ds_read_b128 v[6:9], v17 offset:112
	ds_read_b128 v[10:13], v17 offset:96
	;; [unrolled: 1-line block ×4, first 2 shown]
	ds_read_b128 v[26:29], v17
	ds_read_b128 v[30:33], v17 offset:16
	ds_read_b128 v[34:37], v17 offset:32
	;; [unrolled: 1-line block ×3, first 2 shown]
	s_load_dwordx4 s[52:55], s[0:1], 0x0
	s_mov_b32 s3, s7
	s_mov_b32 s9, s7
	;; [unrolled: 1-line block ×4, first 2 shown]
	s_waitcnt lgkmcnt(0)
	s_xor_b32 s2, s55, 0x80000000
	s_and_b64 s[0:1], s[24:25], exec
	v_mul_f64 v[42:43], s[52:53], v[8:9]
	s_cselect_b32 s1, s2, s55
	s_cselect_b32 s0, s54, s54
	s_add_i32 s2, s6, -1
	v_mul_f64 v[8:9], s[0:1], v[8:9]
	v_fmac_f64_e32 v[42:43], s[0:1], v[6:7]
	s_lshl_b64 s[0:1], s[2:3], 4
	s_add_u32 s0, s49, s0
	s_addc_u32 s1, s50, s1
	s_load_dwordx4 s[0:3], s[0:1], 0x0
	v_fma_f64 v[6:7], s[52:53], v[6:7], -v[8:9]
	v_add_f64 v[2:3], v[2:3], -v[6:7]
	v_add_f64 v[4:5], v[4:5], -v[42:43]
	s_mov_b32 s15, s7
	s_waitcnt lgkmcnt(0)
	s_xor_b32 s8, s3, 0x80000000
	s_and_b64 s[52:53], s[24:25], exec
	v_mul_f64 v[6:7], s[0:1], v[12:13]
	s_cselect_b32 s3, s8, s3
	s_cselect_b32 s2, s2, s2
	s_add_i32 s8, s6, -2
	v_mul_f64 v[8:9], s[2:3], v[12:13]
	v_fmac_f64_e32 v[6:7], s[2:3], v[10:11]
	s_lshl_b64 s[2:3], s[8:9], 4
	v_fma_f64 v[8:9], s[0:1], v[10:11], -v[8:9]
	s_add_u32 s0, s49, s2
	s_addc_u32 s1, s50, s3
	s_load_dwordx4 s[0:3], s[0:1], 0x0
	v_add_f64 v[4:5], v[4:5], -v[6:7]
	v_add_f64 v[2:3], v[2:3], -v[8:9]
	s_mov_b32 s17, s7
	s_mov_b32 s19, s7
	s_waitcnt lgkmcnt(0)
	s_xor_b32 s10, s3, 0x80000000
	s_and_b64 s[8:9], s[24:25], exec
	v_mul_f64 v[6:7], s[0:1], v[20:21]
	s_cselect_b32 s3, s10, s3
	s_cselect_b32 s2, s2, s2
	s_add_i32 s10, s6, -3
	v_mul_f64 v[8:9], s[2:3], v[20:21]
	v_fmac_f64_e32 v[6:7], s[2:3], v[18:19]
	s_lshl_b64 s[2:3], s[10:11], 4
	v_fma_f64 v[8:9], s[0:1], v[18:19], -v[8:9]
	s_add_u32 s0, s49, s2
	s_addc_u32 s1, s50, s3
	s_load_dwordx4 s[0:3], s[0:1], 0x0
	v_add_f64 v[4:5], v[4:5], -v[6:7]
	v_add_f64 v[2:3], v[2:3], -v[8:9]
	v_add_u32_e32 v17, 0xffffff80, v17
	s_waitcnt lgkmcnt(0)
	s_xor_b32 s10, s3, 0x80000000
	s_and_b64 s[8:9], s[24:25], exec
	v_mul_f64 v[6:7], s[0:1], v[24:25]
	s_cselect_b32 s3, s10, s3
	s_cselect_b32 s2, s2, s2
	s_add_i32 s12, s6, -4
	v_mul_f64 v[8:9], s[2:3], v[24:25]
	v_fmac_f64_e32 v[6:7], s[2:3], v[22:23]
	s_lshl_b64 s[2:3], s[12:13], 4
	v_fma_f64 v[8:9], s[0:1], v[22:23], -v[8:9]
	s_add_u32 s0, s49, s2
	s_addc_u32 s1, s50, s3
	s_load_dwordx4 s[0:3], s[0:1], 0x0
	v_add_f64 v[4:5], v[4:5], -v[6:7]
	v_add_f64 v[2:3], v[2:3], -v[8:9]
	s_waitcnt lgkmcnt(0)
	s_xor_b32 s10, s3, 0x80000000
	s_and_b64 s[8:9], s[24:25], exec
	v_mul_f64 v[6:7], s[0:1], v[40:41]
	s_cselect_b32 s3, s10, s3
	s_cselect_b32 s2, s2, s2
	s_add_i32 s14, s6, -5
	v_mul_f64 v[8:9], s[2:3], v[40:41]
	v_fmac_f64_e32 v[6:7], s[2:3], v[38:39]
	s_lshl_b64 s[2:3], s[14:15], 4
	v_fma_f64 v[8:9], s[0:1], v[38:39], -v[8:9]
	s_add_u32 s0, s49, s2
	s_addc_u32 s1, s50, s3
	s_load_dwordx4 s[0:3], s[0:1], 0x0
	v_add_f64 v[4:5], v[4:5], -v[6:7]
	v_add_f64 v[2:3], v[2:3], -v[8:9]
	;; [unrolled: 16-line block ×4, first 2 shown]
	s_waitcnt lgkmcnt(0)
	s_xor_b32 s10, s3, 0x80000000
	s_and_b64 s[8:9], s[24:25], exec
	s_cselect_b32 s3, s10, s3
	s_cselect_b32 s2, s2, s2
	v_mul_f64 v[6:7], s[0:1], v[28:29]
	v_mul_f64 v[8:9], s[2:3], v[28:29]
	s_add_i32 s6, s6, -8
	v_fmac_f64_e32 v[6:7], s[2:3], v[26:27]
	v_fma_f64 v[8:9], s[0:1], v[26:27], -v[8:9]
	s_cmp_le_i32 s6, s48
	v_add_f64 v[4:5], v[4:5], -v[6:7]
	v_add_f64 v[2:3], v[2:3], -v[8:9]
	s_cbranch_scc0 .LBB239_40
.LBB239_41:                             ;   in Loop: Header=BB239_33 Depth=1
	s_and_b64 vcc, exec, s[4:5]
	s_waitcnt lgkmcnt(0)
	ds_write_b128 v16, v[2:5]
	s_cbranch_vccz .LBB239_32
; %bb.42:                               ;   in Loop: Header=BB239_33 Depth=1
	s_mul_i32 s0, s45, s48
	s_mul_hi_u32 s1, s44, s48
	s_add_i32 s1, s1, s0
	s_mul_i32 s0, s44, s48
	s_lshl_b64 s[0:1], s[0:1], 4
	s_add_u32 s0, s20, s0
	s_addc_u32 s1, s21, s1
	s_load_dwordx4 s[0:3], s[0:1], 0x0
	s_waitcnt lgkmcnt(0)
	s_xor_b32 s6, s3, 0x80000000
	s_and_b64 s[10:11], s[24:25], exec
	v_cmp_lt_f64_e64 s[8:9], s[0:1], 0
	s_cselect_b32 s3, s6, s3
	s_cselect_b32 s2, s2, s2
	s_xor_b32 s6, s1, 0x80000000
	s_and_b64 s[8:9], s[8:9], exec
	s_cselect_b32 s9, s6, s1
	s_cselect_b32 s8, s0, s0
	v_cmp_lt_f64_e64 s[10:11], s[2:3], 0
	s_xor_b32 s6, s3, 0x80000000
	s_and_b64 s[10:11], s[10:11], exec
	s_cselect_b32 s6, s6, s3
	s_cselect_b32 s10, s2, s2
	v_mov_b32_e32 v6, s10
	v_mov_b32_e32 v7, s6
	v_cmp_ngt_f64_e32 vcc, s[8:9], v[6:7]
	s_cbranch_vccz .LBB239_44
; %bb.43:                               ;   in Loop: Header=BB239_33 Depth=1
	v_pk_mov_b32 v[6:7], s[0:1], s[0:1] op_sel:[0,1]
	v_div_scale_f64 v[8:9], s[8:9], s[2:3], s[2:3], v[6:7]
	v_rcp_f64_e32 v[10:11], v[8:9]
	v_pk_mov_b32 v[12:13], s[2:3], s[2:3] op_sel:[0,1]
	v_fma_f64 v[18:19], -v[8:9], v[10:11], 1.0
	v_fmac_f64_e32 v[10:11], v[10:11], v[18:19]
	v_fma_f64 v[18:19], -v[8:9], v[10:11], 1.0
	v_fmac_f64_e32 v[10:11], v[10:11], v[18:19]
	v_div_scale_f64 v[18:19], vcc, s[0:1], v[12:13], s[0:1]
	v_mul_f64 v[20:21], v[18:19], v[10:11]
	v_fma_f64 v[8:9], -v[8:9], v[20:21], v[18:19]
	s_nop 1
	v_div_fmas_f64 v[8:9], v[8:9], v[10:11], v[20:21]
	v_div_fixup_f64 v[8:9], v[8:9], s[2:3], v[6:7]
	v_fma_f64 v[6:7], s[0:1], v[8:9], v[12:13]
	v_div_scale_f64 v[10:11], s[8:9], v[6:7], v[6:7], 1.0
	v_rcp_f64_e32 v[12:13], v[10:11]
	v_fma_f64 v[18:19], -v[10:11], v[12:13], 1.0
	v_fmac_f64_e32 v[12:13], v[12:13], v[18:19]
	v_fma_f64 v[18:19], -v[10:11], v[12:13], 1.0
	v_fmac_f64_e32 v[12:13], v[12:13], v[18:19]
	v_div_scale_f64 v[18:19], vcc, 1.0, v[6:7], 1.0
	v_mul_f64 v[20:21], v[18:19], v[12:13]
	v_fma_f64 v[10:11], -v[10:11], v[20:21], v[18:19]
	s_nop 1
	v_div_fmas_f64 v[10:11], v[10:11], v[12:13], v[20:21]
	v_div_fixup_f64 v[10:11], v[10:11], v[6:7], 1.0
	v_fma_f64 v[6:7], v[2:3], v[8:9], v[4:5]
	v_fma_f64 v[8:9], v[4:5], v[8:9], -v[2:3]
	v_mul_f64 v[6:7], v[6:7], v[10:11]
	v_mul_f64 v[8:9], v[8:9], v[10:11]
	s_cbranch_execnz .LBB239_31
	s_branch .LBB239_45
.LBB239_44:                             ;   in Loop: Header=BB239_33 Depth=1
                                        ; implicit-def: $vgpr8_vgpr9
.LBB239_45:                             ;   in Loop: Header=BB239_33 Depth=1
	v_pk_mov_b32 v[6:7], s[2:3], s[2:3] op_sel:[0,1]
	v_div_scale_f64 v[8:9], s[8:9], s[0:1], s[0:1], v[6:7]
	v_rcp_f64_e32 v[10:11], v[8:9]
	v_pk_mov_b32 v[12:13], s[0:1], s[0:1] op_sel:[0,1]
	v_fma_f64 v[18:19], -v[8:9], v[10:11], 1.0
	v_fmac_f64_e32 v[10:11], v[10:11], v[18:19]
	v_fma_f64 v[18:19], -v[8:9], v[10:11], 1.0
	v_fmac_f64_e32 v[10:11], v[10:11], v[18:19]
	v_div_scale_f64 v[18:19], vcc, s[2:3], v[12:13], s[2:3]
	v_mul_f64 v[20:21], v[18:19], v[10:11]
	v_fma_f64 v[8:9], -v[8:9], v[20:21], v[18:19]
	s_nop 1
	v_div_fmas_f64 v[8:9], v[8:9], v[10:11], v[20:21]
	v_div_fixup_f64 v[8:9], v[8:9], s[0:1], v[6:7]
	v_fma_f64 v[6:7], s[2:3], v[8:9], v[12:13]
	v_div_scale_f64 v[10:11], s[0:1], v[6:7], v[6:7], 1.0
	v_rcp_f64_e32 v[12:13], v[10:11]
	v_fma_f64 v[18:19], -v[10:11], v[12:13], 1.0
	v_fmac_f64_e32 v[12:13], v[12:13], v[18:19]
	v_fma_f64 v[18:19], -v[10:11], v[12:13], 1.0
	v_fmac_f64_e32 v[12:13], v[12:13], v[18:19]
	v_div_scale_f64 v[18:19], vcc, 1.0, v[6:7], 1.0
	v_mul_f64 v[20:21], v[18:19], v[12:13]
	v_fma_f64 v[10:11], -v[10:11], v[20:21], v[18:19]
	s_nop 1
	v_div_fmas_f64 v[10:11], v[10:11], v[12:13], v[20:21]
	v_div_fixup_f64 v[10:11], v[10:11], v[6:7], 1.0
	v_fma_f64 v[6:7], v[4:5], v[8:9], v[2:3]
	v_fma_f64 v[2:3], -v[2:3], v[8:9], v[4:5]
	v_mul_f64 v[6:7], v[6:7], v[10:11]
	v_mul_f64 v[8:9], v[2:3], v[10:11]
	s_branch .LBB239_31
.LBB239_46:
	s_mov_b64 s[6:7], 0
.LBB239_47:
	s_andn2_b64 vcc, exec, s[6:7]
	s_cbranch_vccnz .LBB239_65
; %bb.48:
	s_andn2_b64 vcc, exec, s[42:43]
	s_cbranch_vccnz .LBB239_65
; %bb.49:
	s_ashr_i32 s10, s40, 31
	s_cmpk_lg_i32 s26, 0x84
	s_cselect_b64 s[4:5], -1, 0
	s_add_u32 s11, s40, 1
	s_addc_u32 s12, s10, 0
	v_lshlrev_b32_e32 v2, 10, v0
	s_lshl_b32 s0, s58, 4
	v_lshlrev_b32_e32 v1, 6, v0
	v_add3_u32 v10, v2, s0, -16
	v_subrev_u32_e32 v11, 48, v2
	s_mov_b32 s7, 0
	s_mov_b32 s13, 0
	;; [unrolled: 1-line block ×4, first 2 shown]
	s_branch .LBB239_52
.LBB239_50:                             ;   in Loop: Header=BB239_52 Depth=1
	ds_write_b128 v12, v[6:9]
.LBB239_51:                             ;   in Loop: Header=BB239_52 Depth=1
	s_add_i32 s0, s6, -1
	s_add_i32 s14, s14, 1
	v_add_u16_e64 v2, s13, 1
	v_readfirstlane_b32 s13, v2
	s_cmp_lt_i32 s6, 1
	s_mov_b32 s6, s0
	s_cbranch_scc1 .LBB239_65
.LBB239_52:                             ; =>This Loop Header: Depth=1
                                        ;     Child Loop BB239_55 Depth 2
                                        ;     Child Loop BB239_59 Depth 2
	v_add_lshl_u32 v12, s6, v1, 4
	ds_read_b128 v[2:5], v12
	s_cmp_le_i32 s59, s6
	s_cbranch_scc1 .LBB239_60
; %bb.53:                               ;   in Loop: Header=BB239_52 Depth=1
	s_lshl_b64 s[0:1], s[6:7], 4
	s_add_u32 s2, s20, s0
	s_addc_u32 s3, s21, s1
	s_and_b32 s0, s14, 3
	s_cmp_eq_u32 s0, 0
	s_cbranch_scc1 .LBB239_57
; %bb.54:                               ;   in Loop: Header=BB239_52 Depth=1
	s_and_b32 s0, s13, 3
	v_mov_b32_e32 v6, v10
	s_mov_b32 s8, s59
.LBB239_55:                             ;   Parent Loop BB239_52 Depth=1
                                        ; =>  This Inner Loop Header: Depth=2
	s_mul_i32 s1, s8, s10
	s_mul_hi_u32 s9, s8, s40
	s_mul_i32 s16, s8, s40
	s_add_i32 s17, s9, s1
	s_lshl_b64 s[16:17], s[16:17], 4
	s_add_u32 s16, s2, s16
	s_addc_u32 s17, s3, s17
	ds_read_b128 v[14:17], v6
	s_load_dwordx4 s[16:19], s[16:17], 0x0
	s_add_i32 s8, s8, -1
	s_add_i32 s0, s0, -1
	v_add_u32_e32 v6, -16, v6
	s_cmp_lg_u32 s0, 0
	s_waitcnt lgkmcnt(0)
	v_mul_f64 v[8:9], s[18:19], v[16:17]
	v_mul_f64 v[16:17], s[16:17], v[16:17]
	v_fma_f64 v[8:9], s[16:17], v[14:15], -v[8:9]
	v_fmac_f64_e32 v[16:17], s[18:19], v[14:15]
	v_add_f64 v[2:3], v[2:3], -v[8:9]
	v_add_f64 v[4:5], v[4:5], -v[16:17]
	s_cbranch_scc1 .LBB239_55
; %bb.56:                               ;   in Loop: Header=BB239_52 Depth=1
	s_add_i32 s0, s14, -1
	s_cmp_lt_u32 s0, 3
	s_cbranch_scc0 .LBB239_58
	s_branch .LBB239_60
.LBB239_57:                             ;   in Loop: Header=BB239_52 Depth=1
	s_mov_b32 s8, s59
	s_add_i32 s0, s14, -1
	s_cmp_lt_u32 s0, 3
	s_cbranch_scc1 .LBB239_60
.LBB239_58:                             ;   in Loop: Header=BB239_52 Depth=1
	v_lshl_add_u32 v6, s8, 4, v11
.LBB239_59:                             ;   Parent Loop BB239_52 Depth=1
                                        ; =>  This Inner Loop Header: Depth=2
	s_mul_i32 s1, s8, s10
	s_mul_hi_u32 s9, s8, s40
	s_mul_i32 s0, s8, s40
	s_add_i32 s1, s9, s1
	s_lshl_b64 s[0:1], s[0:1], 4
	s_add_u32 s0, s2, s0
	s_addc_u32 s1, s3, s1
	s_add_i32 s9, s8, -1
	s_mul_i32 s15, s9, s10
	s_mul_hi_u32 s25, s9, s40
	s_mul_i32 s24, s9, s40
	s_add_i32 s25, s25, s15
	ds_read_b128 v[14:17], v6
	ds_read_b128 v[18:21], v6 offset:16
	ds_read_b128 v[22:25], v6 offset:32
	;; [unrolled: 1-line block ×3, first 2 shown]
	s_load_dwordx4 s[16:19], s[0:1], 0x0
	s_lshl_b64 s[0:1], s[24:25], 4
	s_add_u32 s0, s2, s0
	s_addc_u32 s1, s3, s1
	s_add_i32 s9, s8, -2
	s_load_dwordx4 s[44:47], s[0:1], 0x0
	s_mul_i32 s1, s9, s10
	s_mul_hi_u32 s15, s9, s40
	s_mul_i32 s0, s9, s40
	s_add_i32 s1, s15, s1
	s_lshl_b64 s[0:1], s[0:1], 4
	s_add_u32 s0, s2, s0
	s_addc_u32 s1, s3, s1
	s_add_i32 s9, s8, -3
	s_mul_i32 s15, s9, s10
	s_mul_hi_u32 s25, s9, s40
	s_waitcnt lgkmcnt(0)
	v_mul_f64 v[8:9], s[18:19], v[28:29]
	v_mul_f64 v[28:29], s[16:17], v[28:29]
	s_mul_i32 s24, s9, s40
	s_add_i32 s25, s25, s15
	v_fma_f64 v[8:9], s[16:17], v[26:27], -v[8:9]
	v_fmac_f64_e32 v[28:29], s[18:19], v[26:27]
	s_load_dwordx4 s[16:19], s[0:1], 0x0
	s_lshl_b64 s[0:1], s[24:25], 4
	s_add_u32 s0, s2, s0
	v_add_f64 v[2:3], v[2:3], -v[8:9]
	v_mul_f64 v[8:9], s[46:47], v[24:25]
	v_mul_f64 v[24:25], s[44:45], v[24:25]
	s_addc_u32 s1, s3, s1
	v_fma_f64 v[8:9], s[44:45], v[22:23], -v[8:9]
	v_fmac_f64_e32 v[24:25], s[46:47], v[22:23]
	s_load_dwordx4 s[44:47], s[0:1], 0x0
	v_add_f64 v[2:3], v[2:3], -v[8:9]
	s_waitcnt lgkmcnt(0)
	v_mul_f64 v[8:9], s[18:19], v[20:21]
	v_add_f64 v[4:5], v[4:5], -v[28:29]
	v_mul_f64 v[20:21], s[16:17], v[20:21]
	v_fma_f64 v[8:9], s[16:17], v[18:19], -v[8:9]
	v_add_f64 v[4:5], v[4:5], -v[24:25]
	v_fmac_f64_e32 v[20:21], s[18:19], v[18:19]
	v_add_f64 v[2:3], v[2:3], -v[8:9]
	v_mul_f64 v[8:9], s[46:47], v[16:17]
	v_mul_f64 v[16:17], s[44:45], v[16:17]
	s_add_i32 s8, s8, -4
	v_add_f64 v[4:5], v[4:5], -v[20:21]
	v_fma_f64 v[8:9], s[44:45], v[14:15], -v[8:9]
	v_fmac_f64_e32 v[16:17], s[46:47], v[14:15]
	v_subrev_u32_e32 v6, 64, v6
	s_cmp_le_i32 s8, s6
	v_add_f64 v[2:3], v[2:3], -v[8:9]
	v_add_f64 v[4:5], v[4:5], -v[16:17]
	s_cbranch_scc0 .LBB239_59
.LBB239_60:                             ;   in Loop: Header=BB239_52 Depth=1
	s_and_b64 vcc, exec, s[4:5]
	s_waitcnt lgkmcnt(0)
	ds_write_b128 v12, v[2:5]
	s_cbranch_vccz .LBB239_51
; %bb.61:                               ;   in Loop: Header=BB239_52 Depth=1
	s_mul_i32 s0, s12, s6
	s_mul_hi_u32 s1, s11, s6
	s_add_i32 s1, s1, s0
	s_mul_i32 s0, s11, s6
	s_lshl_b64 s[0:1], s[0:1], 4
	s_add_u32 s0, s20, s0
	s_addc_u32 s1, s21, s1
	s_load_dwordx4 s[0:3], s[0:1], 0x0
	s_waitcnt lgkmcnt(0)
	v_cmp_lt_f64_e64 s[8:9], s[0:1], 0
	s_xor_b32 s15, s1, 0x80000000
	s_and_b64 s[8:9], s[8:9], exec
	s_cselect_b32 s9, s15, s1
	s_cselect_b32 s8, s0, s0
	v_cmp_lt_f64_e64 s[16:17], s[2:3], 0
	s_xor_b32 s15, s3, 0x80000000
	s_and_b64 s[16:17], s[16:17], exec
	s_cselect_b32 s15, s15, s3
	s_cselect_b32 s16, s2, s2
	v_mov_b32_e32 v6, s16
	v_mov_b32_e32 v7, s15
	v_cmp_ngt_f64_e32 vcc, s[8:9], v[6:7]
	s_cbranch_vccz .LBB239_63
; %bb.62:                               ;   in Loop: Header=BB239_52 Depth=1
	v_pk_mov_b32 v[6:7], s[0:1], s[0:1] op_sel:[0,1]
	v_div_scale_f64 v[8:9], s[8:9], s[2:3], s[2:3], v[6:7]
	v_rcp_f64_e32 v[14:15], v[8:9]
	v_pk_mov_b32 v[16:17], s[2:3], s[2:3] op_sel:[0,1]
	v_fma_f64 v[18:19], -v[8:9], v[14:15], 1.0
	v_fmac_f64_e32 v[14:15], v[14:15], v[18:19]
	v_fma_f64 v[18:19], -v[8:9], v[14:15], 1.0
	v_fmac_f64_e32 v[14:15], v[14:15], v[18:19]
	v_div_scale_f64 v[18:19], vcc, s[0:1], v[16:17], s[0:1]
	v_mul_f64 v[20:21], v[18:19], v[14:15]
	v_fma_f64 v[8:9], -v[8:9], v[20:21], v[18:19]
	s_nop 1
	v_div_fmas_f64 v[8:9], v[8:9], v[14:15], v[20:21]
	v_div_fixup_f64 v[8:9], v[8:9], s[2:3], v[6:7]
	v_fma_f64 v[6:7], s[0:1], v[8:9], v[16:17]
	v_div_scale_f64 v[14:15], s[8:9], v[6:7], v[6:7], 1.0
	v_rcp_f64_e32 v[16:17], v[14:15]
	v_fma_f64 v[18:19], -v[14:15], v[16:17], 1.0
	v_fmac_f64_e32 v[16:17], v[16:17], v[18:19]
	v_fma_f64 v[18:19], -v[14:15], v[16:17], 1.0
	v_fmac_f64_e32 v[16:17], v[16:17], v[18:19]
	v_div_scale_f64 v[18:19], vcc, 1.0, v[6:7], 1.0
	v_mul_f64 v[20:21], v[18:19], v[16:17]
	v_fma_f64 v[14:15], -v[14:15], v[20:21], v[18:19]
	s_nop 1
	v_div_fmas_f64 v[14:15], v[14:15], v[16:17], v[20:21]
	v_div_fixup_f64 v[14:15], v[14:15], v[6:7], 1.0
	v_fma_f64 v[6:7], v[2:3], v[8:9], v[4:5]
	v_fma_f64 v[8:9], v[4:5], v[8:9], -v[2:3]
	v_mul_f64 v[6:7], v[6:7], v[14:15]
	v_mul_f64 v[8:9], v[8:9], v[14:15]
	s_cbranch_execnz .LBB239_50
	s_branch .LBB239_64
.LBB239_63:                             ;   in Loop: Header=BB239_52 Depth=1
                                        ; implicit-def: $vgpr8_vgpr9
.LBB239_64:                             ;   in Loop: Header=BB239_52 Depth=1
	v_pk_mov_b32 v[6:7], s[2:3], s[2:3] op_sel:[0,1]
	v_div_scale_f64 v[8:9], s[8:9], s[0:1], s[0:1], v[6:7]
	v_rcp_f64_e32 v[14:15], v[8:9]
	v_pk_mov_b32 v[16:17], s[0:1], s[0:1] op_sel:[0,1]
	v_fma_f64 v[18:19], -v[8:9], v[14:15], 1.0
	v_fmac_f64_e32 v[14:15], v[14:15], v[18:19]
	v_fma_f64 v[18:19], -v[8:9], v[14:15], 1.0
	v_fmac_f64_e32 v[14:15], v[14:15], v[18:19]
	v_div_scale_f64 v[18:19], vcc, s[2:3], v[16:17], s[2:3]
	v_mul_f64 v[20:21], v[18:19], v[14:15]
	v_fma_f64 v[8:9], -v[8:9], v[20:21], v[18:19]
	s_nop 1
	v_div_fmas_f64 v[8:9], v[8:9], v[14:15], v[20:21]
	v_div_fixup_f64 v[8:9], v[8:9], s[0:1], v[6:7]
	v_fma_f64 v[6:7], s[2:3], v[8:9], v[16:17]
	v_div_scale_f64 v[14:15], s[0:1], v[6:7], v[6:7], 1.0
	v_rcp_f64_e32 v[16:17], v[14:15]
	v_fma_f64 v[18:19], -v[14:15], v[16:17], 1.0
	v_fmac_f64_e32 v[16:17], v[16:17], v[18:19]
	v_fma_f64 v[18:19], -v[14:15], v[16:17], 1.0
	v_fmac_f64_e32 v[16:17], v[16:17], v[18:19]
	v_div_scale_f64 v[18:19], vcc, 1.0, v[6:7], 1.0
	v_mul_f64 v[20:21], v[18:19], v[16:17]
	v_fma_f64 v[14:15], -v[14:15], v[20:21], v[18:19]
	s_nop 1
	v_div_fmas_f64 v[14:15], v[14:15], v[16:17], v[20:21]
	v_div_fixup_f64 v[14:15], v[14:15], v[6:7], 1.0
	v_fma_f64 v[6:7], v[4:5], v[8:9], v[2:3]
	v_fma_f64 v[2:3], -v[2:3], v[8:9], v[4:5]
	v_mul_f64 v[6:7], v[6:7], v[14:15]
	v_mul_f64 v[8:9], v[2:3], v[14:15]
	s_branch .LBB239_50
.LBB239_65:
	s_mov_b64 s[10:11], 0
.LBB239_66:
	s_andn2_b64 vcc, exec, s[10:11]
	s_cbranch_vccnz .LBB239_82
; %bb.67:
	s_cmp_lt_i32 s27, 1
	s_cbranch_scc1 .LBB239_82
; %bb.68:
	s_ashr_i32 s41, s40, 31
	s_cmpk_lg_i32 s26, 0x84
	s_cselect_b64 s[12:13], -1, 0
	s_add_u32 s26, s40, 1
	v_lshlrev_b32_e32 v1, 6, v0
	s_addc_u32 s42, s41, 0
	v_lshlrev_b32_e32 v6, 10, v0
	s_lshl_b64 s[14:15], s[40:41], 6
	s_lshl_b64 s[16:17], s[40:41], 4
	s_mov_b32 s40, 0
	s_mov_b32 s41, 0
	s_mov_b64 s[18:19], s[20:21]
	s_branch .LBB239_70
.LBB239_69:                             ;   in Loop: Header=BB239_70 Depth=1
	s_add_i32 s40, s40, 1
	s_add_u32 s18, s18, 16
	s_addc_u32 s19, s19, 0
	s_waitcnt lgkmcnt(0)
	v_add_u16_e64 v2, s41, 1
	s_cmp_eq_u32 s40, s58
	v_readfirstlane_b32 s41, v2
	s_cbranch_scc1 .LBB239_82
.LBB239_70:                             ; =>This Loop Header: Depth=1
                                        ;     Child Loop BB239_73 Depth 2
                                        ;     Child Loop BB239_76 Depth 2
	s_cmp_eq_u32 s40, 0
	v_add_lshl_u32 v7, s40, v1, 4
	s_cbranch_scc1 .LBB239_77
; %bb.71:                               ;   in Loop: Header=BB239_70 Depth=1
	ds_read_b128 v[2:5], v7
	s_cmp_lt_u32 s40, 4
	s_mov_b32 s43, 0
	s_cbranch_scc1 .LBB239_74
; %bb.72:                               ;   in Loop: Header=BB239_70 Depth=1
	s_and_b32 s43, s40, -4
	s_mov_b32 s44, 0
	s_mov_b64 s[24:25], s[18:19]
	v_mov_b32_e32 v8, v6
.LBB239_73:                             ;   Parent Loop BB239_70 Depth=1
                                        ; =>  This Inner Loop Header: Depth=2
	s_load_dwordx4 s[0:3], s[24:25], 0x0
	ds_read_b128 v[10:13], v8
	s_add_u32 s4, s24, s16
	s_addc_u32 s5, s25, s17
	s_load_dwordx4 s[8:11], s[4:5], 0x0
	s_add_u32 s46, s4, s16
	s_waitcnt lgkmcnt(0)
	v_mul_f64 v[14:15], s[2:3], v[12:13]
	v_mul_f64 v[12:13], s[0:1], v[12:13]
	v_fma_f64 v[14:15], s[0:1], v[10:11], -v[14:15]
	v_fmac_f64_e32 v[12:13], s[2:3], v[10:11]
	v_add_f64 v[2:3], v[2:3], -v[14:15]
	v_add_f64 v[4:5], v[4:5], -v[12:13]
	ds_write_b128 v7, v[2:5]
	ds_read_b128 v[10:13], v8 offset:16
	s_addc_u32 s47, s5, s17
	s_load_dwordx4 s[4:7], s[46:47], 0x0
	s_add_u32 s46, s46, s16
	s_addc_u32 s47, s47, s17
	s_waitcnt lgkmcnt(0)
	v_mul_f64 v[14:15], s[10:11], v[12:13]
	v_mul_f64 v[12:13], s[8:9], v[12:13]
	v_fma_f64 v[14:15], s[8:9], v[10:11], -v[14:15]
	v_fmac_f64_e32 v[12:13], s[10:11], v[10:11]
	v_add_f64 v[2:3], v[2:3], -v[14:15]
	v_add_f64 v[4:5], v[4:5], -v[12:13]
	ds_write_b128 v7, v[2:5]
	ds_read_b128 v[10:13], v8 offset:32
	s_load_dwordx4 s[48:51], s[46:47], 0x0
	s_add_i32 s44, s44, 4
	s_add_u32 s24, s24, s14
	s_addc_u32 s25, s25, s15
	s_waitcnt lgkmcnt(0)
	v_mul_f64 v[14:15], s[6:7], v[12:13]
	v_mul_f64 v[12:13], s[4:5], v[12:13]
	v_fma_f64 v[14:15], s[4:5], v[10:11], -v[14:15]
	v_fmac_f64_e32 v[12:13], s[6:7], v[10:11]
	v_add_f64 v[2:3], v[2:3], -v[14:15]
	v_add_f64 v[4:5], v[4:5], -v[12:13]
	ds_write_b128 v7, v[2:5]
	ds_read_b128 v[10:13], v8 offset:48
	s_cmp_eq_u32 s43, s44
	v_add_u32_e32 v8, 64, v8
	s_waitcnt lgkmcnt(0)
	v_mul_f64 v[14:15], s[50:51], v[12:13]
	v_mul_f64 v[12:13], s[48:49], v[12:13]
	v_fma_f64 v[14:15], s[48:49], v[10:11], -v[14:15]
	v_fmac_f64_e32 v[12:13], s[50:51], v[10:11]
	v_add_f64 v[2:3], v[2:3], -v[14:15]
	v_add_f64 v[4:5], v[4:5], -v[12:13]
	ds_write_b128 v7, v[2:5]
	s_cbranch_scc0 .LBB239_73
.LBB239_74:                             ;   in Loop: Header=BB239_70 Depth=1
	s_and_b32 s0, s40, 3
	s_cmp_eq_u32 s0, 0
	s_cbranch_scc1 .LBB239_77
; %bb.75:                               ;   in Loop: Header=BB239_70 Depth=1
	s_mul_i32 s1, s17, s43
	s_mul_hi_u32 s2, s16, s43
	s_and_b32 s0, s41, 3
	v_lshl_add_u32 v8, s43, 4, v6
	s_add_i32 s1, s2, s1
	s_mul_i32 s2, s16, s43
.LBB239_76:                             ;   Parent Loop BB239_70 Depth=1
                                        ; =>  This Inner Loop Header: Depth=2
	s_add_u32 s4, s18, s2
	s_addc_u32 s5, s19, s1
	ds_read_b128 v[10:13], v8
	s_load_dwordx4 s[4:7], s[4:5], 0x0
	s_add_u32 s2, s2, s16
	s_addc_u32 s1, s1, s17
	s_add_i32 s0, s0, -1
	v_add_u32_e32 v8, 16, v8
	s_waitcnt lgkmcnt(0)
	v_mul_f64 v[14:15], s[6:7], v[12:13]
	v_mul_f64 v[12:13], s[4:5], v[12:13]
	v_fma_f64 v[14:15], s[4:5], v[10:11], -v[14:15]
	v_fmac_f64_e32 v[12:13], s[6:7], v[10:11]
	s_cmp_lg_u32 s0, 0
	v_add_f64 v[2:3], v[2:3], -v[14:15]
	v_add_f64 v[4:5], v[4:5], -v[12:13]
	ds_write_b128 v7, v[2:5]
	s_cbranch_scc1 .LBB239_76
.LBB239_77:                             ;   in Loop: Header=BB239_70 Depth=1
	s_and_b64 vcc, exec, s[12:13]
	s_cbranch_vccz .LBB239_69
; %bb.78:                               ;   in Loop: Header=BB239_70 Depth=1
	s_mul_i32 s0, s42, s40
	s_mul_hi_u32 s1, s26, s40
	s_add_i32 s1, s1, s0
	s_mul_i32 s0, s26, s40
	s_lshl_b64 s[0:1], s[0:1], 4
	s_add_u32 s0, s20, s0
	s_addc_u32 s1, s21, s1
	s_load_dwordx4 s[0:3], s[0:1], 0x0
	s_waitcnt lgkmcnt(0)
	v_cmp_lt_f64_e64 s[4:5], s[0:1], 0
	s_xor_b32 s6, s1, 0x80000000
	s_and_b64 s[4:5], s[4:5], exec
	s_cselect_b32 s5, s6, s1
	s_cselect_b32 s4, s0, s0
	v_cmp_lt_f64_e64 s[6:7], s[2:3], 0
	s_xor_b32 s8, s3, 0x80000000
	s_and_b64 s[6:7], s[6:7], exec
	s_cselect_b32 s6, s8, s3
	s_cselect_b32 s7, s2, s2
	v_mov_b32_e32 v2, s7
	v_mov_b32_e32 v3, s6
	v_cmp_ngt_f64_e32 vcc, s[4:5], v[2:3]
	s_mov_b64 s[4:5], -1
	s_cbranch_vccz .LBB239_80
; %bb.79:                               ;   in Loop: Header=BB239_70 Depth=1
	v_pk_mov_b32 v[2:3], s[0:1], s[0:1] op_sel:[0,1]
	v_div_scale_f64 v[4:5], s[4:5], s[2:3], s[2:3], v[2:3]
	v_rcp_f64_e32 v[8:9], v[4:5]
	v_pk_mov_b32 v[10:11], s[2:3], s[2:3] op_sel:[0,1]
	v_fma_f64 v[12:13], -v[4:5], v[8:9], 1.0
	v_fmac_f64_e32 v[8:9], v[8:9], v[12:13]
	v_fma_f64 v[12:13], -v[4:5], v[8:9], 1.0
	v_fmac_f64_e32 v[8:9], v[8:9], v[12:13]
	v_div_scale_f64 v[12:13], vcc, s[0:1], v[10:11], s[0:1]
	v_mul_f64 v[14:15], v[12:13], v[8:9]
	v_fma_f64 v[4:5], -v[4:5], v[14:15], v[12:13]
	s_nop 1
	v_div_fmas_f64 v[4:5], v[4:5], v[8:9], v[14:15]
	v_div_fixup_f64 v[12:13], v[4:5], s[2:3], v[2:3]
	v_fma_f64 v[8:9], s[0:1], v[12:13], v[10:11]
	v_div_scale_f64 v[10:11], s[4:5], v[8:9], v[8:9], 1.0
	v_rcp_f64_e32 v[14:15], v[10:11]
	v_div_scale_f64 v[16:17], vcc, 1.0, v[8:9], 1.0
	s_mov_b64 s[4:5], 0
	v_fma_f64 v[2:3], -v[10:11], v[14:15], 1.0
	v_fmac_f64_e32 v[14:15], v[14:15], v[2:3]
	v_fma_f64 v[2:3], -v[10:11], v[14:15], 1.0
	v_fmac_f64_e32 v[14:15], v[14:15], v[2:3]
	ds_read_b128 v[2:5], v7
	v_mul_f64 v[18:19], v[16:17], v[14:15]
	v_fma_f64 v[10:11], -v[10:11], v[18:19], v[16:17]
	v_div_fmas_f64 v[10:11], v[10:11], v[14:15], v[18:19]
	v_div_fixup_f64 v[10:11], v[10:11], v[8:9], 1.0
	s_waitcnt lgkmcnt(0)
	v_fma_f64 v[8:9], v[12:13], v[2:3], v[4:5]
	v_fma_f64 v[2:3], v[12:13], v[4:5], -v[2:3]
	v_mul_f64 v[8:9], v[10:11], v[8:9]
	v_mul_f64 v[10:11], v[10:11], v[2:3]
	ds_write_b128 v7, v[8:11]
.LBB239_80:                             ;   in Loop: Header=BB239_70 Depth=1
	s_andn2_b64 vcc, exec, s[4:5]
	s_cbranch_vccnz .LBB239_69
; %bb.81:                               ;   in Loop: Header=BB239_70 Depth=1
	v_pk_mov_b32 v[2:3], s[2:3], s[2:3] op_sel:[0,1]
	v_div_scale_f64 v[4:5], s[4:5], s[0:1], s[0:1], v[2:3]
	v_rcp_f64_e32 v[8:9], v[4:5]
	v_pk_mov_b32 v[10:11], s[0:1], s[0:1] op_sel:[0,1]
	v_fma_f64 v[12:13], -v[4:5], v[8:9], 1.0
	v_fmac_f64_e32 v[8:9], v[8:9], v[12:13]
	v_fma_f64 v[12:13], -v[4:5], v[8:9], 1.0
	v_fmac_f64_e32 v[8:9], v[8:9], v[12:13]
	v_div_scale_f64 v[12:13], vcc, s[2:3], v[10:11], s[2:3]
	v_mul_f64 v[14:15], v[12:13], v[8:9]
	v_fma_f64 v[4:5], -v[4:5], v[14:15], v[12:13]
	s_nop 1
	v_div_fmas_f64 v[4:5], v[4:5], v[8:9], v[14:15]
	v_div_fixup_f64 v[12:13], v[4:5], s[0:1], v[2:3]
	v_fma_f64 v[8:9], s[2:3], v[12:13], v[10:11]
	v_div_scale_f64 v[10:11], s[0:1], v[8:9], v[8:9], 1.0
	v_rcp_f64_e32 v[14:15], v[10:11]
	v_div_scale_f64 v[16:17], vcc, 1.0, v[8:9], 1.0
	v_fma_f64 v[2:3], -v[10:11], v[14:15], 1.0
	v_fmac_f64_e32 v[14:15], v[14:15], v[2:3]
	v_fma_f64 v[2:3], -v[10:11], v[14:15], 1.0
	v_fmac_f64_e32 v[14:15], v[14:15], v[2:3]
	ds_read_b128 v[2:5], v7
	v_mul_f64 v[18:19], v[16:17], v[14:15]
	v_fma_f64 v[10:11], -v[10:11], v[18:19], v[16:17]
	v_div_fmas_f64 v[10:11], v[10:11], v[14:15], v[18:19]
	v_div_fixup_f64 v[10:11], v[10:11], v[8:9], 1.0
	s_waitcnt lgkmcnt(0)
	v_fma_f64 v[8:9], v[12:13], v[4:5], v[2:3]
	v_fma_f64 v[2:3], -v[12:13], v[2:3], v[4:5]
	v_mul_f64 v[8:9], v[10:11], v[8:9]
	v_mul_f64 v[10:11], v[10:11], v[2:3]
	ds_write_b128 v7, v[8:11]
	s_branch .LBB239_69
.LBB239_82:
	v_cmp_gt_i32_e32 vcc, s27, v0
	s_and_b64 s[0:1], vcc, s[38:39]
	s_waitcnt lgkmcnt(0)
	; wave barrier
	s_waitcnt lgkmcnt(0)
	s_and_saveexec_b64 s[2:3], s[0:1]
	s_cbranch_execz .LBB239_89
; %bb.83:
	s_mov_b32 s6, 0
	s_cmp_lt_u32 s33, 4
	v_lshlrev_b32_e32 v2, 4, v0
	s_cbranch_scc1 .LBB239_86
; %bb.84:
	s_and_b32 s6, s33, 0x7ffffffc
	s_lshl_b64 s[0:1], s[36:37], 4
	s_add_u32 s2, s0, 48
	s_addc_u32 s3, s1, 0
	s_mul_i32 s4, s2, s29
	s_mul_hi_u32 s5, s2, s28
	s_add_i32 s4, s5, s4
	s_mul_i32 s3, s3, s28
	s_add_i32 s4, s4, s3
	s_mul_i32 s2, s2, s28
	s_add_u32 s2, s30, s2
	s_addc_u32 s3, s31, s4
	s_add_u32 s2, s2, s34
	s_addc_u32 s3, s3, s35
	;; [unrolled: 2-line block ×3, first 2 shown]
	s_lshl_b64 s[8:9], s[28:29], 6
	s_add_u32 s2, s0, 32
	s_addc_u32 s3, s1, 0
	s_mul_i32 s4, s2, s29
	s_mul_hi_u32 s5, s2, s28
	s_add_i32 s4, s5, s4
	s_mul_i32 s3, s3, s28
	s_add_i32 s4, s4, s3
	s_mul_i32 s2, s2, s28
	s_add_u32 s2, s30, s2
	s_addc_u32 s3, s31, s4
	s_add_u32 s2, s2, s34
	s_addc_u32 s3, s3, s35
	;; [unrolled: 2-line block ×4, first 2 shown]
	s_mul_i32 s2, s0, s29
	s_mul_hi_u32 s3, s0, s28
	s_add_i32 s2, s3, s2
	s_mul_i32 s1, s1, s28
	s_add_i32 s2, s2, s1
	s_mul_i32 s0, s0, s28
	s_add_u32 s0, s30, s0
	s_addc_u32 s1, s31, s2
	s_add_u32 s0, s0, s34
	s_addc_u32 s1, s1, s35
	s_add_u32 s13, s22, s0
	v_lshlrev_b32_e32 v0, 4, v0
	s_addc_u32 s14, s23, s1
	s_mov_b32 s15, 0
	v_mov_b32_e32 v1, v2
.LBB239_85:                             ; =>This Inner Loop Header: Depth=1
	s_add_i32 s15, s15, 4
	v_add_co_u32_e64 v24, s[2:3], s7, v0
	s_add_u32 s7, s7, s8
	v_mov_b32_e32 v15, s10
	s_addc_u32 s10, s10, s9
	v_add_co_u32_e64 v22, s[0:1], s11, v0
	s_add_u32 s11, s11, s8
	v_mov_b32_e32 v12, s14
	v_add_co_u32_e32 v20, vcc, s13, v0
	v_add_u32_e32 v13, 0x800, v1
	v_mov_b32_e32 v14, s12
	v_add_u32_e32 v16, 0xc00, v1
	s_addc_u32 s12, s12, s9
	ds_read2_b64 v[4:7], v1 offset1:1
	ds_read2_b64 v[8:11], v1 offset0:128 offset1:129
	v_addc_co_u32_e32 v21, vcc, 0, v12, vcc
	v_addc_co_u32_e64 v23, vcc, 0, v14, s[0:1]
	v_addc_co_u32_e64 v25, vcc, 0, v15, s[2:3]
	ds_read2_b64 v[12:15], v13 offset1:1
	ds_read2_b64 v[16:19], v16 offset1:1
	s_add_u32 s13, s13, s8
	s_addc_u32 s14, s14, s9
	v_add_co_u32_e64 v26, s[4:5], s56, v0
	s_add_u32 s56, s56, s8
	v_mov_b32_e32 v3, s57
	s_addc_u32 s57, s57, s9
	v_add_u32_e32 v1, 0x1000, v1
	v_addc_co_u32_e64 v27, s[4:5], 0, v3, s[4:5]
	s_cmp_lg_u32 s6, s15
	s_waitcnt lgkmcnt(3)
	global_store_dwordx4 v[26:27], v[4:7], off
	s_waitcnt lgkmcnt(2)
	global_store_dwordx4 v[20:21], v[8:11], off
	;; [unrolled: 2-line block ×4, first 2 shown]
	s_cbranch_scc1 .LBB239_85
.LBB239_86:
	s_and_b32 s2, s33, 3
	s_cmp_eq_u32 s2, 0
	s_mov_b32 s7, 0
	s_cbranch_scc1 .LBB239_89
; %bb.87:
	s_lshl_b64 s[0:1], s[36:37], 4
	s_lshl_b64 s[4:5], s[6:7], 4
	s_add_u32 s0, s0, s4
	s_addc_u32 s1, s1, s5
	s_mul_i32 s3, s0, s29
	s_mul_hi_u32 s4, s0, s28
	s_add_i32 s3, s4, s3
	s_mul_i32 s1, s1, s28
	s_add_i32 s3, s3, s1
	s_mul_i32 s0, s0, s28
	s_add_u32 s0, s30, s0
	s_addc_u32 s1, s31, s3
	s_add_u32 s0, s0, s34
	s_addc_u32 s1, s1, s35
	;; [unrolled: 2-line block ×3, first 2 shown]
	v_mov_b32_e32 v1, s1
	v_add_co_u32_e32 v0, vcc, s0, v2
	s_lshl_b64 s[0:1], s[28:29], 4
	v_addc_co_u32_e32 v1, vcc, 0, v1, vcc
	v_lshl_or_b32 v2, s6, 10, v2
	v_mov_b32_e32 v3, s1
.LBB239_88:                             ; =>This Inner Loop Header: Depth=1
	ds_read2_b64 v[4:7], v2 offset1:1
	s_add_i32 s2, s2, -1
	v_add_u32_e32 v2, 0x400, v2
	s_cmp_lg_u32 s2, 0
	s_waitcnt lgkmcnt(0)
	global_store_dwordx4 v[0:1], v[4:7], off
	v_add_co_u32_e32 v0, vcc, s0, v0
	v_addc_co_u32_e32 v1, vcc, v1, v3, vcc
	s_cbranch_scc1 .LBB239_88
.LBB239_89:
	s_endpgm
	.section	.rodata,"a",@progbits
	.p2align	6, 0x0
	.amdhsa_kernel _ZL33rocblas_trsm_small_64_left_deviceI19rocblas_complex_numIdES1_PKS1_PS1_Li64EEv13rocblas_fill_18rocblas_operation_17rocblas_diagonal_iiT0_T1_lilT2_lili
		.amdhsa_group_segment_fixed_size 65536
		.amdhsa_private_segment_fixed_size 0
		.amdhsa_kernarg_size 368
		.amdhsa_user_sgpr_count 6
		.amdhsa_user_sgpr_private_segment_buffer 1
		.amdhsa_user_sgpr_dispatch_ptr 0
		.amdhsa_user_sgpr_queue_ptr 0
		.amdhsa_user_sgpr_kernarg_segment_ptr 1
		.amdhsa_user_sgpr_dispatch_id 0
		.amdhsa_user_sgpr_flat_scratch_init 0
		.amdhsa_user_sgpr_kernarg_preload_length 0
		.amdhsa_user_sgpr_kernarg_preload_offset 0
		.amdhsa_user_sgpr_private_segment_size 0
		.amdhsa_uses_dynamic_stack 0
		.amdhsa_system_sgpr_private_segment_wavefront_offset 0
		.amdhsa_system_sgpr_workgroup_id_x 1
		.amdhsa_system_sgpr_workgroup_id_y 0
		.amdhsa_system_sgpr_workgroup_id_z 1
		.amdhsa_system_sgpr_workgroup_info 0
		.amdhsa_system_vgpr_workitem_id 0
		.amdhsa_next_free_vgpr 50
		.amdhsa_next_free_sgpr 64
		.amdhsa_accum_offset 52
		.amdhsa_reserve_vcc 1
		.amdhsa_reserve_flat_scratch 0
		.amdhsa_float_round_mode_32 0
		.amdhsa_float_round_mode_16_64 0
		.amdhsa_float_denorm_mode_32 3
		.amdhsa_float_denorm_mode_16_64 3
		.amdhsa_dx10_clamp 1
		.amdhsa_ieee_mode 1
		.amdhsa_fp16_overflow 0
		.amdhsa_tg_split 0
		.amdhsa_exception_fp_ieee_invalid_op 0
		.amdhsa_exception_fp_denorm_src 0
		.amdhsa_exception_fp_ieee_div_zero 0
		.amdhsa_exception_fp_ieee_overflow 0
		.amdhsa_exception_fp_ieee_underflow 0
		.amdhsa_exception_fp_ieee_inexact 0
		.amdhsa_exception_int_div_zero 0
	.end_amdhsa_kernel
	.section	.text._ZL33rocblas_trsm_small_64_left_deviceI19rocblas_complex_numIdES1_PKS1_PS1_Li64EEv13rocblas_fill_18rocblas_operation_17rocblas_diagonal_iiT0_T1_lilT2_lili,"axG",@progbits,_ZL33rocblas_trsm_small_64_left_deviceI19rocblas_complex_numIdES1_PKS1_PS1_Li64EEv13rocblas_fill_18rocblas_operation_17rocblas_diagonal_iiT0_T1_lilT2_lili,comdat
.Lfunc_end239:
	.size	_ZL33rocblas_trsm_small_64_left_deviceI19rocblas_complex_numIdES1_PKS1_PS1_Li64EEv13rocblas_fill_18rocblas_operation_17rocblas_diagonal_iiT0_T1_lilT2_lili, .Lfunc_end239-_ZL33rocblas_trsm_small_64_left_deviceI19rocblas_complex_numIdES1_PKS1_PS1_Li64EEv13rocblas_fill_18rocblas_operation_17rocblas_diagonal_iiT0_T1_lilT2_lili
                                        ; -- End function
	.section	.AMDGPU.csdata,"",@progbits
; Kernel info:
; codeLenInByte = 7404
; NumSgprs: 68
; NumVgprs: 50
; NumAgprs: 0
; TotalNumVgprs: 50
; ScratchSize: 0
; MemoryBound: 0
; FloatMode: 240
; IeeeMode: 1
; LDSByteSize: 65536 bytes/workgroup (compile time only)
; SGPRBlocks: 8
; VGPRBlocks: 6
; NumSGPRsForWavesPerEU: 68
; NumVGPRsForWavesPerEU: 50
; AccumOffset: 52
; Occupancy: 1
; WaveLimiterHint : 0
; COMPUTE_PGM_RSRC2:SCRATCH_EN: 0
; COMPUTE_PGM_RSRC2:USER_SGPR: 6
; COMPUTE_PGM_RSRC2:TRAP_HANDLER: 0
; COMPUTE_PGM_RSRC2:TGID_X_EN: 1
; COMPUTE_PGM_RSRC2:TGID_Y_EN: 0
; COMPUTE_PGM_RSRC2:TGID_Z_EN: 1
; COMPUTE_PGM_RSRC2:TIDIG_COMP_CNT: 0
; COMPUTE_PGM_RSRC3_GFX90A:ACCUM_OFFSET: 12
; COMPUTE_PGM_RSRC3_GFX90A:TG_SPLIT: 0
	.section	.text._ZL34rocblas_trsm_small_64_right_deviceI19rocblas_complex_numIdES1_PKS1_PS1_Li64EEv13rocblas_fill_18rocblas_operation_17rocblas_diagonal_iiT0_T1_lilT2_lili,"axG",@progbits,_ZL34rocblas_trsm_small_64_right_deviceI19rocblas_complex_numIdES1_PKS1_PS1_Li64EEv13rocblas_fill_18rocblas_operation_17rocblas_diagonal_iiT0_T1_lilT2_lili,comdat
	.globl	_ZL34rocblas_trsm_small_64_right_deviceI19rocblas_complex_numIdES1_PKS1_PS1_Li64EEv13rocblas_fill_18rocblas_operation_17rocblas_diagonal_iiT0_T1_lilT2_lili ; -- Begin function _ZL34rocblas_trsm_small_64_right_deviceI19rocblas_complex_numIdES1_PKS1_PS1_Li64EEv13rocblas_fill_18rocblas_operation_17rocblas_diagonal_iiT0_T1_lilT2_lili
	.p2align	8
	.type	_ZL34rocblas_trsm_small_64_right_deviceI19rocblas_complex_numIdES1_PKS1_PS1_Li64EEv13rocblas_fill_18rocblas_operation_17rocblas_diagonal_iiT0_T1_lilT2_lili,@function
_ZL34rocblas_trsm_small_64_right_deviceI19rocblas_complex_numIdES1_PKS1_PS1_Li64EEv13rocblas_fill_18rocblas_operation_17rocblas_diagonal_iiT0_T1_lilT2_lili: ; @_ZL34rocblas_trsm_small_64_right_deviceI19rocblas_complex_numIdES1_PKS1_PS1_Li64EEv13rocblas_fill_18rocblas_operation_17rocblas_diagonal_iiT0_T1_lilT2_lili
; %bb.0:
	s_load_dwordx4 s[16:19], s[4:5], 0x0
	s_load_dword s33, s[4:5], 0x10
	s_load_dwordx8 s[8:15], s[4:5], 0x18
	s_load_dword s34, s[4:5], 0x58
	s_load_dwordx2 s[2:3], s[4:5], 0x60
	s_load_dwordx2 s[20:21], s[4:5], 0x50
	s_load_dwordx4 s[36:39], s[4:5], 0x40
	s_load_dword s1, s[4:5], 0x70
	s_mov_b32 s0, s6
	s_waitcnt lgkmcnt(0)
	s_mul_i32 s3, s7, s3
	s_mul_hi_u32 s22, s7, s2
	s_add_i32 s3, s22, s3
	s_mul_i32 s2, s7, s2
	s_lshl_b64 s[42:43], s[2:3], 4
	s_add_u32 s2, s38, s42
	s_addc_u32 s3, s39, s43
	s_lshl_b64 s[40:41], s[20:21], 4
	s_add_u32 s2, s2, s40
	s_addc_u32 s3, s3, s41
	s_lshl_b32 s20, s0, 6
	s_add_i32 s1, s1, -1
	s_sub_i32 s19, s19, s20
	s_cmp_ge_u32 s0, s1
	s_cselect_b32 s19, s19, 64
	s_ashr_i32 s1, s0, 31
	s_lshl_b64 s[44:45], s[0:1], 10
	s_add_u32 s60, s2, s44
	s_addc_u32 s61, s3, s45
	s_cmp_gt_i32 s33, 0
	v_cmp_gt_i32_e32 vcc, s19, v0
	s_cselect_b64 s[20:21], -1, 0
	s_mov_b32 s6, 0
	s_and_b64 s[46:47], vcc, s[20:21]
	s_and_saveexec_b64 s[0:1], s[46:47]
	s_cbranch_execz .LBB240_7
; %bb.1:
	s_ashr_i32 s35, s34, 31
	s_cmp_lt_u32 s33, 4
	s_cbranch_scc1 .LBB240_4
; %bb.2:
	v_lshlrev_b32_e32 v1, 4, v0
	v_mov_b32_e32 v3, s61
	v_add_co_u32_e32 v2, vcc, s60, v1
	s_lshl_b64 s[2:3], s[34:35], 6
	s_lshl_b64 s[22:23], s[34:35], 4
	v_addc_co_u32_e32 v3, vcc, 0, v3, vcc
	s_and_b32 s6, s33, 0x7ffffffc
	s_mov_b32 s19, 0
	v_mov_b32_e32 v4, s23
	v_mov_b32_e32 v5, s3
.LBB240_3:                              ; =>This Inner Loop Header: Depth=1
	v_add_co_u32_e32 v14, vcc, s22, v2
	v_addc_co_u32_e32 v15, vcc, v3, v4, vcc
	v_add_co_u32_e32 v18, vcc, s22, v14
	global_load_dwordx4 v[6:9], v[2:3], off
	global_load_dwordx4 v[10:13], v[14:15], off
	v_addc_co_u32_e32 v19, vcc, v15, v4, vcc
	global_load_dwordx4 v[14:17], v[18:19], off
	v_add_co_u32_e32 v18, vcc, s22, v18
	v_addc_co_u32_e32 v19, vcc, v19, v4, vcc
	global_load_dwordx4 v[18:21], v[18:19], off
	s_add_i32 s19, s19, 4
	v_add_co_u32_e32 v2, vcc, s2, v2
	s_cmp_lg_u32 s6, s19
	v_addc_co_u32_e32 v3, vcc, v3, v5, vcc
	s_waitcnt vmcnt(3)
	v_mul_f64 v[22:23], s[10:11], v[8:9]
	v_mul_f64 v[24:25], s[8:9], v[8:9]
	v_fma_f64 v[22:23], s[8:9], v[6:7], -v[22:23]
	v_fmac_f64_e32 v[24:25], s[10:11], v[6:7]
	s_waitcnt vmcnt(2)
	v_mul_f64 v[6:7], s[10:11], v[12:13]
	v_mul_f64 v[8:9], s[8:9], v[12:13]
	v_fma_f64 v[6:7], s[8:9], v[10:11], -v[6:7]
	v_fmac_f64_e32 v[8:9], s[10:11], v[10:11]
	s_waitcnt vmcnt(1)
	v_mul_f64 v[12:13], s[10:11], v[16:17]
	v_mul_f64 v[10:11], s[8:9], v[16:17]
	ds_write_b128 v1, v[6:9] offset:1024
	v_fma_f64 v[8:9], s[8:9], v[14:15], -v[12:13]
	v_fmac_f64_e32 v[10:11], s[10:11], v[14:15]
	s_waitcnt vmcnt(0)
	v_mul_f64 v[6:7], s[10:11], v[20:21]
	v_mul_f64 v[12:13], s[8:9], v[20:21]
	ds_write_b128 v1, v[8:11] offset:2048
	v_fma_f64 v[10:11], s[8:9], v[18:19], -v[6:7]
	v_fmac_f64_e32 v[12:13], s[10:11], v[18:19]
	ds_write_b128 v1, v[22:25]
	ds_write_b128 v1, v[10:13] offset:3072
	v_add_u32_e32 v1, 0x1000, v1
	s_cbranch_scc1 .LBB240_3
.LBB240_4:
	s_and_b32 s19, s33, 3
	s_cmp_eq_u32 s19, 0
	s_cbranch_scc1 .LBB240_7
; %bb.5:
	s_mul_hi_i32 s3, s34, s6
	s_mul_i32 s2, s34, s6
	s_lshl_b64 s[2:3], s[2:3], 4
	s_add_u32 s2, s42, s2
	s_addc_u32 s3, s43, s3
	s_add_u32 s2, s2, s44
	s_addc_u32 s3, s3, s45
	s_add_u32 s2, s2, s40
	s_addc_u32 s3, s3, s41
	s_add_u32 s2, s38, s2
	v_lshlrev_b32_e32 v2, 4, v0
	s_addc_u32 s3, s39, s3
	v_lshl_or_b32 v1, s6, 10, v2
	v_mov_b32_e32 v3, s3
	v_add_co_u32_e32 v2, vcc, s2, v2
	v_addc_co_u32_e32 v3, vcc, 0, v3, vcc
	v_add_co_u32_e32 v2, vcc, 8, v2
	s_lshl_b64 s[2:3], s[34:35], 4
	v_addc_co_u32_e32 v3, vcc, 0, v3, vcc
	v_mov_b32_e32 v4, s3
.LBB240_6:                              ; =>This Inner Loop Header: Depth=1
	global_load_dwordx4 v[6:9], v[2:3], off offset:-8
	s_add_i32 s19, s19, -1
	v_add_co_u32_e32 v2, vcc, s2, v2
	v_addc_co_u32_e32 v3, vcc, v3, v4, vcc
	s_cmp_lg_u32 s19, 0
	s_waitcnt vmcnt(0)
	v_mul_f64 v[12:13], s[10:11], v[8:9]
	v_mul_f64 v[10:11], s[8:9], v[8:9]
	v_fma_f64 v[8:9], s[8:9], v[6:7], -v[12:13]
	v_fmac_f64_e32 v[10:11], s[10:11], v[6:7]
	ds_write_b128 v1, v[8:11]
	v_add_u32_e32 v1, 0x400, v1
	s_cbranch_scc1 .LBB240_6
.LBB240_7:
	s_or_b64 exec, exec, s[0:1]
	s_mul_i32 s0, s7, s37
	s_mul_hi_u32 s1, s7, s36
	s_add_i32 s1, s1, s0
	s_mul_i32 s0, s7, s36
	s_lshl_b64 s[6:7], s[0:1], 4
	s_add_u32 s0, s12, s6
	s_addc_u32 s1, s13, s7
	s_lshl_b64 s[8:9], s[14:15], 4
	s_add_u32 s36, s0, s8
	s_addc_u32 s37, s1, s9
	s_min_i32 s35, s33, 64
	s_load_dword s4, s[4:5], 0x38
	s_cmpk_eq_i32 s17, 0x6f
	s_cselect_b64 s[2:3], -1, 0
	s_cmpk_eq_i32 s16, 0x79
	s_cselect_b64 s[10:11], -1, 0
	s_cmpk_lg_i32 s16, 0x79
	s_cselect_b64 s[0:1], -1, 0
	s_and_b64 s[10:11], s[10:11], s[2:3]
	s_andn2_b64 vcc, exec, s[10:11]
	s_mov_b64 s[10:11], -1
	s_waitcnt lgkmcnt(0)
	; wave barrier
	s_waitcnt lgkmcnt(0)
	s_cbranch_vccz .LBB240_66
; %bb.8:
	s_cmpk_lg_i32 s16, 0x7a
	s_cselect_b64 s[14:15], -1, 0
	s_xor_b64 s[2:3], s[2:3], -1
	s_or_b64 s[2:3], s[14:15], s[2:3]
	s_add_i32 s19, s35, -1
	s_and_b64 vcc, exec, s[2:3]
	s_cbranch_vccz .LBB240_47
; %bb.9:
	s_cmpk_eq_i32 s17, 0x71
	s_cselect_b64 s[10:11], -1, 0
	s_andn2_b64 vcc, exec, s[0:1]
	s_mov_b64 s[0:1], -1
	s_cbranch_vccnz .LBB240_28
; %bb.10:
	s_andn2_b64 vcc, exec, s[20:21]
	s_cbranch_vccnz .LBB240_27
; %bb.11:
	s_ashr_i32 s5, s4, 31
	s_cmpk_lg_i32 s18, 0x84
	s_cselect_b64 s[14:15], -1, 0
	s_add_u32 s30, s4, 1
	s_addc_u32 s31, s5, 0
	s_add_u32 s0, s6, s8
	s_addc_u32 s1, s7, s9
	;; [unrolled: 2-line block ×3, first 2 shown]
	s_add_u32 s16, s0, 8
	v_lshlrev_b32_e32 v1, 4, v0
	s_addc_u32 s17, s1, 0
	s_lshl_b64 s[22:23], s[4:5], 6
	s_lshl_b64 s[24:25], s[4:5], 4
	s_mov_b32 s5, 0
	s_mov_b32 s48, 0
	s_mov_b64 s[26:27], s[36:37]
	s_branch .LBB240_14
.LBB240_12:                             ;   in Loop: Header=BB240_14 Depth=1
	ds_write_b128 v10, v[6:9]
.LBB240_13:                             ;   in Loop: Header=BB240_14 Depth=1
	s_add_i32 s5, s5, 1
	s_add_u32 s16, s16, 16
	s_addc_u32 s17, s17, 0
	s_add_u32 s26, s26, 16
	s_addc_u32 s27, s27, 0
	v_add_u16_e64 v2, s48, 1
	s_cmp_lg_u32 s5, s35
	v_readfirstlane_b32 s48, v2
	s_cbranch_scc0 .LBB240_27
.LBB240_14:                             ; =>This Loop Header: Depth=1
                                        ;     Child Loop BB240_17 Depth 2
                                        ;     Child Loop BB240_21 Depth 2
	v_lshl_or_b32 v10, s5, 10, v1
	ds_read_b128 v[2:5], v10
	s_cmp_eq_u32 s5, 0
	s_cbranch_scc1 .LBB240_22
; %bb.15:                               ;   in Loop: Header=BB240_14 Depth=1
	s_cmp_lt_u32 s5, 4
	s_cbranch_scc1 .LBB240_19
; %bb.16:                               ;   in Loop: Header=BB240_14 Depth=1
	s_and_b32 s28, s5, -4
	s_mov_b32 s29, 0
	s_mov_b64 s[0:1], s[16:17]
	v_mov_b32_e32 v6, v1
.LBB240_17:                             ;   Parent Loop BB240_14 Depth=1
                                        ; =>  This Inner Loop Header: Depth=2
	s_add_u32 s2, s0, -8
	s_addc_u32 s3, s1, -1
	ds_read_b128 v[12:15], v6
	ds_read_b128 v[16:19], v6 offset:1024
	ds_read_b128 v[20:23], v6 offset:2048
	;; [unrolled: 1-line block ×3, first 2 shown]
	s_load_dwordx4 s[52:55], s[2:3], 0x0
	v_add_u32_e32 v6, 0x1000, v6
	s_waitcnt lgkmcnt(0)
	s_xor_b32 s49, s55, 0x80000000
	s_and_b64 s[2:3], s[10:11], exec
	s_cselect_b32 s3, s49, s55
	s_cselect_b32 s2, s54, s54
	s_add_u32 s49, s0, s24
	v_mul_f64 v[8:9], s[52:53], v[14:15]
	s_addc_u32 s50, s1, s25
	v_mul_f64 v[14:15], s[2:3], v[14:15]
	v_fmac_f64_e32 v[8:9], s[2:3], v[12:13]
	s_add_u32 s2, s49, -8
	s_addc_u32 s3, s50, -1
	v_fma_f64 v[12:13], s[52:53], v[12:13], -v[14:15]
	s_load_dwordx4 s[52:55], s[2:3], 0x0
	v_add_f64 v[4:5], v[4:5], -v[8:9]
	v_add_f64 v[2:3], v[2:3], -v[12:13]
	s_waitcnt lgkmcnt(0)
	s_xor_b32 s51, s55, 0x80000000
	s_and_b64 s[2:3], s[10:11], exec
	s_cselect_b32 s3, s51, s55
	s_cselect_b32 s2, s54, s54
	s_add_u32 s49, s49, s24
	v_mul_f64 v[8:9], s[52:53], v[18:19]
	s_addc_u32 s50, s50, s25
	v_mul_f64 v[12:13], s[2:3], v[18:19]
	v_fmac_f64_e32 v[8:9], s[2:3], v[16:17]
	s_add_u32 s2, s49, -8
	s_addc_u32 s3, s50, -1
	v_fma_f64 v[12:13], s[52:53], v[16:17], -v[12:13]
	s_load_dwordx4 s[52:55], s[2:3], 0x0
	v_add_f64 v[4:5], v[4:5], -v[8:9]
	v_add_f64 v[2:3], v[2:3], -v[12:13]
	s_waitcnt lgkmcnt(0)
	s_xor_b32 s51, s55, 0x80000000
	s_and_b64 s[2:3], s[10:11], exec
	v_mul_f64 v[8:9], s[52:53], v[22:23]
	s_cselect_b32 s3, s51, s55
	s_cselect_b32 s2, s54, s54
	s_add_u32 s49, s49, s24
	v_mul_f64 v[12:13], s[2:3], v[22:23]
	v_fmac_f64_e32 v[8:9], s[2:3], v[20:21]
	s_addc_u32 s3, s50, s25
	s_add_u32 s2, s49, -8
	s_addc_u32 s3, s3, -1
	v_fma_f64 v[12:13], s[52:53], v[20:21], -v[12:13]
	s_load_dwordx4 s[52:55], s[2:3], 0x0
	v_add_f64 v[4:5], v[4:5], -v[8:9]
	v_add_f64 v[2:3], v[2:3], -v[12:13]
	s_waitcnt lgkmcnt(0)
	s_xor_b32 s49, s55, 0x80000000
	s_and_b64 s[2:3], s[10:11], exec
	s_cselect_b32 s3, s49, s55
	s_cselect_b32 s2, s54, s54
	s_add_i32 s29, s29, 4
	v_mul_f64 v[8:9], s[52:53], v[26:27]
	v_mul_f64 v[12:13], s[2:3], v[26:27]
	s_add_u32 s0, s0, s22
	v_fmac_f64_e32 v[8:9], s[2:3], v[24:25]
	v_fma_f64 v[12:13], s[52:53], v[24:25], -v[12:13]
	s_addc_u32 s1, s1, s23
	v_add_f64 v[4:5], v[4:5], -v[8:9]
	s_cmp_eq_u32 s28, s29
	v_add_f64 v[2:3], v[2:3], -v[12:13]
	s_cbranch_scc0 .LBB240_17
; %bb.18:                               ;   in Loop: Header=BB240_14 Depth=1
	s_and_b32 s0, s5, 3
	s_cmp_eq_u32 s0, 0
	s_cbranch_scc0 .LBB240_20
	s_branch .LBB240_22
.LBB240_19:                             ;   in Loop: Header=BB240_14 Depth=1
	s_mov_b32 s28, 0
	s_and_b32 s0, s5, 3
	s_cmp_eq_u32 s0, 0
	s_cbranch_scc1 .LBB240_22
.LBB240_20:                             ;   in Loop: Header=BB240_14 Depth=1
	s_mul_i32 s1, s25, s28
	s_mul_hi_u32 s2, s24, s28
	s_and_b32 s0, s48, 3
	v_lshl_or_b32 v6, s28, 10, v1
	s_add_i32 s1, s2, s1
	s_mul_i32 s2, s24, s28
.LBB240_21:                             ;   Parent Loop BB240_14 Depth=1
                                        ; =>  This Inner Loop Header: Depth=2
	s_add_u32 s28, s26, s2
	s_addc_u32 s29, s27, s1
	s_load_dwordx4 s[52:55], s[28:29], 0x0
	ds_read_b128 v[12:15], v6
	v_add_u32_e32 v6, 0x400, v6
	s_waitcnt lgkmcnt(0)
	s_xor_b32 s3, s55, 0x80000000
	s_and_b64 s[28:29], s[10:11], exec
	s_cselect_b32 s29, s3, s55
	s_cselect_b32 s28, s54, s54
	v_mul_f64 v[8:9], s[52:53], v[14:15]
	s_add_u32 s2, s2, s24
	v_mul_f64 v[14:15], s[28:29], v[14:15]
	v_fmac_f64_e32 v[8:9], s[28:29], v[12:13]
	s_addc_u32 s1, s1, s25
	s_add_i32 s0, s0, -1
	v_fma_f64 v[12:13], s[52:53], v[12:13], -v[14:15]
	v_add_f64 v[4:5], v[4:5], -v[8:9]
	s_cmp_lg_u32 s0, 0
	v_add_f64 v[2:3], v[2:3], -v[12:13]
	s_cbranch_scc1 .LBB240_21
.LBB240_22:                             ;   in Loop: Header=BB240_14 Depth=1
	s_and_b64 vcc, exec, s[14:15]
	s_waitcnt lgkmcnt(0)
	ds_write_b128 v10, v[2:5]
	s_cbranch_vccz .LBB240_13
; %bb.23:                               ;   in Loop: Header=BB240_14 Depth=1
	s_mul_i32 s0, s31, s5
	s_mul_hi_u32 s1, s30, s5
	s_add_i32 s1, s1, s0
	s_mul_i32 s0, s30, s5
	s_lshl_b64 s[0:1], s[0:1], 4
	s_add_u32 s0, s36, s0
	s_addc_u32 s1, s37, s1
	s_load_dwordx4 s[0:3], s[0:1], 0x0
	s_waitcnt lgkmcnt(0)
	s_xor_b32 s49, s3, 0x80000000
	s_and_b64 s[50:51], s[10:11], exec
	v_cmp_lt_f64_e64 s[28:29], s[0:1], 0
	s_cselect_b32 s3, s49, s3
	s_cselect_b32 s2, s2, s2
	s_xor_b32 s49, s1, 0x80000000
	s_and_b64 s[28:29], s[28:29], exec
	s_cselect_b32 s29, s49, s1
	s_cselect_b32 s28, s0, s0
	v_cmp_lt_f64_e64 s[50:51], s[2:3], 0
	s_xor_b32 s49, s3, 0x80000000
	s_and_b64 s[50:51], s[50:51], exec
	s_cselect_b32 s49, s49, s3
	s_cselect_b32 s50, s2, s2
	v_mov_b32_e32 v6, s50
	v_mov_b32_e32 v7, s49
	v_cmp_ngt_f64_e32 vcc, s[28:29], v[6:7]
	s_cbranch_vccz .LBB240_25
; %bb.24:                               ;   in Loop: Header=BB240_14 Depth=1
	v_pk_mov_b32 v[6:7], s[0:1], s[0:1] op_sel:[0,1]
	v_div_scale_f64 v[8:9], s[28:29], s[2:3], s[2:3], v[6:7]
	v_rcp_f64_e32 v[12:13], v[8:9]
	v_pk_mov_b32 v[14:15], s[2:3], s[2:3] op_sel:[0,1]
	v_fma_f64 v[16:17], -v[8:9], v[12:13], 1.0
	v_fmac_f64_e32 v[12:13], v[12:13], v[16:17]
	v_fma_f64 v[16:17], -v[8:9], v[12:13], 1.0
	v_fmac_f64_e32 v[12:13], v[12:13], v[16:17]
	v_div_scale_f64 v[16:17], vcc, s[0:1], v[14:15], s[0:1]
	v_mul_f64 v[18:19], v[16:17], v[12:13]
	v_fma_f64 v[8:9], -v[8:9], v[18:19], v[16:17]
	s_nop 1
	v_div_fmas_f64 v[8:9], v[8:9], v[12:13], v[18:19]
	v_div_fixup_f64 v[8:9], v[8:9], s[2:3], v[6:7]
	v_fma_f64 v[6:7], s[0:1], v[8:9], v[14:15]
	v_div_scale_f64 v[12:13], s[28:29], v[6:7], v[6:7], 1.0
	v_rcp_f64_e32 v[14:15], v[12:13]
	v_fma_f64 v[16:17], -v[12:13], v[14:15], 1.0
	v_fmac_f64_e32 v[14:15], v[14:15], v[16:17]
	v_fma_f64 v[16:17], -v[12:13], v[14:15], 1.0
	v_fmac_f64_e32 v[14:15], v[14:15], v[16:17]
	v_div_scale_f64 v[16:17], vcc, 1.0, v[6:7], 1.0
	v_mul_f64 v[18:19], v[16:17], v[14:15]
	v_fma_f64 v[12:13], -v[12:13], v[18:19], v[16:17]
	s_nop 1
	v_div_fmas_f64 v[12:13], v[12:13], v[14:15], v[18:19]
	v_div_fixup_f64 v[12:13], v[12:13], v[6:7], 1.0
	v_fma_f64 v[6:7], v[2:3], v[8:9], v[4:5]
	v_fma_f64 v[8:9], v[4:5], v[8:9], -v[2:3]
	v_mul_f64 v[6:7], v[6:7], v[12:13]
	v_mul_f64 v[8:9], v[8:9], v[12:13]
	s_cbranch_execnz .LBB240_12
	s_branch .LBB240_26
.LBB240_25:                             ;   in Loop: Header=BB240_14 Depth=1
                                        ; implicit-def: $vgpr8_vgpr9
.LBB240_26:                             ;   in Loop: Header=BB240_14 Depth=1
	v_pk_mov_b32 v[6:7], s[2:3], s[2:3] op_sel:[0,1]
	v_div_scale_f64 v[8:9], s[28:29], s[0:1], s[0:1], v[6:7]
	v_rcp_f64_e32 v[12:13], v[8:9]
	v_pk_mov_b32 v[14:15], s[0:1], s[0:1] op_sel:[0,1]
	v_fma_f64 v[16:17], -v[8:9], v[12:13], 1.0
	v_fmac_f64_e32 v[12:13], v[12:13], v[16:17]
	v_fma_f64 v[16:17], -v[8:9], v[12:13], 1.0
	v_fmac_f64_e32 v[12:13], v[12:13], v[16:17]
	v_div_scale_f64 v[16:17], vcc, s[2:3], v[14:15], s[2:3]
	v_mul_f64 v[18:19], v[16:17], v[12:13]
	v_fma_f64 v[8:9], -v[8:9], v[18:19], v[16:17]
	s_nop 1
	v_div_fmas_f64 v[8:9], v[8:9], v[12:13], v[18:19]
	v_div_fixup_f64 v[8:9], v[8:9], s[0:1], v[6:7]
	v_fma_f64 v[6:7], s[2:3], v[8:9], v[14:15]
	v_div_scale_f64 v[12:13], s[0:1], v[6:7], v[6:7], 1.0
	v_rcp_f64_e32 v[14:15], v[12:13]
	v_fma_f64 v[16:17], -v[12:13], v[14:15], 1.0
	v_fmac_f64_e32 v[14:15], v[14:15], v[16:17]
	v_fma_f64 v[16:17], -v[12:13], v[14:15], 1.0
	v_fmac_f64_e32 v[14:15], v[14:15], v[16:17]
	v_div_scale_f64 v[16:17], vcc, 1.0, v[6:7], 1.0
	v_mul_f64 v[18:19], v[16:17], v[14:15]
	v_fma_f64 v[12:13], -v[12:13], v[18:19], v[16:17]
	s_nop 1
	v_div_fmas_f64 v[12:13], v[12:13], v[14:15], v[18:19]
	v_div_fixup_f64 v[12:13], v[12:13], v[6:7], 1.0
	v_fma_f64 v[6:7], v[4:5], v[8:9], v[2:3]
	v_fma_f64 v[2:3], -v[2:3], v[8:9], v[4:5]
	v_mul_f64 v[6:7], v[6:7], v[12:13]
	v_mul_f64 v[8:9], v[2:3], v[12:13]
	s_branch .LBB240_12
.LBB240_27:
	s_mov_b64 s[0:1], 0
.LBB240_28:
	s_andn2_b64 vcc, exec, s[0:1]
	s_cbranch_vccnz .LBB240_46
; %bb.29:
	s_andn2_b64 vcc, exec, s[20:21]
	s_cbranch_vccnz .LBB240_46
; %bb.30:
	s_ashr_i32 s5, s4, 31
	s_cmpk_lg_i32 s18, 0x84
	v_lshlrev_b32_e32 v1, 4, v0
	s_cselect_b64 s[14:15], -1, 0
	s_add_u32 s24, s4, 1
	v_lshl_or_b32 v2, s35, 10, v1
	s_addc_u32 s25, s5, 0
	v_add_u32_e32 v10, 0xfffffc00, v2
	v_or_b32_e32 v11, 0xfffff400, v1
	s_mov_b32 s17, 0
	s_mov_b32 s26, 0
	;; [unrolled: 1-line block ×4, first 2 shown]
	s_branch .LBB240_33
.LBB240_31:                             ;   in Loop: Header=BB240_33 Depth=1
	ds_write_b128 v12, v[6:9]
.LBB240_32:                             ;   in Loop: Header=BB240_33 Depth=1
	s_add_i32 s0, s16, -1
	s_add_i32 s27, s27, 1
	v_add_u16_e64 v2, s26, 1
	v_readfirstlane_b32 s26, v2
	s_cmp_lt_i32 s16, 1
	s_mov_b32 s16, s0
	s_cbranch_scc1 .LBB240_46
.LBB240_33:                             ; =>This Loop Header: Depth=1
                                        ;     Child Loop BB240_36 Depth 2
                                        ;     Child Loop BB240_40 Depth 2
	v_lshl_or_b32 v12, s16, 10, v1
	ds_read_b128 v[2:5], v12
	s_cmp_le_i32 s19, s16
	s_cbranch_scc1 .LBB240_41
; %bb.34:                               ;   in Loop: Header=BB240_33 Depth=1
	s_lshl_b64 s[0:1], s[16:17], 4
	s_add_u32 s2, s36, s0
	s_addc_u32 s3, s37, s1
	s_and_b32 s0, s27, 3
	s_cmp_eq_u32 s0, 0
	s_cbranch_scc1 .LBB240_38
; %bb.35:                               ;   in Loop: Header=BB240_33 Depth=1
	s_and_b32 s0, s26, 3
	v_mov_b32_e32 v6, v10
	s_mov_b32 s22, s19
.LBB240_36:                             ;   Parent Loop BB240_33 Depth=1
                                        ; =>  This Inner Loop Header: Depth=2
	s_mul_i32 s1, s22, s5
	s_mul_hi_u32 s23, s22, s4
	s_mul_i32 s28, s22, s4
	s_add_i32 s29, s23, s1
	s_lshl_b64 s[28:29], s[28:29], 4
	s_add_u32 s28, s2, s28
	s_addc_u32 s29, s3, s29
	s_load_dwordx4 s[28:31], s[28:29], 0x0
	ds_read_b128 v[14:17], v6
	v_add_u32_e32 v6, 0xfffffc00, v6
	s_waitcnt lgkmcnt(0)
	s_xor_b32 s1, s31, 0x80000000
	s_and_b64 s[48:49], s[10:11], exec
	s_cselect_b32 s31, s1, s31
	s_cselect_b32 s30, s30, s30
	v_mul_f64 v[8:9], s[28:29], v[16:17]
	v_mul_f64 v[16:17], s[30:31], v[16:17]
	s_add_i32 s22, s22, -1
	s_add_i32 s0, s0, -1
	v_fmac_f64_e32 v[8:9], s[30:31], v[14:15]
	v_fma_f64 v[14:15], s[28:29], v[14:15], -v[16:17]
	s_cmp_lg_u32 s0, 0
	v_add_f64 v[4:5], v[4:5], -v[8:9]
	v_add_f64 v[2:3], v[2:3], -v[14:15]
	s_cbranch_scc1 .LBB240_36
; %bb.37:                               ;   in Loop: Header=BB240_33 Depth=1
	s_add_i32 s0, s27, -1
	s_cmp_lt_u32 s0, 3
	s_cbranch_scc0 .LBB240_39
	s_branch .LBB240_41
.LBB240_38:                             ;   in Loop: Header=BB240_33 Depth=1
	s_mov_b32 s22, s19
	s_add_i32 s0, s27, -1
	s_cmp_lt_u32 s0, 3
	s_cbranch_scc1 .LBB240_41
.LBB240_39:                             ;   in Loop: Header=BB240_33 Depth=1
	v_lshl_add_u32 v6, s22, 10, v11
.LBB240_40:                             ;   Parent Loop BB240_33 Depth=1
                                        ; =>  This Inner Loop Header: Depth=2
	s_mul_i32 s1, s22, s5
	s_mul_hi_u32 s23, s22, s4
	s_mul_i32 s0, s22, s4
	s_add_i32 s1, s23, s1
	s_lshl_b64 s[0:1], s[0:1], 4
	s_add_u32 s0, s2, s0
	s_addc_u32 s1, s3, s1
	ds_read_b128 v[14:17], v6 offset:3072
	ds_read_b128 v[18:21], v6 offset:2048
	;; [unrolled: 1-line block ×3, first 2 shown]
	ds_read_b128 v[26:29], v6
	s_load_dwordx4 s[28:31], s[0:1], 0x0
	v_add_u32_e32 v6, 0xfffff000, v6
	s_waitcnt lgkmcnt(0)
	s_xor_b32 s23, s31, 0x80000000
	s_and_b64 s[0:1], s[10:11], exec
	v_mul_f64 v[8:9], s[28:29], v[16:17]
	s_cselect_b32 s1, s23, s31
	s_cselect_b32 s0, s30, s30
	s_add_i32 s23, s22, -1
	v_mul_f64 v[16:17], s[0:1], v[16:17]
	v_fmac_f64_e32 v[8:9], s[0:1], v[14:15]
	s_mul_i32 s1, s23, s5
	s_mul_hi_u32 s30, s23, s4
	s_mul_i32 s0, s23, s4
	s_add_i32 s1, s30, s1
	s_lshl_b64 s[0:1], s[0:1], 4
	s_add_u32 s0, s2, s0
	s_addc_u32 s1, s3, s1
	v_fma_f64 v[14:15], s[28:29], v[14:15], -v[16:17]
	s_load_dwordx4 s[28:31], s[0:1], 0x0
	v_add_f64 v[4:5], v[4:5], -v[8:9]
	v_add_f64 v[2:3], v[2:3], -v[14:15]
	s_waitcnt lgkmcnt(0)
	s_xor_b32 s23, s31, 0x80000000
	s_and_b64 s[0:1], s[10:11], exec
	v_mul_f64 v[8:9], s[28:29], v[20:21]
	s_cselect_b32 s1, s23, s31
	s_cselect_b32 s0, s30, s30
	s_add_i32 s23, s22, -2
	v_mul_f64 v[14:15], s[0:1], v[20:21]
	v_fmac_f64_e32 v[8:9], s[0:1], v[18:19]
	s_mul_i32 s1, s23, s5
	s_mul_hi_u32 s30, s23, s4
	s_mul_i32 s0, s23, s4
	s_add_i32 s1, s30, s1
	s_lshl_b64 s[0:1], s[0:1], 4
	s_add_u32 s0, s2, s0
	s_addc_u32 s1, s3, s1
	v_fma_f64 v[14:15], s[28:29], v[18:19], -v[14:15]
	s_load_dwordx4 s[28:31], s[0:1], 0x0
	v_add_f64 v[4:5], v[4:5], -v[8:9]
	v_add_f64 v[2:3], v[2:3], -v[14:15]
	;; [unrolled: 20-line block ×3, first 2 shown]
	s_waitcnt lgkmcnt(0)
	s_xor_b32 s23, s31, 0x80000000
	s_and_b64 s[0:1], s[10:11], exec
	s_cselect_b32 s1, s23, s31
	s_cselect_b32 s0, s30, s30
	v_mul_f64 v[8:9], s[28:29], v[28:29]
	v_mul_f64 v[14:15], s[0:1], v[28:29]
	s_add_i32 s22, s22, -4
	v_fmac_f64_e32 v[8:9], s[0:1], v[26:27]
	v_fma_f64 v[14:15], s[28:29], v[26:27], -v[14:15]
	s_cmp_le_i32 s22, s16
	v_add_f64 v[4:5], v[4:5], -v[8:9]
	v_add_f64 v[2:3], v[2:3], -v[14:15]
	s_cbranch_scc0 .LBB240_40
.LBB240_41:                             ;   in Loop: Header=BB240_33 Depth=1
	s_and_b64 vcc, exec, s[14:15]
	s_waitcnt lgkmcnt(0)
	ds_write_b128 v12, v[2:5]
	s_cbranch_vccz .LBB240_32
; %bb.42:                               ;   in Loop: Header=BB240_33 Depth=1
	s_mul_i32 s0, s25, s16
	s_mul_hi_u32 s1, s24, s16
	s_add_i32 s1, s1, s0
	s_mul_i32 s0, s24, s16
	s_lshl_b64 s[0:1], s[0:1], 4
	s_add_u32 s0, s36, s0
	s_addc_u32 s1, s37, s1
	s_load_dwordx4 s[0:3], s[0:1], 0x0
	s_waitcnt lgkmcnt(0)
	s_xor_b32 s30, s3, 0x80000000
	s_and_b64 s[28:29], s[10:11], exec
	v_cmp_lt_f64_e64 s[22:23], s[0:1], 0
	s_cselect_b32 s3, s30, s3
	s_cselect_b32 s2, s2, s2
	s_xor_b32 s28, s1, 0x80000000
	s_and_b64 s[22:23], s[22:23], exec
	s_cselect_b32 s23, s28, s1
	s_cselect_b32 s22, s0, s0
	v_cmp_lt_f64_e64 s[28:29], s[2:3], 0
	s_xor_b32 s30, s3, 0x80000000
	s_and_b64 s[28:29], s[28:29], exec
	s_cselect_b32 s28, s30, s3
	s_cselect_b32 s29, s2, s2
	v_mov_b32_e32 v6, s29
	v_mov_b32_e32 v7, s28
	v_cmp_ngt_f64_e32 vcc, s[22:23], v[6:7]
	s_cbranch_vccz .LBB240_44
; %bb.43:                               ;   in Loop: Header=BB240_33 Depth=1
	v_pk_mov_b32 v[6:7], s[0:1], s[0:1] op_sel:[0,1]
	v_div_scale_f64 v[8:9], s[22:23], s[2:3], s[2:3], v[6:7]
	v_rcp_f64_e32 v[14:15], v[8:9]
	v_pk_mov_b32 v[16:17], s[2:3], s[2:3] op_sel:[0,1]
	v_fma_f64 v[18:19], -v[8:9], v[14:15], 1.0
	v_fmac_f64_e32 v[14:15], v[14:15], v[18:19]
	v_fma_f64 v[18:19], -v[8:9], v[14:15], 1.0
	v_fmac_f64_e32 v[14:15], v[14:15], v[18:19]
	v_div_scale_f64 v[18:19], vcc, s[0:1], v[16:17], s[0:1]
	v_mul_f64 v[20:21], v[18:19], v[14:15]
	v_fma_f64 v[8:9], -v[8:9], v[20:21], v[18:19]
	s_nop 1
	v_div_fmas_f64 v[8:9], v[8:9], v[14:15], v[20:21]
	v_div_fixup_f64 v[8:9], v[8:9], s[2:3], v[6:7]
	v_fma_f64 v[6:7], s[0:1], v[8:9], v[16:17]
	v_div_scale_f64 v[14:15], s[22:23], v[6:7], v[6:7], 1.0
	v_rcp_f64_e32 v[16:17], v[14:15]
	v_fma_f64 v[18:19], -v[14:15], v[16:17], 1.0
	v_fmac_f64_e32 v[16:17], v[16:17], v[18:19]
	v_fma_f64 v[18:19], -v[14:15], v[16:17], 1.0
	v_fmac_f64_e32 v[16:17], v[16:17], v[18:19]
	v_div_scale_f64 v[18:19], vcc, 1.0, v[6:7], 1.0
	v_mul_f64 v[20:21], v[18:19], v[16:17]
	v_fma_f64 v[14:15], -v[14:15], v[20:21], v[18:19]
	s_nop 1
	v_div_fmas_f64 v[14:15], v[14:15], v[16:17], v[20:21]
	v_div_fixup_f64 v[14:15], v[14:15], v[6:7], 1.0
	v_fma_f64 v[6:7], v[2:3], v[8:9], v[4:5]
	v_fma_f64 v[8:9], v[4:5], v[8:9], -v[2:3]
	v_mul_f64 v[6:7], v[6:7], v[14:15]
	v_mul_f64 v[8:9], v[8:9], v[14:15]
	s_cbranch_execnz .LBB240_31
	s_branch .LBB240_45
.LBB240_44:                             ;   in Loop: Header=BB240_33 Depth=1
                                        ; implicit-def: $vgpr8_vgpr9
.LBB240_45:                             ;   in Loop: Header=BB240_33 Depth=1
	v_pk_mov_b32 v[6:7], s[2:3], s[2:3] op_sel:[0,1]
	v_div_scale_f64 v[8:9], s[22:23], s[0:1], s[0:1], v[6:7]
	v_rcp_f64_e32 v[14:15], v[8:9]
	v_pk_mov_b32 v[16:17], s[0:1], s[0:1] op_sel:[0,1]
	v_fma_f64 v[18:19], -v[8:9], v[14:15], 1.0
	v_fmac_f64_e32 v[14:15], v[14:15], v[18:19]
	v_fma_f64 v[18:19], -v[8:9], v[14:15], 1.0
	v_fmac_f64_e32 v[14:15], v[14:15], v[18:19]
	v_div_scale_f64 v[18:19], vcc, s[2:3], v[16:17], s[2:3]
	v_mul_f64 v[20:21], v[18:19], v[14:15]
	v_fma_f64 v[8:9], -v[8:9], v[20:21], v[18:19]
	s_nop 1
	v_div_fmas_f64 v[8:9], v[8:9], v[14:15], v[20:21]
	v_div_fixup_f64 v[8:9], v[8:9], s[0:1], v[6:7]
	v_fma_f64 v[6:7], s[2:3], v[8:9], v[16:17]
	v_div_scale_f64 v[14:15], s[0:1], v[6:7], v[6:7], 1.0
	v_rcp_f64_e32 v[16:17], v[14:15]
	v_fma_f64 v[18:19], -v[14:15], v[16:17], 1.0
	v_fmac_f64_e32 v[16:17], v[16:17], v[18:19]
	v_fma_f64 v[18:19], -v[14:15], v[16:17], 1.0
	v_fmac_f64_e32 v[16:17], v[16:17], v[18:19]
	v_div_scale_f64 v[18:19], vcc, 1.0, v[6:7], 1.0
	v_mul_f64 v[20:21], v[18:19], v[16:17]
	v_fma_f64 v[14:15], -v[14:15], v[20:21], v[18:19]
	s_nop 1
	v_div_fmas_f64 v[14:15], v[14:15], v[16:17], v[20:21]
	v_div_fixup_f64 v[14:15], v[14:15], v[6:7], 1.0
	v_fma_f64 v[6:7], v[4:5], v[8:9], v[2:3]
	v_fma_f64 v[2:3], -v[2:3], v[8:9], v[4:5]
	v_mul_f64 v[6:7], v[6:7], v[14:15]
	v_mul_f64 v[8:9], v[2:3], v[14:15]
	s_branch .LBB240_31
.LBB240_46:
	s_mov_b64 s[10:11], 0
.LBB240_47:
	s_andn2_b64 vcc, exec, s[10:11]
	s_cbranch_vccnz .LBB240_65
; %bb.48:
	s_andn2_b64 vcc, exec, s[20:21]
	s_cbranch_vccnz .LBB240_65
; %bb.49:
	s_ashr_i32 s5, s4, 31
	s_cmpk_lg_i32 s18, 0x84
	v_lshlrev_b32_e32 v1, 4, v0
	s_cselect_b64 s[10:11], -1, 0
	s_add_u32 s30, s4, 1
	v_lshl_or_b32 v2, s35, 10, v1
	s_addc_u32 s31, s5, 0
	v_add_u32_e32 v10, 0xfffffc00, v2
	v_or_b32_e32 v11, 0xffffe400, v1
	s_mov_b32 s15, 0
	s_mov_b32 s48, 0
	;; [unrolled: 1-line block ×4, first 2 shown]
	s_branch .LBB240_52
.LBB240_50:                             ;   in Loop: Header=BB240_52 Depth=1
	ds_write_b128 v12, v[6:9]
.LBB240_51:                             ;   in Loop: Header=BB240_52 Depth=1
	s_add_i32 s0, s50, -1
	s_add_i32 s49, s49, 1
	v_add_u16_e64 v2, s48, 1
	v_readfirstlane_b32 s48, v2
	s_cmp_lt_i32 s50, 1
	s_mov_b32 s50, s0
	s_cbranch_scc1 .LBB240_65
.LBB240_52:                             ; =>This Loop Header: Depth=1
                                        ;     Child Loop BB240_55 Depth 2
                                        ;     Child Loop BB240_59 Depth 2
	v_lshl_or_b32 v12, s50, 10, v1
	ds_read_b128 v[2:5], v12
	s_cmp_le_i32 s19, s50
	s_cbranch_scc1 .LBB240_60
; %bb.53:                               ;   in Loop: Header=BB240_52 Depth=1
	s_mul_i32 s0, s50, s5
	s_mul_hi_u32 s1, s50, s4
	s_add_i32 s1, s1, s0
	s_mul_i32 s0, s50, s4
	s_lshl_b64 s[0:1], s[0:1], 4
	s_add_u32 s51, s36, s0
	s_addc_u32 s52, s37, s1
	s_and_b32 s0, s49, 7
	s_cmp_eq_u32 s0, 0
	s_cbranch_scc1 .LBB240_57
; %bb.54:                               ;   in Loop: Header=BB240_52 Depth=1
	s_and_b32 s0, s48, 7
	v_mov_b32_e32 v6, v10
	s_mov_b32 s14, s19
.LBB240_55:                             ;   Parent Loop BB240_52 Depth=1
                                        ; =>  This Inner Loop Header: Depth=2
	s_lshl_b64 s[2:3], s[14:15], 4
	s_add_u32 s2, s51, s2
	s_addc_u32 s3, s52, s3
	ds_read_b128 v[14:17], v6
	s_load_dwordx4 s[24:27], s[2:3], 0x0
	s_add_i32 s14, s14, -1
	s_add_i32 s0, s0, -1
	v_add_u32_e32 v6, 0xfffffc00, v6
	s_cmp_lg_u32 s0, 0
	s_waitcnt lgkmcnt(0)
	v_mul_f64 v[8:9], s[26:27], v[16:17]
	v_mul_f64 v[16:17], s[24:25], v[16:17]
	v_fma_f64 v[8:9], s[24:25], v[14:15], -v[8:9]
	v_fmac_f64_e32 v[16:17], s[26:27], v[14:15]
	v_add_f64 v[2:3], v[2:3], -v[8:9]
	v_add_f64 v[4:5], v[4:5], -v[16:17]
	s_cbranch_scc1 .LBB240_55
; %bb.56:                               ;   in Loop: Header=BB240_52 Depth=1
	s_add_i32 s0, s49, -1
	s_cmp_lt_u32 s0, 7
	s_cbranch_scc0 .LBB240_58
	s_branch .LBB240_60
.LBB240_57:                             ;   in Loop: Header=BB240_52 Depth=1
	s_mov_b32 s14, s19
	s_add_i32 s0, s49, -1
	s_cmp_lt_u32 s0, 7
	s_cbranch_scc1 .LBB240_60
.LBB240_58:                             ;   in Loop: Header=BB240_52 Depth=1
	v_lshl_add_u32 v6, s14, 10, v11
.LBB240_59:                             ;   Parent Loop BB240_52 Depth=1
                                        ; =>  This Inner Loop Header: Depth=2
	s_lshl_b64 s[0:1], s[14:15], 4
	s_add_u32 s0, s51, s0
	s_mov_b32 s3, s15
	s_addc_u32 s1, s52, s1
	s_add_i32 s2, s14, -1
	s_lshl_b64 s[56:57], s[2:3], 4
	ds_read_b128 v[14:17], v6 offset:7168
	ds_read_b128 v[18:21], v6 offset:6144
	ds_read_b128 v[22:25], v6 offset:5120
	ds_read_b128 v[26:29], v6 offset:4096
	ds_read_b128 v[30:33], v6 offset:3072
	ds_read_b128 v[34:37], v6 offset:2048
	ds_read_b128 v[38:41], v6 offset:1024
	ds_read_b128 v[42:45], v6
	s_load_dwordx4 s[0:3], s[0:1], 0x0
	s_add_u32 s56, s51, s56
	s_mov_b32 s17, s15
	s_addc_u32 s57, s52, s57
	s_load_dwordx4 s[56:59], s[56:57], 0x0
	s_add_i32 s16, s14, -2
	s_lshl_b64 s[16:17], s[16:17], 4
	s_add_u32 s16, s51, s16
	s_mov_b32 s23, s15
	s_addc_u32 s17, s52, s17
	s_add_i32 s22, s14, -3
	s_waitcnt lgkmcnt(0)
	v_mul_f64 v[8:9], s[2:3], v[16:17]
	v_mul_f64 v[16:17], s[0:1], v[16:17]
	s_lshl_b64 s[22:23], s[22:23], 4
	v_fma_f64 v[8:9], s[0:1], v[14:15], -v[8:9]
	v_fmac_f64_e32 v[16:17], s[2:3], v[14:15]
	s_load_dwordx4 s[0:3], s[16:17], 0x0
	s_add_u32 s16, s51, s22
	s_mov_b32 s25, s15
	v_add_f64 v[2:3], v[2:3], -v[8:9]
	v_mul_f64 v[8:9], s[58:59], v[20:21]
	v_mul_f64 v[14:15], s[56:57], v[20:21]
	s_addc_u32 s17, s52, s23
	s_add_i32 s24, s14, -4
	v_fma_f64 v[8:9], s[56:57], v[18:19], -v[8:9]
	v_fmac_f64_e32 v[14:15], s[58:59], v[18:19]
	s_load_dwordx4 s[56:59], s[16:17], 0x0
	s_lshl_b64 s[16:17], s[24:25], 4
	s_add_u32 s16, s51, s16
	s_mov_b32 s27, s15
	v_add_f64 v[4:5], v[4:5], -v[16:17]
	s_addc_u32 s17, s52, s17
	s_add_i32 s26, s14, -5
	v_add_f64 v[2:3], v[2:3], -v[8:9]
	v_add_f64 v[4:5], v[4:5], -v[14:15]
	s_waitcnt lgkmcnt(0)
	v_mul_f64 v[8:9], s[2:3], v[24:25]
	v_mul_f64 v[14:15], s[0:1], v[24:25]
	s_lshl_b64 s[22:23], s[26:27], 4
	v_fma_f64 v[8:9], s[0:1], v[22:23], -v[8:9]
	v_fmac_f64_e32 v[14:15], s[2:3], v[22:23]
	s_load_dwordx4 s[0:3], s[16:17], 0x0
	s_add_u32 s16, s51, s22
	s_mov_b32 s29, s15
	s_addc_u32 s17, s52, s23
	s_add_i32 s28, s14, -6
	s_load_dwordx4 s[24:27], s[16:17], 0x0
	s_lshl_b64 s[16:17], s[28:29], 4
	v_add_f64 v[2:3], v[2:3], -v[8:9]
	v_add_f64 v[4:5], v[4:5], -v[14:15]
	v_mul_f64 v[8:9], s[58:59], v[28:29]
	v_mul_f64 v[14:15], s[56:57], v[28:29]
	s_add_u32 s16, s51, s16
	s_mov_b32 s55, s15
	v_fma_f64 v[8:9], s[56:57], v[26:27], -v[8:9]
	v_fmac_f64_e32 v[14:15], s[58:59], v[26:27]
	s_addc_u32 s17, s52, s17
	s_add_i32 s54, s14, -7
	v_add_f64 v[2:3], v[2:3], -v[8:9]
	v_add_f64 v[4:5], v[4:5], -v[14:15]
	s_waitcnt lgkmcnt(0)
	v_mul_f64 v[8:9], s[2:3], v[32:33]
	v_mul_f64 v[14:15], s[0:1], v[32:33]
	s_lshl_b64 s[22:23], s[54:55], 4
	v_fma_f64 v[8:9], s[0:1], v[30:31], -v[8:9]
	v_fmac_f64_e32 v[14:15], s[2:3], v[30:31]
	s_load_dwordx4 s[0:3], s[16:17], 0x0
	s_add_u32 s16, s51, s22
	v_add_f64 v[2:3], v[2:3], -v[8:9]
	v_add_f64 v[4:5], v[4:5], -v[14:15]
	v_mul_f64 v[8:9], s[26:27], v[36:37]
	v_mul_f64 v[14:15], s[24:25], v[36:37]
	s_addc_u32 s17, s52, s23
	v_fma_f64 v[8:9], s[24:25], v[34:35], -v[8:9]
	v_fmac_f64_e32 v[14:15], s[26:27], v[34:35]
	s_load_dwordx4 s[24:27], s[16:17], 0x0
	v_add_f64 v[2:3], v[2:3], -v[8:9]
	v_add_f64 v[4:5], v[4:5], -v[14:15]
	s_waitcnt lgkmcnt(0)
	v_mul_f64 v[8:9], s[2:3], v[40:41]
	v_mul_f64 v[14:15], s[0:1], v[40:41]
	v_fma_f64 v[8:9], s[0:1], v[38:39], -v[8:9]
	v_fmac_f64_e32 v[14:15], s[2:3], v[38:39]
	v_add_f64 v[2:3], v[2:3], -v[8:9]
	v_add_f64 v[4:5], v[4:5], -v[14:15]
	v_mul_f64 v[8:9], s[26:27], v[44:45]
	v_mul_f64 v[14:15], s[24:25], v[44:45]
	s_add_i32 s14, s14, -8
	v_fma_f64 v[8:9], s[24:25], v[42:43], -v[8:9]
	v_fmac_f64_e32 v[14:15], s[26:27], v[42:43]
	v_add_u32_e32 v6, 0xffffe000, v6
	s_cmp_le_i32 s14, s50
	v_add_f64 v[2:3], v[2:3], -v[8:9]
	v_add_f64 v[4:5], v[4:5], -v[14:15]
	s_cbranch_scc0 .LBB240_59
.LBB240_60:                             ;   in Loop: Header=BB240_52 Depth=1
	s_and_b64 vcc, exec, s[10:11]
	s_waitcnt lgkmcnt(0)
	ds_write_b128 v12, v[2:5]
	s_cbranch_vccz .LBB240_51
; %bb.61:                               ;   in Loop: Header=BB240_52 Depth=1
	s_mul_i32 s0, s31, s50
	s_mul_hi_u32 s1, s30, s50
	s_add_i32 s1, s1, s0
	s_mul_i32 s0, s30, s50
	s_lshl_b64 s[0:1], s[0:1], 4
	s_add_u32 s0, s36, s0
	s_addc_u32 s1, s37, s1
	s_load_dwordx4 s[0:3], s[0:1], 0x0
	s_waitcnt lgkmcnt(0)
	v_cmp_lt_f64_e64 s[16:17], s[0:1], 0
	s_xor_b32 s14, s1, 0x80000000
	s_and_b64 s[16:17], s[16:17], exec
	s_cselect_b32 s17, s14, s1
	s_cselect_b32 s16, s0, s0
	v_cmp_lt_f64_e64 s[22:23], s[2:3], 0
	s_xor_b32 s14, s3, 0x80000000
	s_and_b64 s[22:23], s[22:23], exec
	s_cselect_b32 s14, s14, s3
	s_cselect_b32 s22, s2, s2
	v_mov_b32_e32 v6, s22
	v_mov_b32_e32 v7, s14
	v_cmp_ngt_f64_e32 vcc, s[16:17], v[6:7]
	s_cbranch_vccz .LBB240_63
; %bb.62:                               ;   in Loop: Header=BB240_52 Depth=1
	v_pk_mov_b32 v[6:7], s[0:1], s[0:1] op_sel:[0,1]
	v_div_scale_f64 v[8:9], s[16:17], s[2:3], s[2:3], v[6:7]
	v_rcp_f64_e32 v[14:15], v[8:9]
	v_pk_mov_b32 v[16:17], s[2:3], s[2:3] op_sel:[0,1]
	v_fma_f64 v[18:19], -v[8:9], v[14:15], 1.0
	v_fmac_f64_e32 v[14:15], v[14:15], v[18:19]
	v_fma_f64 v[18:19], -v[8:9], v[14:15], 1.0
	v_fmac_f64_e32 v[14:15], v[14:15], v[18:19]
	v_div_scale_f64 v[18:19], vcc, s[0:1], v[16:17], s[0:1]
	v_mul_f64 v[20:21], v[18:19], v[14:15]
	v_fma_f64 v[8:9], -v[8:9], v[20:21], v[18:19]
	s_nop 1
	v_div_fmas_f64 v[8:9], v[8:9], v[14:15], v[20:21]
	v_div_fixup_f64 v[8:9], v[8:9], s[2:3], v[6:7]
	v_fma_f64 v[6:7], s[0:1], v[8:9], v[16:17]
	v_div_scale_f64 v[14:15], s[16:17], v[6:7], v[6:7], 1.0
	v_rcp_f64_e32 v[16:17], v[14:15]
	v_fma_f64 v[18:19], -v[14:15], v[16:17], 1.0
	v_fmac_f64_e32 v[16:17], v[16:17], v[18:19]
	v_fma_f64 v[18:19], -v[14:15], v[16:17], 1.0
	v_fmac_f64_e32 v[16:17], v[16:17], v[18:19]
	v_div_scale_f64 v[18:19], vcc, 1.0, v[6:7], 1.0
	v_mul_f64 v[20:21], v[18:19], v[16:17]
	v_fma_f64 v[14:15], -v[14:15], v[20:21], v[18:19]
	s_nop 1
	v_div_fmas_f64 v[14:15], v[14:15], v[16:17], v[20:21]
	v_div_fixup_f64 v[14:15], v[14:15], v[6:7], 1.0
	v_fma_f64 v[6:7], v[2:3], v[8:9], v[4:5]
	v_fma_f64 v[8:9], v[4:5], v[8:9], -v[2:3]
	v_mul_f64 v[6:7], v[6:7], v[14:15]
	v_mul_f64 v[8:9], v[8:9], v[14:15]
	s_cbranch_execnz .LBB240_50
	s_branch .LBB240_64
.LBB240_63:                             ;   in Loop: Header=BB240_52 Depth=1
                                        ; implicit-def: $vgpr8_vgpr9
.LBB240_64:                             ;   in Loop: Header=BB240_52 Depth=1
	v_pk_mov_b32 v[6:7], s[2:3], s[2:3] op_sel:[0,1]
	v_div_scale_f64 v[8:9], s[16:17], s[0:1], s[0:1], v[6:7]
	v_rcp_f64_e32 v[14:15], v[8:9]
	v_pk_mov_b32 v[16:17], s[0:1], s[0:1] op_sel:[0,1]
	v_fma_f64 v[18:19], -v[8:9], v[14:15], 1.0
	v_fmac_f64_e32 v[14:15], v[14:15], v[18:19]
	v_fma_f64 v[18:19], -v[8:9], v[14:15], 1.0
	v_fmac_f64_e32 v[14:15], v[14:15], v[18:19]
	v_div_scale_f64 v[18:19], vcc, s[2:3], v[16:17], s[2:3]
	v_mul_f64 v[20:21], v[18:19], v[14:15]
	v_fma_f64 v[8:9], -v[8:9], v[20:21], v[18:19]
	s_nop 1
	v_div_fmas_f64 v[8:9], v[8:9], v[14:15], v[20:21]
	v_div_fixup_f64 v[8:9], v[8:9], s[0:1], v[6:7]
	v_fma_f64 v[6:7], s[2:3], v[8:9], v[16:17]
	v_div_scale_f64 v[14:15], s[0:1], v[6:7], v[6:7], 1.0
	v_rcp_f64_e32 v[16:17], v[14:15]
	v_fma_f64 v[18:19], -v[14:15], v[16:17], 1.0
	v_fmac_f64_e32 v[16:17], v[16:17], v[18:19]
	v_fma_f64 v[18:19], -v[14:15], v[16:17], 1.0
	v_fmac_f64_e32 v[16:17], v[16:17], v[18:19]
	v_div_scale_f64 v[18:19], vcc, 1.0, v[6:7], 1.0
	v_mul_f64 v[20:21], v[18:19], v[16:17]
	v_fma_f64 v[14:15], -v[14:15], v[20:21], v[18:19]
	s_nop 1
	v_div_fmas_f64 v[14:15], v[14:15], v[16:17], v[20:21]
	v_div_fixup_f64 v[14:15], v[14:15], v[6:7], 1.0
	v_fma_f64 v[6:7], v[4:5], v[8:9], v[2:3]
	v_fma_f64 v[2:3], -v[2:3], v[8:9], v[4:5]
	v_mul_f64 v[6:7], v[6:7], v[14:15]
	v_mul_f64 v[8:9], v[2:3], v[14:15]
	s_branch .LBB240_50
.LBB240_65:
	s_mov_b64 s[10:11], 0
.LBB240_66:
	s_andn2_b64 vcc, exec, s[10:11]
	s_cbranch_vccnz .LBB240_84
; %bb.67:
	s_andn2_b64 vcc, exec, s[20:21]
	s_cbranch_vccnz .LBB240_84
; %bb.68:
	s_ashr_i32 s5, s4, 31
	s_cmpk_lg_i32 s18, 0x84
	s_cselect_b64 s[48:49], -1, 0
	s_add_u32 s62, s4, 1
	s_addc_u32 s63, s5, 0
	s_add_u32 s0, s6, s8
	s_addc_u32 s1, s7, s9
	;; [unrolled: 2-line block ×3, first 2 shown]
	s_add_u32 s50, s0, 0x78
	v_lshlrev_b32_e32 v1, 4, v0
	s_addc_u32 s51, s1, 0
	s_lshl_b64 s[52:53], s[4:5], 4
	s_mov_b32 s55, 0
	s_mov_b32 s64, 0
	s_mov_b64 s[56:57], s[36:37]
	s_mov_b32 s65, 0
	s_branch .LBB240_71
.LBB240_69:                             ;   in Loop: Header=BB240_71 Depth=1
	ds_write_b128 v10, v[6:9]
.LBB240_70:                             ;   in Loop: Header=BB240_71 Depth=1
	s_add_i32 s65, s65, 1
	s_add_u32 s50, s50, s52
	s_addc_u32 s51, s51, s53
	s_add_u32 s56, s56, s52
	s_addc_u32 s57, s57, s53
	v_add_u16_e64 v2, s64, 1
	s_cmp_eq_u32 s65, s35
	v_readfirstlane_b32 s64, v2
	s_cbranch_scc1 .LBB240_84
.LBB240_71:                             ; =>This Loop Header: Depth=1
                                        ;     Child Loop BB240_74 Depth 2
                                        ;     Child Loop BB240_78 Depth 2
	v_lshl_or_b32 v10, s65, 10, v1
	ds_read_b128 v[2:5], v10
	s_cmp_eq_u32 s65, 0
	s_cbranch_scc1 .LBB240_79
; %bb.72:                               ;   in Loop: Header=BB240_71 Depth=1
	s_cmp_lt_u32 s65, 8
	s_cbranch_scc1 .LBB240_76
; %bb.73:                               ;   in Loop: Header=BB240_71 Depth=1
	s_and_b32 s54, s65, -8
	s_mov_b32 s66, 0
	s_mov_b64 s[58:59], s[50:51]
	v_mov_b32_e32 v6, v1
.LBB240_74:                             ;   Parent Loop BB240_71 Depth=1
                                        ; =>  This Inner Loop Header: Depth=2
	s_add_u32 s0, s58, 0xffffff88
	s_addc_u32 s1, s59, -1
	ds_read_b128 v[12:15], v6
	ds_read_b128 v[16:19], v6 offset:1024
	ds_read_b128 v[20:23], v6 offset:2048
	ds_read_b128 v[24:27], v6 offset:3072
	ds_read_b128 v[28:31], v6 offset:4096
	ds_read_b128 v[32:35], v6 offset:5120
	ds_read_b128 v[36:39], v6 offset:6144
	ds_read_b128 v[40:43], v6 offset:7168
	s_load_dwordx16 s[16:31], s[0:1], 0x0
	s_add_u32 s0, s58, 0xffffffc8
	s_addc_u32 s1, s59, -1
	s_load_dwordx16 s[0:15], s[0:1], 0x0
	s_add_i32 s66, s66, 8
	s_waitcnt lgkmcnt(0)
	v_mul_f64 v[8:9], s[18:19], v[14:15]
	v_mul_f64 v[14:15], s[16:17], v[14:15]
	v_mul_f64 v[44:45], s[22:23], v[18:19]
	v_mul_f64 v[18:19], s[20:21], v[18:19]
	v_fma_f64 v[8:9], s[16:17], v[12:13], -v[8:9]
	v_fmac_f64_e32 v[14:15], s[18:19], v[12:13]
	v_mul_f64 v[46:47], s[26:27], v[22:23]
	v_mul_f64 v[22:23], s[24:25], v[22:23]
	v_fma_f64 v[12:13], s[20:21], v[16:17], -v[44:45]
	v_fmac_f64_e32 v[18:19], s[22:23], v[16:17]
	v_add_f64 v[2:3], v[2:3], -v[8:9]
	v_add_f64 v[4:5], v[4:5], -v[14:15]
	v_mul_f64 v[48:49], s[30:31], v[26:27]
	v_mul_f64 v[26:27], s[28:29], v[26:27]
	v_fma_f64 v[16:17], s[24:25], v[20:21], -v[46:47]
	v_fmac_f64_e32 v[22:23], s[26:27], v[20:21]
	v_add_f64 v[2:3], v[2:3], -v[12:13]
	v_add_f64 v[4:5], v[4:5], -v[18:19]
	v_fma_f64 v[20:21], s[28:29], v[24:25], -v[48:49]
	v_fmac_f64_e32 v[26:27], s[30:31], v[24:25]
	v_mul_f64 v[8:9], s[2:3], v[30:31]
	v_mul_f64 v[14:15], s[0:1], v[30:31]
	v_add_f64 v[2:3], v[2:3], -v[16:17]
	v_add_f64 v[4:5], v[4:5], -v[22:23]
	v_mul_f64 v[24:25], s[6:7], v[34:35]
	v_mul_f64 v[30:31], s[4:5], v[34:35]
	v_fma_f64 v[8:9], s[0:1], v[28:29], -v[8:9]
	v_fmac_f64_e32 v[14:15], s[2:3], v[28:29]
	v_add_f64 v[2:3], v[2:3], -v[20:21]
	v_add_f64 v[4:5], v[4:5], -v[26:27]
	v_mul_f64 v[34:35], s[10:11], v[38:39]
	v_mul_f64 v[38:39], s[8:9], v[38:39]
	v_fma_f64 v[12:13], s[4:5], v[32:33], -v[24:25]
	v_fmac_f64_e32 v[30:31], s[6:7], v[32:33]
	v_add_f64 v[2:3], v[2:3], -v[8:9]
	v_add_f64 v[4:5], v[4:5], -v[14:15]
	s_add_u32 s58, s58, 0x80
	v_mul_f64 v[44:45], s[14:15], v[42:43]
	v_mul_f64 v[42:43], s[12:13], v[42:43]
	v_fma_f64 v[18:19], s[8:9], v[36:37], -v[34:35]
	v_fmac_f64_e32 v[38:39], s[10:11], v[36:37]
	v_add_f64 v[2:3], v[2:3], -v[12:13]
	v_add_f64 v[4:5], v[4:5], -v[30:31]
	s_addc_u32 s59, s59, 0
	v_fma_f64 v[24:25], s[12:13], v[40:41], -v[44:45]
	v_fmac_f64_e32 v[42:43], s[14:15], v[40:41]
	v_add_f64 v[2:3], v[2:3], -v[18:19]
	v_add_f64 v[4:5], v[4:5], -v[38:39]
	v_add_u32_e32 v6, 0x2000, v6
	s_cmp_eq_u32 s54, s66
	v_add_f64 v[2:3], v[2:3], -v[24:25]
	v_add_f64 v[4:5], v[4:5], -v[42:43]
	s_cbranch_scc0 .LBB240_74
; %bb.75:                               ;   in Loop: Header=BB240_71 Depth=1
	s_and_b32 s0, s65, 7
	s_cmp_eq_u32 s0, 0
	s_cbranch_scc0 .LBB240_77
	s_branch .LBB240_79
.LBB240_76:                             ;   in Loop: Header=BB240_71 Depth=1
	s_mov_b32 s54, 0
	s_and_b32 s0, s65, 7
	s_cmp_eq_u32 s0, 0
	s_cbranch_scc1 .LBB240_79
.LBB240_77:                             ;   in Loop: Header=BB240_71 Depth=1
	s_and_b32 s0, s64, 7
	s_lshl_b32 s2, s0, 4
	s_lshl_b64 s[0:1], s[54:55], 4
	s_add_u32 s3, s56, s0
	v_lshl_or_b32 v6, s54, 10, v1
	s_addc_u32 s4, s57, s1
	s_mov_b64 s[0:1], 0
.LBB240_78:                             ;   Parent Loop BB240_71 Depth=1
                                        ; =>  This Inner Loop Header: Depth=2
	s_add_u32 s6, s3, s0
	s_addc_u32 s7, s4, s1
	ds_read_b128 v[12:15], v6
	s_load_dwordx4 s[8:11], s[6:7], 0x0
	s_add_u32 s0, s0, 16
	s_addc_u32 s1, s1, 0
	v_add_u32_e32 v6, 0x400, v6
	s_cmp_lg_u32 s2, s0
	s_waitcnt lgkmcnt(0)
	v_mul_f64 v[8:9], s[10:11], v[14:15]
	v_mul_f64 v[14:15], s[8:9], v[14:15]
	v_fma_f64 v[8:9], s[8:9], v[12:13], -v[8:9]
	v_fmac_f64_e32 v[14:15], s[10:11], v[12:13]
	v_add_f64 v[2:3], v[2:3], -v[8:9]
	v_add_f64 v[4:5], v[4:5], -v[14:15]
	s_cbranch_scc1 .LBB240_78
.LBB240_79:                             ;   in Loop: Header=BB240_71 Depth=1
	s_and_b64 vcc, exec, s[48:49]
	s_waitcnt lgkmcnt(0)
	ds_write_b128 v10, v[2:5]
	s_cbranch_vccz .LBB240_70
; %bb.80:                               ;   in Loop: Header=BB240_71 Depth=1
	s_mul_i32 s0, s63, s65
	s_mul_hi_u32 s1, s62, s65
	s_add_i32 s1, s1, s0
	s_mul_i32 s0, s62, s65
	s_lshl_b64 s[0:1], s[0:1], 4
	s_add_u32 s0, s36, s0
	s_addc_u32 s1, s37, s1
	s_load_dwordx4 s[0:3], s[0:1], 0x0
	s_waitcnt lgkmcnt(0)
	v_cmp_lt_f64_e64 s[4:5], s[0:1], 0
	s_xor_b32 s6, s1, 0x80000000
	s_and_b64 s[4:5], s[4:5], exec
	s_cselect_b32 s5, s6, s1
	s_cselect_b32 s4, s0, s0
	v_cmp_lt_f64_e64 s[6:7], s[2:3], 0
	s_xor_b32 s8, s3, 0x80000000
	s_and_b64 s[6:7], s[6:7], exec
	s_cselect_b32 s6, s8, s3
	s_cselect_b32 s7, s2, s2
	v_mov_b32_e32 v6, s7
	v_mov_b32_e32 v7, s6
	v_cmp_ngt_f64_e32 vcc, s[4:5], v[6:7]
	s_cbranch_vccz .LBB240_82
; %bb.81:                               ;   in Loop: Header=BB240_71 Depth=1
	v_pk_mov_b32 v[6:7], s[0:1], s[0:1] op_sel:[0,1]
	v_div_scale_f64 v[8:9], s[4:5], s[2:3], s[2:3], v[6:7]
	v_rcp_f64_e32 v[12:13], v[8:9]
	v_pk_mov_b32 v[14:15], s[2:3], s[2:3] op_sel:[0,1]
	v_fma_f64 v[16:17], -v[8:9], v[12:13], 1.0
	v_fmac_f64_e32 v[12:13], v[12:13], v[16:17]
	v_fma_f64 v[16:17], -v[8:9], v[12:13], 1.0
	v_fmac_f64_e32 v[12:13], v[12:13], v[16:17]
	v_div_scale_f64 v[16:17], vcc, s[0:1], v[14:15], s[0:1]
	v_mul_f64 v[18:19], v[16:17], v[12:13]
	v_fma_f64 v[8:9], -v[8:9], v[18:19], v[16:17]
	s_nop 1
	v_div_fmas_f64 v[8:9], v[8:9], v[12:13], v[18:19]
	v_div_fixup_f64 v[8:9], v[8:9], s[2:3], v[6:7]
	v_fma_f64 v[6:7], s[0:1], v[8:9], v[14:15]
	v_div_scale_f64 v[12:13], s[4:5], v[6:7], v[6:7], 1.0
	v_rcp_f64_e32 v[14:15], v[12:13]
	v_fma_f64 v[16:17], -v[12:13], v[14:15], 1.0
	v_fmac_f64_e32 v[14:15], v[14:15], v[16:17]
	v_fma_f64 v[16:17], -v[12:13], v[14:15], 1.0
	v_fmac_f64_e32 v[14:15], v[14:15], v[16:17]
	v_div_scale_f64 v[16:17], vcc, 1.0, v[6:7], 1.0
	v_mul_f64 v[18:19], v[16:17], v[14:15]
	v_fma_f64 v[12:13], -v[12:13], v[18:19], v[16:17]
	s_nop 1
	v_div_fmas_f64 v[12:13], v[12:13], v[14:15], v[18:19]
	v_div_fixup_f64 v[12:13], v[12:13], v[6:7], 1.0
	v_fma_f64 v[6:7], v[2:3], v[8:9], v[4:5]
	v_fma_f64 v[8:9], v[4:5], v[8:9], -v[2:3]
	v_mul_f64 v[6:7], v[6:7], v[12:13]
	v_mul_f64 v[8:9], v[8:9], v[12:13]
	s_cbranch_execnz .LBB240_69
	s_branch .LBB240_83
.LBB240_82:                             ;   in Loop: Header=BB240_71 Depth=1
                                        ; implicit-def: $vgpr8_vgpr9
.LBB240_83:                             ;   in Loop: Header=BB240_71 Depth=1
	v_pk_mov_b32 v[6:7], s[2:3], s[2:3] op_sel:[0,1]
	v_div_scale_f64 v[8:9], s[4:5], s[0:1], s[0:1], v[6:7]
	v_rcp_f64_e32 v[12:13], v[8:9]
	v_pk_mov_b32 v[14:15], s[0:1], s[0:1] op_sel:[0,1]
	v_fma_f64 v[16:17], -v[8:9], v[12:13], 1.0
	v_fmac_f64_e32 v[12:13], v[12:13], v[16:17]
	v_fma_f64 v[16:17], -v[8:9], v[12:13], 1.0
	v_fmac_f64_e32 v[12:13], v[12:13], v[16:17]
	v_div_scale_f64 v[16:17], vcc, s[2:3], v[14:15], s[2:3]
	v_mul_f64 v[18:19], v[16:17], v[12:13]
	v_fma_f64 v[8:9], -v[8:9], v[18:19], v[16:17]
	s_nop 1
	v_div_fmas_f64 v[8:9], v[8:9], v[12:13], v[18:19]
	v_div_fixup_f64 v[8:9], v[8:9], s[0:1], v[6:7]
	v_fma_f64 v[6:7], s[2:3], v[8:9], v[14:15]
	v_div_scale_f64 v[12:13], s[0:1], v[6:7], v[6:7], 1.0
	v_rcp_f64_e32 v[14:15], v[12:13]
	v_fma_f64 v[16:17], -v[12:13], v[14:15], 1.0
	v_fmac_f64_e32 v[14:15], v[14:15], v[16:17]
	v_fma_f64 v[16:17], -v[12:13], v[14:15], 1.0
	v_fmac_f64_e32 v[14:15], v[14:15], v[16:17]
	v_div_scale_f64 v[16:17], vcc, 1.0, v[6:7], 1.0
	v_mul_f64 v[18:19], v[16:17], v[14:15]
	v_fma_f64 v[12:13], -v[12:13], v[18:19], v[16:17]
	s_nop 1
	v_div_fmas_f64 v[12:13], v[12:13], v[14:15], v[18:19]
	v_div_fixup_f64 v[12:13], v[12:13], v[6:7], 1.0
	v_fma_f64 v[6:7], v[4:5], v[8:9], v[2:3]
	v_fma_f64 v[2:3], -v[2:3], v[8:9], v[4:5]
	v_mul_f64 v[6:7], v[6:7], v[12:13]
	v_mul_f64 v[8:9], v[2:3], v[12:13]
	s_branch .LBB240_69
.LBB240_84:
	s_and_saveexec_b64 s[0:1], s[46:47]
	s_cbranch_execz .LBB240_91
; %bb.85:
	s_ashr_i32 s35, s34, 31
	s_mov_b32 s6, 0
	s_cmp_lt_u32 s33, 4
	v_lshlrev_b32_e32 v2, 4, v0
	s_cbranch_scc1 .LBB240_88
; %bb.86:
	v_mov_b32_e32 v1, s61
	v_add_co_u32_e32 v0, vcc, s60, v2
	s_mul_hi_i32 s9, s34, 48
	s_lshl_b64 s[0:1], s[34:35], 6
	s_lshl_b64 s[2:3], s[34:35], 5
	;; [unrolled: 1-line block ×3, first 2 shown]
	v_addc_co_u32_e32 v1, vcc, 0, v1, vcc
	s_and_b32 s6, s33, 0x7ffffffc
	s_mul_i32 s7, s34, 48
	s_mov_b32 s8, 0
	v_mov_b32_e32 v3, s5
	v_mov_b32_e32 v4, s3
	;; [unrolled: 1-line block ×5, first 2 shown]
.LBB240_87:                             ; =>This Inner Loop Header: Depth=1
	v_add_co_u32_e32 v24, vcc, s4, v0
	v_addc_co_u32_e32 v25, vcc, v1, v3, vcc
	ds_read2_b64 v[8:11], v7 offset1:1
	ds_read2_b64 v[12:15], v7 offset0:128 offset1:129
	v_add_u32_e32 v16, 0x800, v7
	v_add_co_u32_e32 v26, vcc, s2, v0
	v_add_u32_e32 v20, 0xc00, v7
	v_addc_co_u32_e32 v27, vcc, v1, v4, vcc
	ds_read2_b64 v[16:19], v16 offset1:1
	ds_read2_b64 v[20:23], v20 offset1:1
	v_add_co_u32_e32 v28, vcc, s7, v0
	v_addc_co_u32_e32 v29, vcc, v1, v5, vcc
	s_add_i32 s8, s8, 4
	s_waitcnt lgkmcnt(3)
	global_store_dwordx4 v[0:1], v[8:11], off
	s_waitcnt lgkmcnt(2)
	global_store_dwordx4 v[24:25], v[12:15], off
	v_add_co_u32_e32 v0, vcc, s0, v0
	v_add_u32_e32 v7, 0x1000, v7
	s_cmp_lg_u32 s6, s8
	v_addc_co_u32_e32 v1, vcc, v1, v6, vcc
	s_waitcnt lgkmcnt(1)
	global_store_dwordx4 v[26:27], v[16:19], off
	s_waitcnt lgkmcnt(0)
	global_store_dwordx4 v[28:29], v[20:23], off
	s_cbranch_scc1 .LBB240_87
.LBB240_88:
	s_and_b32 s2, s33, 3
	s_cmp_eq_u32 s2, 0
	s_cbranch_scc1 .LBB240_91
; %bb.89:
	s_mul_hi_i32 s1, s34, s6
	s_mul_i32 s0, s34, s6
	s_lshl_b64 s[0:1], s[0:1], 4
	s_add_u32 s0, s42, s0
	s_addc_u32 s1, s43, s1
	s_add_u32 s0, s0, s44
	s_addc_u32 s1, s1, s45
	;; [unrolled: 2-line block ×4, first 2 shown]
	v_mov_b32_e32 v1, s1
	v_add_co_u32_e32 v0, vcc, s0, v2
	s_lshl_b64 s[0:1], s[34:35], 4
	v_addc_co_u32_e32 v1, vcc, 0, v1, vcc
	v_lshl_or_b32 v2, s6, 10, v2
	v_mov_b32_e32 v3, s1
.LBB240_90:                             ; =>This Inner Loop Header: Depth=1
	ds_read2_b64 v[4:7], v2 offset1:1
	s_add_i32 s2, s2, -1
	v_add_u32_e32 v2, 0x400, v2
	s_cmp_lg_u32 s2, 0
	s_waitcnt lgkmcnt(0)
	global_store_dwordx4 v[0:1], v[4:7], off
	v_add_co_u32_e32 v0, vcc, s0, v0
	v_addc_co_u32_e32 v1, vcc, v1, v3, vcc
	s_cbranch_scc1 .LBB240_90
.LBB240_91:
	s_endpgm
	.section	.rodata,"a",@progbits
	.p2align	6, 0x0
	.amdhsa_kernel _ZL34rocblas_trsm_small_64_right_deviceI19rocblas_complex_numIdES1_PKS1_PS1_Li64EEv13rocblas_fill_18rocblas_operation_17rocblas_diagonal_iiT0_T1_lilT2_lili
		.amdhsa_group_segment_fixed_size 65536
		.amdhsa_private_segment_fixed_size 0
		.amdhsa_kernarg_size 368
		.amdhsa_user_sgpr_count 6
		.amdhsa_user_sgpr_private_segment_buffer 1
		.amdhsa_user_sgpr_dispatch_ptr 0
		.amdhsa_user_sgpr_queue_ptr 0
		.amdhsa_user_sgpr_kernarg_segment_ptr 1
		.amdhsa_user_sgpr_dispatch_id 0
		.amdhsa_user_sgpr_flat_scratch_init 0
		.amdhsa_user_sgpr_kernarg_preload_length 0
		.amdhsa_user_sgpr_kernarg_preload_offset 0
		.amdhsa_user_sgpr_private_segment_size 0
		.amdhsa_uses_dynamic_stack 0
		.amdhsa_system_sgpr_private_segment_wavefront_offset 0
		.amdhsa_system_sgpr_workgroup_id_x 1
		.amdhsa_system_sgpr_workgroup_id_y 0
		.amdhsa_system_sgpr_workgroup_id_z 1
		.amdhsa_system_sgpr_workgroup_info 0
		.amdhsa_system_vgpr_workitem_id 0
		.amdhsa_next_free_vgpr 50
		.amdhsa_next_free_sgpr 67
		.amdhsa_accum_offset 52
		.amdhsa_reserve_vcc 1
		.amdhsa_reserve_flat_scratch 0
		.amdhsa_float_round_mode_32 0
		.amdhsa_float_round_mode_16_64 0
		.amdhsa_float_denorm_mode_32 3
		.amdhsa_float_denorm_mode_16_64 3
		.amdhsa_dx10_clamp 1
		.amdhsa_ieee_mode 1
		.amdhsa_fp16_overflow 0
		.amdhsa_tg_split 0
		.amdhsa_exception_fp_ieee_invalid_op 0
		.amdhsa_exception_fp_denorm_src 0
		.amdhsa_exception_fp_ieee_div_zero 0
		.amdhsa_exception_fp_ieee_overflow 0
		.amdhsa_exception_fp_ieee_underflow 0
		.amdhsa_exception_fp_ieee_inexact 0
		.amdhsa_exception_int_div_zero 0
	.end_amdhsa_kernel
	.section	.text._ZL34rocblas_trsm_small_64_right_deviceI19rocblas_complex_numIdES1_PKS1_PS1_Li64EEv13rocblas_fill_18rocblas_operation_17rocblas_diagonal_iiT0_T1_lilT2_lili,"axG",@progbits,_ZL34rocblas_trsm_small_64_right_deviceI19rocblas_complex_numIdES1_PKS1_PS1_Li64EEv13rocblas_fill_18rocblas_operation_17rocblas_diagonal_iiT0_T1_lilT2_lili,comdat
.Lfunc_end240:
	.size	_ZL34rocblas_trsm_small_64_right_deviceI19rocblas_complex_numIdES1_PKS1_PS1_Li64EEv13rocblas_fill_18rocblas_operation_17rocblas_diagonal_iiT0_T1_lilT2_lili, .Lfunc_end240-_ZL34rocblas_trsm_small_64_right_deviceI19rocblas_complex_numIdES1_PKS1_PS1_Li64EEv13rocblas_fill_18rocblas_operation_17rocblas_diagonal_iiT0_T1_lilT2_lili
                                        ; -- End function
	.section	.AMDGPU.csdata,"",@progbits
; Kernel info:
; codeLenInByte = 6996
; NumSgprs: 71
; NumVgprs: 50
; NumAgprs: 0
; TotalNumVgprs: 50
; ScratchSize: 0
; MemoryBound: 0
; FloatMode: 240
; IeeeMode: 1
; LDSByteSize: 65536 bytes/workgroup (compile time only)
; SGPRBlocks: 8
; VGPRBlocks: 6
; NumSGPRsForWavesPerEU: 71
; NumVGPRsForWavesPerEU: 50
; AccumOffset: 52
; Occupancy: 1
; WaveLimiterHint : 0
; COMPUTE_PGM_RSRC2:SCRATCH_EN: 0
; COMPUTE_PGM_RSRC2:USER_SGPR: 6
; COMPUTE_PGM_RSRC2:TRAP_HANDLER: 0
; COMPUTE_PGM_RSRC2:TGID_X_EN: 1
; COMPUTE_PGM_RSRC2:TGID_Y_EN: 0
; COMPUTE_PGM_RSRC2:TGID_Z_EN: 1
; COMPUTE_PGM_RSRC2:TIDIG_COMP_CNT: 0
; COMPUTE_PGM_RSRC3_GFX90A:ACCUM_OFFSET: 12
; COMPUTE_PGM_RSRC3_GFX90A:TG_SPLIT: 0
	.section	.text._ZL39rocblas_trsm_block_forward_substitutionI19rocblas_complex_numIdES1_PKS1_PS1_Lb0ELb0ELb0EEv18rocblas_operation_llT0_T1_lllT2_lllib,"axG",@progbits,_ZL39rocblas_trsm_block_forward_substitutionI19rocblas_complex_numIdES1_PKS1_PS1_Lb0ELb0ELb0EEv18rocblas_operation_llT0_T1_lllT2_lllib,comdat
	.globl	_ZL39rocblas_trsm_block_forward_substitutionI19rocblas_complex_numIdES1_PKS1_PS1_Lb0ELb0ELb0EEv18rocblas_operation_llT0_T1_lllT2_lllib ; -- Begin function _ZL39rocblas_trsm_block_forward_substitutionI19rocblas_complex_numIdES1_PKS1_PS1_Lb0ELb0ELb0EEv18rocblas_operation_llT0_T1_lllT2_lllib
	.p2align	8
	.type	_ZL39rocblas_trsm_block_forward_substitutionI19rocblas_complex_numIdES1_PKS1_PS1_Lb0ELb0ELb0EEv18rocblas_operation_llT0_T1_lllT2_lllib,@function
_ZL39rocblas_trsm_block_forward_substitutionI19rocblas_complex_numIdES1_PKS1_PS1_Lb0ELb0ELb0EEv18rocblas_operation_llT0_T1_lllT2_lllib: ; @_ZL39rocblas_trsm_block_forward_substitutionI19rocblas_complex_numIdES1_PKS1_PS1_Lb0ELb0ELb0EEv18rocblas_operation_llT0_T1_lllT2_lllib
; %bb.0:
	s_load_dword s0, s[4:5], 0x6c
	s_load_dwordx16 s[12:27], s[4:5], 0x8
	s_load_dword s6, s[4:5], 0x7c
	v_and_b32_e32 v8, 0x3ff, v0
	v_bfe_u32 v14, v0, 10, 10
	s_waitcnt lgkmcnt(0)
	s_bitcmp1_b32 s0, 0
	s_cselect_b64 s[0:1], -1, 0
	s_xor_b64 s[2:3], s[0:1], -1
	s_mul_i32 s0, s8, s27
	s_mul_hi_u32 s1, s8, s26
	s_add_i32 s1, s1, s0
	s_mul_i32 s0, s8, s26
	s_lshl_b64 s[0:1], s[0:1], 4
	s_add_u32 s9, s20, s0
	s_addc_u32 s11, s21, s1
	s_lshl_b64 s[0:1], s[22:23], 4
	s_add_u32 s10, s9, s0
	s_addc_u32 s11, s11, s1
	s_add_u32 s20, s4, 0x70
	s_addc_u32 s21, s5, 0
	s_lshr_b32 s6, s6, 16
	s_and_b64 vcc, exec, s[2:3]
	s_cbranch_vccnz .LBB241_15
; %bb.1:
	s_lshl_b32 s0, s6, 4
	s_add_i32 s22, s0, 0
	v_cmp_lt_i64_e64 s[0:1], s[12:13], 1
	s_and_b64 vcc, exec, s[0:1]
	s_cbranch_vccnz .LBB241_14
; %bb.2:
	v_lshlrev_b32_e32 v0, 4, v8
	v_mov_b32_e32 v9, 0
	v_cmp_le_u64_e32 vcc, s[12:13], v[8:9]
	v_mov_b32_e32 v1, s11
	v_add_co_u32_e64 v9, s[0:1], s10, v0
	v_add_u32_e32 v15, s22, v0
	v_addc_co_u32_e64 v16, s[0:1], 0, v1, s[0:1]
	v_mad_u64_u32 v[0:1], s[0:1], v8, s24, 0
	v_mov_b32_e32 v2, v1
	v_mad_u64_u32 v[2:3], s[0:1], v8, s25, v[2:3]
	v_mov_b32_e32 v1, v2
	v_lshlrev_b64 v[0:1], 4, v[0:1]
	v_add_co_u32_e64 v10, s[0:1], v9, v0
	v_addc_co_u32_e64 v11, s[0:1], v16, v1, s[0:1]
	s_xor_b64 s[0:1], vcc, -1
	s_mov_b32 s10, s6
	v_mov_b32_e32 v17, v14
	s_branch .LBB241_6
.LBB241_3:                              ;   in Loop: Header=BB241_6 Depth=1
	s_or_b64 exec, exec, s[30:31]
	s_load_dword s9, s[20:21], 0xc
	s_waitcnt lgkmcnt(0)
	s_and_b32 s9, s9, 0xffff
	v_mul_u32_u24_e32 v0, s9, v8
	v_lshl_add_u32 v0, v0, 4, v15
	ds_write2_b64 v0, v[12:13], v[6:7] offset1:1
.LBB241_4:                              ;   in Loop: Header=BB241_6 Depth=1
	s_or_b64 exec, exec, s[28:29]
.LBB241_5:                              ;   in Loop: Header=BB241_6 Depth=1
	s_or_b64 exec, exec, s[26:27]
	s_ashr_i32 s11, s10, 31
	v_pk_mov_b32 v[0:1], s[12:13], s[12:13] op_sel:[0,1]
	v_cmp_ge_i64_e32 vcc, s[10:11], v[0:1]
	v_add_u32_e32 v17, s6, v17
	s_add_i32 s10, s10, s6
	s_cbranch_vccnz .LBB241_14
.LBB241_6:                              ; =>This Inner Loop Header: Depth=1
	v_cmp_gt_i32_e32 vcc, v8, v17
	s_and_b64 s[26:27], s[0:1], vcc
	s_and_saveexec_b64 s[28:29], s[26:27]
	s_xor_b64 s[26:27], exec, s[28:29]
	s_cbranch_execz .LBB241_8
; %bb.7:                                ;   in Loop: Header=BB241_6 Depth=1
	v_ashrrev_i32_e32 v0, 31, v17
	v_mul_lo_u32 v2, v17, s25
	v_mul_lo_u32 v3, v0, s24
	v_mad_u64_u32 v[0:1], s[28:29], v17, s24, 0
	v_add3_u32 v1, v1, v2, v3
	v_lshlrev_b64 v[0:1], 4, v[0:1]
	v_add_co_u32_e32 v0, vcc, v9, v0
	v_addc_co_u32_e32 v1, vcc, v16, v1, vcc
	global_load_dwordx4 v[0:3], v[0:1], off
	s_load_dword s9, s[20:21], 0xc
	s_waitcnt lgkmcnt(0)
	s_and_b32 s9, s9, 0xffff
	v_mul_lo_u32 v4, v17, s9
	v_lshl_add_u32 v4, v4, 4, v15
	s_waitcnt vmcnt(0)
	ds_write2_b64 v4, v[0:1], v[2:3] offset1:1
.LBB241_8:                              ;   in Loop: Header=BB241_6 Depth=1
	s_andn2_saveexec_b64 s[26:27], s[26:27]
	s_cbranch_execz .LBB241_5
; %bb.9:                                ;   in Loop: Header=BB241_6 Depth=1
	v_cmp_eq_u32_e32 vcc, v8, v17
	s_and_b64 s[30:31], s[0:1], vcc
	s_and_saveexec_b64 s[28:29], s[30:31]
	s_cbranch_execz .LBB241_4
; %bb.10:                               ;   in Loop: Header=BB241_6 Depth=1
	global_load_dwordx4 v[0:3], v[10:11], off
                                        ; implicit-def: $vgpr12_vgpr13
	s_waitcnt vmcnt(0)
	v_xor_b32_e32 v5, 0x80000000, v1
	v_cmp_gt_f64_e32 vcc, 0, v[0:1]
	v_xor_b32_e32 v6, 0x80000000, v3
	v_cndmask_b32_e32 v5, v1, v5, vcc
	v_cmp_gt_f64_e32 vcc, 0, v[2:3]
	v_mov_b32_e32 v4, v0
	v_cndmask_b32_e32 v7, v3, v6, vcc
	v_mov_b32_e32 v6, v2
	v_cmp_ngt_f64_e32 vcc, v[4:5], v[6:7]
	s_and_saveexec_b64 s[30:31], vcc
	s_xor_b64 s[30:31], exec, s[30:31]
                                        ; implicit-def: $vgpr4_vgpr5_vgpr6_vgpr7
	s_cbranch_execz .LBB241_12
; %bb.11:                               ;   in Loop: Header=BB241_6 Depth=1
	v_div_scale_f64 v[4:5], s[34:35], v[2:3], v[2:3], v[0:1]
	v_rcp_f64_e32 v[6:7], v[4:5]
	v_div_scale_f64 v[12:13], vcc, v[0:1], v[2:3], v[0:1]
	v_fma_f64 v[18:19], -v[4:5], v[6:7], 1.0
	v_fmac_f64_e32 v[6:7], v[6:7], v[18:19]
	v_fma_f64 v[18:19], -v[4:5], v[6:7], 1.0
	v_fmac_f64_e32 v[6:7], v[6:7], v[18:19]
	v_mul_f64 v[18:19], v[12:13], v[6:7]
	v_fma_f64 v[4:5], -v[4:5], v[18:19], v[12:13]
	v_div_fmas_f64 v[4:5], v[4:5], v[6:7], v[18:19]
	v_div_fixup_f64 v[4:5], v[4:5], v[2:3], v[0:1]
	v_fmac_f64_e32 v[2:3], v[0:1], v[4:5]
	v_div_scale_f64 v[0:1], s[34:35], v[2:3], v[2:3], 1.0
	v_rcp_f64_e32 v[6:7], v[0:1]
	v_fma_f64 v[12:13], -v[0:1], v[6:7], 1.0
	v_fmac_f64_e32 v[6:7], v[6:7], v[12:13]
	v_fma_f64 v[12:13], -v[0:1], v[6:7], 1.0
	v_fmac_f64_e32 v[6:7], v[6:7], v[12:13]
	v_div_scale_f64 v[12:13], vcc, 1.0, v[2:3], 1.0
	v_mul_f64 v[18:19], v[12:13], v[6:7]
	v_fma_f64 v[0:1], -v[0:1], v[18:19], v[12:13]
	s_nop 1
	v_div_fmas_f64 v[0:1], v[0:1], v[6:7], v[18:19]
	v_div_fixup_f64 v[6:7], v[0:1], v[2:3], 1.0
	v_mul_f64 v[12:13], v[4:5], v[6:7]
	v_xor_b32_e32 v7, 0x80000000, v7
                                        ; implicit-def: $vgpr0_vgpr1
.LBB241_12:                             ;   in Loop: Header=BB241_6 Depth=1
	s_andn2_saveexec_b64 s[30:31], s[30:31]
	s_cbranch_execz .LBB241_3
; %bb.13:                               ;   in Loop: Header=BB241_6 Depth=1
	v_div_scale_f64 v[4:5], s[34:35], v[0:1], v[0:1], v[2:3]
	v_rcp_f64_e32 v[6:7], v[4:5]
	v_div_scale_f64 v[12:13], vcc, v[2:3], v[0:1], v[2:3]
	v_fma_f64 v[18:19], -v[4:5], v[6:7], 1.0
	v_fmac_f64_e32 v[6:7], v[6:7], v[18:19]
	v_fma_f64 v[18:19], -v[4:5], v[6:7], 1.0
	v_fmac_f64_e32 v[6:7], v[6:7], v[18:19]
	v_mul_f64 v[18:19], v[12:13], v[6:7]
	v_fma_f64 v[4:5], -v[4:5], v[18:19], v[12:13]
	v_div_fmas_f64 v[4:5], v[4:5], v[6:7], v[18:19]
	v_div_fixup_f64 v[4:5], v[4:5], v[0:1], v[2:3]
	v_fmac_f64_e32 v[0:1], v[2:3], v[4:5]
	v_div_scale_f64 v[2:3], s[34:35], v[0:1], v[0:1], 1.0
	v_rcp_f64_e32 v[6:7], v[2:3]
	v_fma_f64 v[12:13], -v[2:3], v[6:7], 1.0
	v_fmac_f64_e32 v[6:7], v[6:7], v[12:13]
	v_fma_f64 v[12:13], -v[2:3], v[6:7], 1.0
	v_fmac_f64_e32 v[6:7], v[6:7], v[12:13]
	v_div_scale_f64 v[12:13], vcc, 1.0, v[0:1], 1.0
	v_mul_f64 v[18:19], v[12:13], v[6:7]
	v_fma_f64 v[2:3], -v[2:3], v[18:19], v[12:13]
	s_nop 1
	v_div_fmas_f64 v[2:3], v[2:3], v[6:7], v[18:19]
	v_div_fixup_f64 v[12:13], v[2:3], v[0:1], 1.0
	v_mul_f64 v[6:7], v[4:5], -v[12:13]
	s_branch .LBB241_3
.LBB241_14:
	s_load_dword s9, s[20:21], 0xc
	s_mov_b64 s[0:1], src_shared_base
	s_mov_b32 s23, s1
	s_mov_b32 s25, 0
	s_mov_b64 s[10:11], s[22:23]
	s_waitcnt lgkmcnt(0)
	s_and_b32 s24, s9, 0xffff
.LBB241_15:
	s_mul_i32 s7, s7, s6
	v_add_u32_e32 v0, s7, v14
	v_mov_b32_e32 v1, 0
	v_cmp_gt_i64_e32 vcc, s[14:15], v[0:1]
	s_and_saveexec_b64 s[0:1], vcc
	s_cbranch_execz .LBB241_39
; %bb.16:
	v_mov_b32_e32 v9, v1
	v_cmp_gt_i64_e32 vcc, s[12:13], v[8:9]
	s_and_b64 exec, exec, vcc
	s_cbranch_execz .LBB241_39
; %bb.17:
	s_load_dwordx8 s[36:43], s[4:5], 0x48
	s_waitcnt lgkmcnt(0)
	s_mul_i32 s1, s8, s43
	s_mul_hi_u32 s6, s8, s42
	s_mul_i32 s0, s8, s42
	s_add_i32 s1, s6, s1
	s_lshl_b64 s[0:1], s[0:1], 4
	s_add_u32 s6, s36, s0
	s_addc_u32 s7, s37, s1
	s_lshl_b64 s[0:1], s[38:39], 4
	s_add_u32 s6, s6, s0
	s_addc_u32 s7, s7, s1
	v_mad_u64_u32 v[2:3], s[0:1], v0, s40, 0
	v_mov_b32_e32 v4, v3
	v_mad_u64_u32 v[0:1], s[0:1], v0, s41, v[4:5]
	v_mov_b32_e32 v3, v0
	v_lshlrev_b64 v[0:1], 4, v[2:3]
	v_mov_b32_e32 v2, s7
	v_add_co_u32_e32 v0, vcc, s6, v0
	v_addc_co_u32_e32 v1, vcc, v2, v1, vcc
	v_lshlrev_b32_e32 v4, 4, v8
	v_add_co_u32_e32 v10, vcc, v0, v4
	v_addc_co_u32_e32 v11, vcc, 0, v1, vcc
	global_load_dwordx4 v[16:19], v[10:11], off
	v_cmp_lt_u64_e64 s[0:1], s[12:13], 2
	s_add_u32 s6, s12, -1
	s_addc_u32 s7, s13, -1
	s_and_b64 vcc, exec, s[0:1]
	s_waitcnt vmcnt(0)
	v_mul_f64 v[0:1], s[18:19], v[18:19]
	v_mul_f64 v[2:3], s[16:17], v[18:19]
	v_fma_f64 v[0:1], s[16:17], v[16:17], -v[0:1]
	v_fmac_f64_e32 v[2:3], s[18:19], v[16:17]
	s_cbranch_vccnz .LBB241_30
; %bb.18:
	s_load_dword s4, s[4:5], 0x0
	v_mad_u64_u32 v[6:7], s[0:1], v8, s24, v[8:9]
	v_mov_b32_e32 v12, v7
	v_mov_b32_e32 v5, s11
	s_waitcnt lgkmcnt(0)
	s_cmpk_eq_i32 s4, 0x71
	v_mad_u64_u32 v[12:13], s[4:5], v8, s25, v[12:13]
	v_mov_b32_e32 v7, v12
	v_lshlrev_b64 v[6:7], 4, v[6:7]
	v_add_co_u32_e32 v12, vcc, s10, v6
	v_addc_co_u32_e32 v13, vcc, v5, v7, vcc
	v_lshl_add_u32 v16, v14, 4, 0
	v_add_co_u32_e32 v14, vcc, s10, v4
	s_cselect_b64 s[0:1], -1, 0
	v_addc_co_u32_e32 v15, vcc, 0, v5, vcc
	s_lshl_b64 s[4:5], s[24:25], 4
	s_mov_b64 s[8:9], 0
	s_branch .LBB241_20
.LBB241_19:                             ;   in Loop: Header=BB241_20 Depth=1
	s_or_b64 exec, exec, s[12:13]
	s_add_u32 s8, s8, 1
	s_addc_u32 s9, s9, 0
	v_mov_b32_e32 v4, s5
	v_add_co_u32_e32 v14, vcc, s4, v14
	s_cmp_eq_u64 s[6:7], s[8:9]
	v_addc_co_u32_e32 v15, vcc, v15, v4, vcc
	s_cbranch_scc1 .LBB241_30
.LBB241_20:                             ; =>This Inner Loop Header: Depth=1
	v_cmp_eq_u64_e32 vcc, s[8:9], v[8:9]
	s_barrier
	s_and_saveexec_b64 s[12:13], vcc
	s_cbranch_execz .LBB241_28
; %bb.21:                               ;   in Loop: Header=BB241_20 Depth=1
	flat_load_dwordx4 v[4:7], v[12:13]
	s_andn2_b64 vcc, exec, s[2:3]
	s_cbranch_vccnz .LBB241_27
; %bb.22:                               ;   in Loop: Header=BB241_20 Depth=1
	s_waitcnt vmcnt(0) lgkmcnt(0)
	v_xor_b32_e32 v17, 0x80000000, v5
	v_cmp_gt_f64_e32 vcc, 0, v[4:5]
	v_cndmask_b32_e32 v19, v5, v17, vcc
	v_cndmask_b32_e32 v18, v4, v4, vcc
	v_xor_b32_e32 v17, 0x80000000, v7
	v_cmp_gt_f64_e32 vcc, 0, v[6:7]
	v_cndmask_b32_e32 v21, v7, v17, vcc
	v_cndmask_b32_e32 v20, v6, v6, vcc
	v_cmp_ngt_f64_e32 vcc, v[18:19], v[20:21]
	s_and_saveexec_b64 s[14:15], vcc
	s_xor_b64 s[14:15], exec, s[14:15]
	s_cbranch_execz .LBB241_24
; %bb.23:                               ;   in Loop: Header=BB241_20 Depth=1
	v_div_scale_f64 v[18:19], s[16:17], v[6:7], v[6:7], v[4:5]
	v_rcp_f64_e32 v[20:21], v[18:19]
	v_div_scale_f64 v[22:23], vcc, v[4:5], v[6:7], v[4:5]
	v_fma_f64 v[24:25], -v[18:19], v[20:21], 1.0
	v_fmac_f64_e32 v[20:21], v[20:21], v[24:25]
	v_fma_f64 v[24:25], -v[18:19], v[20:21], 1.0
	v_fmac_f64_e32 v[20:21], v[20:21], v[24:25]
	v_mul_f64 v[24:25], v[22:23], v[20:21]
	v_fma_f64 v[18:19], -v[18:19], v[24:25], v[22:23]
	v_div_fmas_f64 v[18:19], v[18:19], v[20:21], v[24:25]
	v_div_fixup_f64 v[18:19], v[18:19], v[6:7], v[4:5]
	v_fmac_f64_e32 v[6:7], v[4:5], v[18:19]
	v_div_scale_f64 v[4:5], s[16:17], v[6:7], v[6:7], 1.0
	v_rcp_f64_e32 v[20:21], v[4:5]
	v_fma_f64 v[22:23], -v[4:5], v[20:21], 1.0
	v_fmac_f64_e32 v[20:21], v[20:21], v[22:23]
	v_fma_f64 v[22:23], -v[4:5], v[20:21], 1.0
	v_fmac_f64_e32 v[20:21], v[20:21], v[22:23]
	v_div_scale_f64 v[22:23], vcc, 1.0, v[6:7], 1.0
	v_mul_f64 v[24:25], v[22:23], v[20:21]
	v_fma_f64 v[4:5], -v[4:5], v[24:25], v[22:23]
	s_nop 1
	v_div_fmas_f64 v[4:5], v[4:5], v[20:21], v[24:25]
	v_div_fixup_f64 v[6:7], v[4:5], v[6:7], 1.0
	v_mul_f64 v[4:5], v[18:19], v[6:7]
	v_xor_b32_e32 v7, 0x80000000, v7
.LBB241_24:                             ;   in Loop: Header=BB241_20 Depth=1
	s_andn2_saveexec_b64 s[14:15], s[14:15]
	s_cbranch_execz .LBB241_26
; %bb.25:                               ;   in Loop: Header=BB241_20 Depth=1
	v_div_scale_f64 v[18:19], s[16:17], v[4:5], v[4:5], v[6:7]
	v_rcp_f64_e32 v[20:21], v[18:19]
	v_div_scale_f64 v[22:23], vcc, v[6:7], v[4:5], v[6:7]
	v_fma_f64 v[24:25], -v[18:19], v[20:21], 1.0
	v_fmac_f64_e32 v[20:21], v[20:21], v[24:25]
	v_fma_f64 v[24:25], -v[18:19], v[20:21], 1.0
	v_fmac_f64_e32 v[20:21], v[20:21], v[24:25]
	v_mul_f64 v[24:25], v[22:23], v[20:21]
	v_fma_f64 v[18:19], -v[18:19], v[24:25], v[22:23]
	v_div_fmas_f64 v[18:19], v[18:19], v[20:21], v[24:25]
	v_div_fixup_f64 v[18:19], v[18:19], v[4:5], v[6:7]
	v_fmac_f64_e32 v[4:5], v[6:7], v[18:19]
	v_div_scale_f64 v[6:7], s[16:17], v[4:5], v[4:5], 1.0
	v_rcp_f64_e32 v[20:21], v[6:7]
	v_fma_f64 v[22:23], -v[6:7], v[20:21], 1.0
	v_fmac_f64_e32 v[20:21], v[20:21], v[22:23]
	v_fma_f64 v[22:23], -v[6:7], v[20:21], 1.0
	v_fmac_f64_e32 v[20:21], v[20:21], v[22:23]
	v_div_scale_f64 v[22:23], vcc, 1.0, v[4:5], 1.0
	v_mul_f64 v[24:25], v[22:23], v[20:21]
	v_fma_f64 v[6:7], -v[6:7], v[24:25], v[22:23]
	s_nop 1
	v_div_fmas_f64 v[6:7], v[6:7], v[20:21], v[24:25]
	v_div_fixup_f64 v[4:5], v[6:7], v[4:5], 1.0
	v_mul_f64 v[6:7], v[18:19], -v[4:5]
.LBB241_26:                             ;   in Loop: Header=BB241_20 Depth=1
	s_or_b64 exec, exec, s[14:15]
.LBB241_27:                             ;   in Loop: Header=BB241_20 Depth=1
	s_waitcnt vmcnt(0) lgkmcnt(0)
	v_mul_f64 v[18:19], v[2:3], v[6:7]
	v_fma_f64 v[18:19], v[0:1], v[4:5], -v[18:19]
	v_mul_f64 v[0:1], v[0:1], v[6:7]
	v_fmac_f64_e32 v[0:1], v[2:3], v[4:5]
	ds_write2_b64 v16, v[18:19], v[0:1] offset1:1
	v_pk_mov_b32 v[2:3], v[0:1], v[0:1] op_sel:[0,1]
	v_pk_mov_b32 v[0:1], v[18:19], v[18:19] op_sel:[0,1]
.LBB241_28:                             ;   in Loop: Header=BB241_20 Depth=1
	s_or_b64 exec, exec, s[12:13]
	v_cmp_lt_u64_e32 vcc, s[8:9], v[8:9]
	s_waitcnt lgkmcnt(0)
	s_barrier
	s_and_saveexec_b64 s[12:13], vcc
	s_cbranch_execz .LBB241_19
; %bb.29:                               ;   in Loop: Header=BB241_20 Depth=1
	flat_load_dwordx4 v[4:7], v[14:15]
	ds_read2_b64 v[18:21], v16 offset1:1
	s_waitcnt vmcnt(0) lgkmcnt(0)
	v_xor_b32_e32 v17, 0x80000000, v7
	v_cndmask_b32_e64 v7, v7, v17, s[0:1]
	v_mul_f64 v[22:23], v[4:5], v[20:21]
	v_mul_f64 v[20:21], v[6:7], v[20:21]
	v_fmac_f64_e32 v[22:23], v[6:7], v[18:19]
	v_fma_f64 v[4:5], v[4:5], v[18:19], -v[20:21]
	v_add_f64 v[0:1], v[0:1], -v[4:5]
	v_add_f64 v[2:3], v[2:3], -v[22:23]
	s_branch .LBB241_19
.LBB241_30:
	v_cmp_eq_u64_e32 vcc, s[6:7], v[8:9]
	s_and_saveexec_b64 s[0:1], vcc
	s_cbranch_execz .LBB241_38
; %bb.31:
	v_mad_u64_u32 v[4:5], s[4:5], v8, s24, v[8:9]
	v_mov_b32_e32 v6, v5
	v_mad_u64_u32 v[6:7], s[4:5], v8, s25, v[6:7]
	v_mov_b32_e32 v5, v6
	v_lshlrev_b64 v[4:5], 4, v[4:5]
	v_mov_b32_e32 v6, s11
	v_add_co_u32_e32 v4, vcc, s10, v4
	v_addc_co_u32_e32 v5, vcc, v6, v5, vcc
	flat_load_dwordx4 v[4:7], v[4:5]
	s_andn2_b64 vcc, exec, s[2:3]
	s_cbranch_vccnz .LBB241_37
; %bb.32:
	s_waitcnt vmcnt(0) lgkmcnt(0)
	v_xor_b32_e32 v8, 0x80000000, v5
	v_cmp_gt_f64_e32 vcc, 0, v[4:5]
	v_cndmask_b32_e32 v9, v5, v8, vcc
	v_cndmask_b32_e32 v8, v4, v4, vcc
	v_xor_b32_e32 v12, 0x80000000, v7
	v_cmp_gt_f64_e32 vcc, 0, v[6:7]
	v_cndmask_b32_e32 v13, v7, v12, vcc
	v_cndmask_b32_e32 v12, v6, v6, vcc
	v_cmp_ngt_f64_e32 vcc, v[8:9], v[12:13]
	s_and_saveexec_b64 s[2:3], vcc
	s_xor_b64 s[2:3], exec, s[2:3]
	s_cbranch_execz .LBB241_34
; %bb.33:
	v_div_scale_f64 v[8:9], s[4:5], v[6:7], v[6:7], v[4:5]
	v_rcp_f64_e32 v[12:13], v[8:9]
	v_div_scale_f64 v[14:15], vcc, v[4:5], v[6:7], v[4:5]
	v_fma_f64 v[16:17], -v[8:9], v[12:13], 1.0
	v_fmac_f64_e32 v[12:13], v[12:13], v[16:17]
	v_fma_f64 v[16:17], -v[8:9], v[12:13], 1.0
	v_fmac_f64_e32 v[12:13], v[12:13], v[16:17]
	v_mul_f64 v[16:17], v[14:15], v[12:13]
	v_fma_f64 v[8:9], -v[8:9], v[16:17], v[14:15]
	v_div_fmas_f64 v[8:9], v[8:9], v[12:13], v[16:17]
	v_div_fixup_f64 v[8:9], v[8:9], v[6:7], v[4:5]
	v_fmac_f64_e32 v[6:7], v[4:5], v[8:9]
	v_div_scale_f64 v[4:5], s[4:5], v[6:7], v[6:7], 1.0
	v_rcp_f64_e32 v[12:13], v[4:5]
	v_fma_f64 v[14:15], -v[4:5], v[12:13], 1.0
	v_fmac_f64_e32 v[12:13], v[12:13], v[14:15]
	v_fma_f64 v[14:15], -v[4:5], v[12:13], 1.0
	v_fmac_f64_e32 v[12:13], v[12:13], v[14:15]
	v_div_scale_f64 v[14:15], vcc, 1.0, v[6:7], 1.0
	v_mul_f64 v[16:17], v[14:15], v[12:13]
	v_fma_f64 v[4:5], -v[4:5], v[16:17], v[14:15]
	s_nop 1
	v_div_fmas_f64 v[4:5], v[4:5], v[12:13], v[16:17]
	v_div_fixup_f64 v[6:7], v[4:5], v[6:7], 1.0
	v_mul_f64 v[4:5], v[8:9], v[6:7]
	v_xor_b32_e32 v7, 0x80000000, v7
.LBB241_34:
	s_andn2_saveexec_b64 s[2:3], s[2:3]
	s_cbranch_execz .LBB241_36
; %bb.35:
	v_div_scale_f64 v[8:9], s[4:5], v[4:5], v[4:5], v[6:7]
	v_rcp_f64_e32 v[12:13], v[8:9]
	v_div_scale_f64 v[14:15], vcc, v[6:7], v[4:5], v[6:7]
	v_fma_f64 v[16:17], -v[8:9], v[12:13], 1.0
	v_fmac_f64_e32 v[12:13], v[12:13], v[16:17]
	v_fma_f64 v[16:17], -v[8:9], v[12:13], 1.0
	v_fmac_f64_e32 v[12:13], v[12:13], v[16:17]
	v_mul_f64 v[16:17], v[14:15], v[12:13]
	v_fma_f64 v[8:9], -v[8:9], v[16:17], v[14:15]
	v_div_fmas_f64 v[8:9], v[8:9], v[12:13], v[16:17]
	v_div_fixup_f64 v[8:9], v[8:9], v[4:5], v[6:7]
	v_fmac_f64_e32 v[4:5], v[6:7], v[8:9]
	v_div_scale_f64 v[6:7], s[4:5], v[4:5], v[4:5], 1.0
	v_rcp_f64_e32 v[12:13], v[6:7]
	v_fma_f64 v[14:15], -v[6:7], v[12:13], 1.0
	v_fmac_f64_e32 v[12:13], v[12:13], v[14:15]
	v_fma_f64 v[14:15], -v[6:7], v[12:13], 1.0
	v_fmac_f64_e32 v[12:13], v[12:13], v[14:15]
	v_div_scale_f64 v[14:15], vcc, 1.0, v[4:5], 1.0
	v_mul_f64 v[16:17], v[14:15], v[12:13]
	v_fma_f64 v[6:7], -v[6:7], v[16:17], v[14:15]
	s_nop 1
	v_div_fmas_f64 v[6:7], v[6:7], v[12:13], v[16:17]
	v_div_fixup_f64 v[4:5], v[6:7], v[4:5], 1.0
	v_mul_f64 v[6:7], v[8:9], -v[4:5]
.LBB241_36:
	s_or_b64 exec, exec, s[2:3]
.LBB241_37:
	s_waitcnt vmcnt(0) lgkmcnt(0)
	v_mul_f64 v[8:9], v[2:3], v[6:7]
	v_fma_f64 v[8:9], v[0:1], v[4:5], -v[8:9]
	v_mul_f64 v[2:3], v[2:3], v[4:5]
	v_fmac_f64_e32 v[2:3], v[0:1], v[6:7]
	v_pk_mov_b32 v[0:1], v[8:9], v[8:9] op_sel:[0,1]
.LBB241_38:
	s_or_b64 exec, exec, s[0:1]
	global_store_dwordx4 v[10:11], v[0:3], off
.LBB241_39:
	s_endpgm
	.section	.rodata,"a",@progbits
	.p2align	6, 0x0
	.amdhsa_kernel _ZL39rocblas_trsm_block_forward_substitutionI19rocblas_complex_numIdES1_PKS1_PS1_Lb0ELb0ELb0EEv18rocblas_operation_llT0_T1_lllT2_lllib
		.amdhsa_group_segment_fixed_size 0
		.amdhsa_private_segment_fixed_size 0
		.amdhsa_kernarg_size 368
		.amdhsa_user_sgpr_count 6
		.amdhsa_user_sgpr_private_segment_buffer 1
		.amdhsa_user_sgpr_dispatch_ptr 0
		.amdhsa_user_sgpr_queue_ptr 0
		.amdhsa_user_sgpr_kernarg_segment_ptr 1
		.amdhsa_user_sgpr_dispatch_id 0
		.amdhsa_user_sgpr_flat_scratch_init 0
		.amdhsa_user_sgpr_kernarg_preload_length 0
		.amdhsa_user_sgpr_kernarg_preload_offset 0
		.amdhsa_user_sgpr_private_segment_size 0
		.amdhsa_uses_dynamic_stack 0
		.amdhsa_system_sgpr_private_segment_wavefront_offset 0
		.amdhsa_system_sgpr_workgroup_id_x 1
		.amdhsa_system_sgpr_workgroup_id_y 1
		.amdhsa_system_sgpr_workgroup_id_z 1
		.amdhsa_system_sgpr_workgroup_info 0
		.amdhsa_system_vgpr_workitem_id 1
		.amdhsa_next_free_vgpr 26
		.amdhsa_next_free_sgpr 44
		.amdhsa_accum_offset 28
		.amdhsa_reserve_vcc 1
		.amdhsa_reserve_flat_scratch 0
		.amdhsa_float_round_mode_32 0
		.amdhsa_float_round_mode_16_64 0
		.amdhsa_float_denorm_mode_32 3
		.amdhsa_float_denorm_mode_16_64 3
		.amdhsa_dx10_clamp 1
		.amdhsa_ieee_mode 1
		.amdhsa_fp16_overflow 0
		.amdhsa_tg_split 0
		.amdhsa_exception_fp_ieee_invalid_op 0
		.amdhsa_exception_fp_denorm_src 0
		.amdhsa_exception_fp_ieee_div_zero 0
		.amdhsa_exception_fp_ieee_overflow 0
		.amdhsa_exception_fp_ieee_underflow 0
		.amdhsa_exception_fp_ieee_inexact 0
		.amdhsa_exception_int_div_zero 0
	.end_amdhsa_kernel
	.section	.text._ZL39rocblas_trsm_block_forward_substitutionI19rocblas_complex_numIdES1_PKS1_PS1_Lb0ELb0ELb0EEv18rocblas_operation_llT0_T1_lllT2_lllib,"axG",@progbits,_ZL39rocblas_trsm_block_forward_substitutionI19rocblas_complex_numIdES1_PKS1_PS1_Lb0ELb0ELb0EEv18rocblas_operation_llT0_T1_lllT2_lllib,comdat
.Lfunc_end241:
	.size	_ZL39rocblas_trsm_block_forward_substitutionI19rocblas_complex_numIdES1_PKS1_PS1_Lb0ELb0ELb0EEv18rocblas_operation_llT0_T1_lllT2_lllib, .Lfunc_end241-_ZL39rocblas_trsm_block_forward_substitutionI19rocblas_complex_numIdES1_PKS1_PS1_Lb0ELb0ELb0EEv18rocblas_operation_llT0_T1_lllT2_lllib
                                        ; -- End function
	.section	.AMDGPU.csdata,"",@progbits
; Kernel info:
; codeLenInByte = 2428
; NumSgprs: 48
; NumVgprs: 26
; NumAgprs: 0
; TotalNumVgprs: 26
; ScratchSize: 0
; MemoryBound: 1
; FloatMode: 240
; IeeeMode: 1
; LDSByteSize: 0 bytes/workgroup (compile time only)
; SGPRBlocks: 5
; VGPRBlocks: 3
; NumSGPRsForWavesPerEU: 48
; NumVGPRsForWavesPerEU: 26
; AccumOffset: 28
; Occupancy: 8
; WaveLimiterHint : 1
; COMPUTE_PGM_RSRC2:SCRATCH_EN: 0
; COMPUTE_PGM_RSRC2:USER_SGPR: 6
; COMPUTE_PGM_RSRC2:TRAP_HANDLER: 0
; COMPUTE_PGM_RSRC2:TGID_X_EN: 1
; COMPUTE_PGM_RSRC2:TGID_Y_EN: 1
; COMPUTE_PGM_RSRC2:TGID_Z_EN: 1
; COMPUTE_PGM_RSRC2:TIDIG_COMP_CNT: 1
; COMPUTE_PGM_RSRC3_GFX90A:ACCUM_OFFSET: 6
; COMPUTE_PGM_RSRC3_GFX90A:TG_SPLIT: 0
	.section	.text._ZL40rocblas_trsm_block_backward_substitutionI19rocblas_complex_numIdES1_PKS1_PS1_Lb0ELb0ELb0EEv18rocblas_operation_llT0_T1_lllT2_lllib,"axG",@progbits,_ZL40rocblas_trsm_block_backward_substitutionI19rocblas_complex_numIdES1_PKS1_PS1_Lb0ELb0ELb0EEv18rocblas_operation_llT0_T1_lllT2_lllib,comdat
	.globl	_ZL40rocblas_trsm_block_backward_substitutionI19rocblas_complex_numIdES1_PKS1_PS1_Lb0ELb0ELb0EEv18rocblas_operation_llT0_T1_lllT2_lllib ; -- Begin function _ZL40rocblas_trsm_block_backward_substitutionI19rocblas_complex_numIdES1_PKS1_PS1_Lb0ELb0ELb0EEv18rocblas_operation_llT0_T1_lllT2_lllib
	.p2align	8
	.type	_ZL40rocblas_trsm_block_backward_substitutionI19rocblas_complex_numIdES1_PKS1_PS1_Lb0ELb0ELb0EEv18rocblas_operation_llT0_T1_lllT2_lllib,@function
_ZL40rocblas_trsm_block_backward_substitutionI19rocblas_complex_numIdES1_PKS1_PS1_Lb0ELb0ELb0EEv18rocblas_operation_llT0_T1_lllT2_lllib: ; @_ZL40rocblas_trsm_block_backward_substitutionI19rocblas_complex_numIdES1_PKS1_PS1_Lb0ELb0ELb0EEv18rocblas_operation_llT0_T1_lllT2_lllib
; %bb.0:
	s_load_dwordx16 s[12:27], s[4:5], 0x8
	s_load_dword s0, s[4:5], 0x6c
	s_load_dword s6, s[4:5], 0x7c
	v_and_b32_e32 v8, 0x3ff, v0
	v_bfe_u32 v16, v0, 10, 10
	s_waitcnt lgkmcnt(0)
	s_bitcmp1_b32 s0, 0
	s_cselect_b64 s[0:1], -1, 0
	s_xor_b64 s[10:11], s[0:1], -1
	s_mul_i32 s0, s8, s27
	s_mul_hi_u32 s1, s8, s26
	s_add_i32 s1, s1, s0
	s_mul_i32 s0, s8, s26
	s_lshl_b64 s[0:1], s[0:1], 4
	s_add_u32 s2, s20, s0
	s_addc_u32 s3, s21, s1
	s_lshl_b64 s[0:1], s[22:23], 4
	s_add_u32 s2, s2, s0
	s_addc_u32 s3, s3, s1
	s_add_u32 s22, s4, 0x70
	s_addc_u32 s23, s5, 0
	s_lshr_b32 s6, s6, 16
	s_mov_b64 s[20:21], 1
	s_and_b64 vcc, exec, s[10:11]
	s_cbranch_vccnz .LBB242_15
; %bb.1:
	s_lshl_b32 s0, s6, 4
	s_add_i32 s26, s0, 0
	v_cmp_lt_i64_e64 s[0:1], s[12:13], 1
	s_mov_b64 s[28:29], 1
	s_and_b64 vcc, exec, s[0:1]
	s_cbranch_vccnz .LBB242_16
; %bb.2:
	v_mad_u64_u32 v[0:1], s[30:31], v8, s24, 0
	v_mov_b32_e32 v2, v1
	v_mad_u64_u32 v[2:3], s[24:25], v8, s25, v[2:3]
	v_mov_b32_e32 v1, v2
	v_mov_b32_e32 v9, 0
	v_lshlrev_b64 v[0:1], 4, v[0:1]
	v_cmp_le_u64_e64 s[20:21], s[12:13], v[8:9]
	v_cmp_gt_u64_e64 s[0:1], s[12:13], v[8:9]
	v_mov_b32_e32 v2, s3
	v_add_co_u32_e32 v9, vcc, s2, v0
	v_lshlrev_b32_e32 v4, 4, v8
	v_addc_co_u32_e32 v18, vcc, v2, v1, vcc
	v_add_co_u32_e32 v10, vcc, v9, v4
	v_add_u32_e32 v17, s26, v4
	v_addc_co_u32_e32 v11, vcc, 0, v18, vcc
	s_xor_b64 s[24:25], s[20:21], -1
	s_mov_b32 s30, s6
	v_mov_b32_e32 v12, v16
	s_branch .LBB242_5
.LBB242_3:                              ;   in Loop: Header=BB242_5 Depth=1
	s_or_b64 exec, exec, s[34:35]
	s_load_dword s9, s[22:23], 0xc
	s_waitcnt lgkmcnt(0)
	s_and_b32 s9, s9, 0xffff
	v_mul_u32_u24_e32 v0, s9, v8
	v_lshl_add_u32 v0, v0, 4, v17
	ds_write2_b64 v0, v[14:15], v[6:7] offset1:1
.LBB242_4:                              ;   in Loop: Header=BB242_5 Depth=1
	s_or_b64 exec, exec, s[2:3]
	s_ashr_i32 s31, s30, 31
	v_pk_mov_b32 v[0:1], s[12:13], s[12:13] op_sel:[0,1]
	v_cmp_ge_i64_e32 vcc, s[30:31], v[0:1]
	v_add_u32_e32 v12, s6, v12
	s_add_i32 s30, s30, s6
	s_cbranch_vccnz .LBB242_16
.LBB242_5:                              ; =>This Inner Loop Header: Depth=1
	s_mov_b64 s[36:37], s[20:21]
	s_and_saveexec_b64 s[34:35], s[0:1]
	s_cbranch_execz .LBB242_9
; %bb.6:                                ;   in Loop: Header=BB242_5 Depth=1
	v_ashrrev_i32_e32 v13, 31, v12
	v_cmp_gt_i64_e32 vcc, s[12:13], v[12:13]
	v_cmp_lt_i32_e64 s[2:3], v8, v12
	s_and_b64 s[38:39], s[2:3], vcc
	s_mov_b64 s[36:37], -1
	s_and_saveexec_b64 s[2:3], s[38:39]
	s_cbranch_execz .LBB242_8
; %bb.7:                                ;   in Loop: Header=BB242_5 Depth=1
	v_lshlrev_b64 v[0:1], 4, v[12:13]
	v_add_co_u32_e32 v0, vcc, v9, v0
	v_addc_co_u32_e32 v1, vcc, v18, v1, vcc
	global_load_dwordx4 v[0:3], v[0:1], off
	s_load_dword s9, s[22:23], 0xc
	s_xor_b64 s[36:37], exec, -1
	s_waitcnt lgkmcnt(0)
	s_and_b32 s9, s9, 0xffff
	v_mul_lo_u32 v4, v12, s9
	v_lshl_add_u32 v4, v4, 4, v17
	s_waitcnt vmcnt(0)
	ds_write2_b64 v4, v[0:1], v[2:3] offset1:1
.LBB242_8:                              ;   in Loop: Header=BB242_5 Depth=1
	s_or_b64 exec, exec, s[2:3]
	s_andn2_b64 s[2:3], s[20:21], exec
	s_and_b64 s[36:37], s[36:37], exec
	s_or_b64 s[36:37], s[2:3], s[36:37]
.LBB242_9:                              ;   in Loop: Header=BB242_5 Depth=1
	s_or_b64 exec, exec, s[34:35]
	s_and_saveexec_b64 s[2:3], s[36:37]
	s_cbranch_execz .LBB242_4
; %bb.10:                               ;   in Loop: Header=BB242_5 Depth=1
	v_cmp_eq_u32_e32 vcc, v8, v12
	s_and_b64 s[34:35], s[24:25], vcc
	s_and_b64 exec, exec, s[34:35]
	s_cbranch_execz .LBB242_4
; %bb.11:                               ;   in Loop: Header=BB242_5 Depth=1
	global_load_dwordx4 v[0:3], v[10:11], off
                                        ; implicit-def: $vgpr14_vgpr15
	s_waitcnt vmcnt(0)
	v_xor_b32_e32 v5, 0x80000000, v1
	v_cmp_gt_f64_e32 vcc, 0, v[0:1]
	v_xor_b32_e32 v6, 0x80000000, v3
	v_cndmask_b32_e32 v5, v1, v5, vcc
	v_cmp_gt_f64_e32 vcc, 0, v[2:3]
	v_mov_b32_e32 v4, v0
	v_cndmask_b32_e32 v7, v3, v6, vcc
	v_mov_b32_e32 v6, v2
	v_cmp_ngt_f64_e32 vcc, v[4:5], v[6:7]
	s_and_saveexec_b64 s[34:35], vcc
	s_xor_b64 s[34:35], exec, s[34:35]
                                        ; implicit-def: $vgpr4_vgpr5_vgpr6_vgpr7
	s_cbranch_execz .LBB242_13
; %bb.12:                               ;   in Loop: Header=BB242_5 Depth=1
	v_div_scale_f64 v[4:5], s[36:37], v[2:3], v[2:3], v[0:1]
	v_rcp_f64_e32 v[6:7], v[4:5]
	v_div_scale_f64 v[14:15], vcc, v[0:1], v[2:3], v[0:1]
	v_fma_f64 v[20:21], -v[4:5], v[6:7], 1.0
	v_fmac_f64_e32 v[6:7], v[6:7], v[20:21]
	v_fma_f64 v[20:21], -v[4:5], v[6:7], 1.0
	v_fmac_f64_e32 v[6:7], v[6:7], v[20:21]
	v_mul_f64 v[20:21], v[14:15], v[6:7]
	v_fma_f64 v[4:5], -v[4:5], v[20:21], v[14:15]
	v_div_fmas_f64 v[4:5], v[4:5], v[6:7], v[20:21]
	v_div_fixup_f64 v[4:5], v[4:5], v[2:3], v[0:1]
	v_fmac_f64_e32 v[2:3], v[0:1], v[4:5]
	v_div_scale_f64 v[0:1], s[36:37], v[2:3], v[2:3], 1.0
	v_rcp_f64_e32 v[6:7], v[0:1]
	v_fma_f64 v[14:15], -v[0:1], v[6:7], 1.0
	v_fmac_f64_e32 v[6:7], v[6:7], v[14:15]
	v_fma_f64 v[14:15], -v[0:1], v[6:7], 1.0
	v_fmac_f64_e32 v[6:7], v[6:7], v[14:15]
	v_div_scale_f64 v[14:15], vcc, 1.0, v[2:3], 1.0
	v_mul_f64 v[20:21], v[14:15], v[6:7]
	v_fma_f64 v[0:1], -v[0:1], v[20:21], v[14:15]
	s_nop 1
	v_div_fmas_f64 v[0:1], v[0:1], v[6:7], v[20:21]
	v_div_fixup_f64 v[6:7], v[0:1], v[2:3], 1.0
	v_mul_f64 v[14:15], v[4:5], v[6:7]
	v_xor_b32_e32 v7, 0x80000000, v7
                                        ; implicit-def: $vgpr0_vgpr1
.LBB242_13:                             ;   in Loop: Header=BB242_5 Depth=1
	s_andn2_saveexec_b64 s[34:35], s[34:35]
	s_cbranch_execz .LBB242_3
; %bb.14:                               ;   in Loop: Header=BB242_5 Depth=1
	v_div_scale_f64 v[4:5], s[36:37], v[0:1], v[0:1], v[2:3]
	v_rcp_f64_e32 v[6:7], v[4:5]
	v_div_scale_f64 v[14:15], vcc, v[2:3], v[0:1], v[2:3]
	v_fma_f64 v[20:21], -v[4:5], v[6:7], 1.0
	v_fmac_f64_e32 v[6:7], v[6:7], v[20:21]
	v_fma_f64 v[20:21], -v[4:5], v[6:7], 1.0
	v_fmac_f64_e32 v[6:7], v[6:7], v[20:21]
	v_mul_f64 v[20:21], v[14:15], v[6:7]
	v_fma_f64 v[4:5], -v[4:5], v[20:21], v[14:15]
	v_div_fmas_f64 v[4:5], v[4:5], v[6:7], v[20:21]
	v_div_fixup_f64 v[4:5], v[4:5], v[0:1], v[2:3]
	v_fmac_f64_e32 v[0:1], v[2:3], v[4:5]
	v_div_scale_f64 v[2:3], s[36:37], v[0:1], v[0:1], 1.0
	v_rcp_f64_e32 v[6:7], v[2:3]
	v_fma_f64 v[14:15], -v[2:3], v[6:7], 1.0
	v_fmac_f64_e32 v[6:7], v[6:7], v[14:15]
	v_fma_f64 v[14:15], -v[2:3], v[6:7], 1.0
	v_fmac_f64_e32 v[6:7], v[6:7], v[14:15]
	v_div_scale_f64 v[14:15], vcc, 1.0, v[0:1], 1.0
	v_mul_f64 v[20:21], v[14:15], v[6:7]
	v_fma_f64 v[2:3], -v[2:3], v[20:21], v[14:15]
	s_nop 1
	v_div_fmas_f64 v[2:3], v[2:3], v[6:7], v[20:21]
	v_div_fixup_f64 v[14:15], v[2:3], v[0:1], 1.0
	v_mul_f64 v[6:7], v[4:5], -v[14:15]
	s_branch .LBB242_3
.LBB242_15:
	s_mov_b32 s28, s24
	s_mov_b32 s29, s25
	s_branch .LBB242_17
.LBB242_16:
	s_load_dword s2, s[22:23], 0xc
	s_mov_b64 s[0:1], src_shared_base
	s_mov_b32 s27, s1
	s_mov_b32 s21, 0
	s_waitcnt lgkmcnt(0)
	s_and_b32 s20, s2, 0xffff
	s_mov_b64 s[2:3], s[26:27]
.LBB242_17:
	s_mul_i32 s7, s7, s6
	v_add_u32_e32 v0, s7, v16
	v_mov_b32_e32 v1, 0
	v_cmp_gt_i64_e32 vcc, s[14:15], v[0:1]
	s_and_saveexec_b64 s[0:1], vcc
	s_cbranch_execz .LBB242_42
; %bb.18:
	v_mov_b32_e32 v9, v1
	v_cmp_gt_i64_e32 vcc, s[12:13], v[8:9]
	s_and_b64 exec, exec, vcc
	s_cbranch_execz .LBB242_42
; %bb.19:
	s_load_dwordx8 s[36:43], s[4:5], 0x48
	v_lshlrev_b64 v[0:1], 4, v[0:1]
	s_waitcnt lgkmcnt(0)
	s_mul_i32 s1, s8, s43
	s_mul_hi_u32 s6, s8, s42
	s_mul_i32 s0, s8, s42
	s_add_i32 s1, s6, s1
	s_lshl_b64 s[0:1], s[0:1], 4
	s_add_u32 s6, s36, s0
	s_addc_u32 s7, s37, s1
	s_lshl_b64 s[0:1], s[38:39], 4
	s_add_u32 s6, s6, s0
	s_addc_u32 s7, s7, s1
	v_mad_u64_u32 v[2:3], s[0:1], v8, s40, 0
	v_mov_b32_e32 v4, v3
	v_mad_u64_u32 v[4:5], s[0:1], v8, s41, v[4:5]
	v_mov_b32_e32 v3, v4
	v_lshlrev_b64 v[2:3], 4, v[2:3]
	v_mov_b32_e32 v4, s7
	v_add_co_u32_e32 v2, vcc, s6, v2
	v_addc_co_u32_e32 v3, vcc, v4, v3, vcc
	v_add_co_u32_e32 v10, vcc, v2, v0
	v_addc_co_u32_e32 v11, vcc, v3, v1, vcc
	global_load_dwordx4 v[4:7], v[10:11], off
	v_cmp_lt_u64_e64 s[0:1], s[12:13], 2
	s_and_b64 vcc, exec, s[0:1]
	s_waitcnt vmcnt(0)
	v_mul_f64 v[0:1], s[18:19], v[6:7]
	v_mul_f64 v[2:3], s[16:17], v[6:7]
	v_fma_f64 v[0:1], s[16:17], v[4:5], -v[0:1]
	v_fmac_f64_e32 v[2:3], s[18:19], v[4:5]
	s_cbranch_vccnz .LBB242_33
; %bb.20:
	s_load_dword s0, s[4:5], 0x0
	v_lshl_add_u32 v16, v16, 4, 0
	s_waitcnt lgkmcnt(0)
	s_cmpk_eq_i32 s0, 0x71
	s_cselect_b64 s[0:1], -1, 0
	s_add_u32 s4, s20, s28
	v_mad_u64_u32 v[4:5], s[4:5], s4, v8, 0
	s_addc_u32 s6, s21, s29
	v_mov_b32_e32 v6, v5
	v_mad_u64_u32 v[6:7], s[4:5], s6, v8, v[6:7]
	v_mov_b32_e32 v5, v6
	v_lshlrev_b64 v[4:5], 4, v[4:5]
	v_mov_b32_e32 v6, s3
	v_add_co_u32_e32 v12, vcc, s2, v4
	v_addc_co_u32_e32 v13, vcc, v6, v5, vcc
	v_mad_u64_u32 v[4:5], s[4:5], s28, v8, 0
	v_mov_b32_e32 v6, v5
	v_mad_u64_u32 v[6:7], s[4:5], s29, v8, v[6:7]
	s_add_u32 s4, s12, -1
	s_addc_u32 s5, s13, -1
	s_mul_i32 s6, s20, s5
	s_mul_hi_u32 s7, s20, s4
	s_add_i32 s7, s7, s6
	s_mul_i32 s6, s20, s4
	v_mov_b32_e32 v5, v6
	s_lshl_b64 s[6:7], s[6:7], 4
	v_lshlrev_b64 v[4:5], 4, v[4:5]
	s_add_u32 s6, s2, s6
	s_addc_u32 s7, s3, s7
	v_add_co_u32_e32 v14, vcc, s6, v4
	s_lshl_b32 s6, s20, 4
	v_mov_b32_e32 v6, s7
	s_sub_u32 s12, 0, s6
	v_addc_co_u32_e32 v15, vcc, v6, v5, vcc
	s_subb_u32 s13, 0, 0
.LBB242_21:                             ; =>This Inner Loop Header: Depth=1
	v_cmp_eq_u64_e32 vcc, s[4:5], v[8:9]
	s_barrier
	s_and_saveexec_b64 s[6:7], vcc
	s_cbranch_execz .LBB242_29
; %bb.22:                               ;   in Loop: Header=BB242_21 Depth=1
	flat_load_dwordx4 v[4:7], v[12:13]
	s_andn2_b64 vcc, exec, s[10:11]
	s_cbranch_vccnz .LBB242_28
; %bb.23:                               ;   in Loop: Header=BB242_21 Depth=1
	s_waitcnt vmcnt(0) lgkmcnt(0)
	v_xor_b32_e32 v17, 0x80000000, v5
	v_cmp_gt_f64_e32 vcc, 0, v[4:5]
	v_cndmask_b32_e32 v19, v5, v17, vcc
	v_cndmask_b32_e32 v18, v4, v4, vcc
	v_xor_b32_e32 v17, 0x80000000, v7
	v_cmp_gt_f64_e32 vcc, 0, v[6:7]
	v_cndmask_b32_e32 v21, v7, v17, vcc
	v_cndmask_b32_e32 v20, v6, v6, vcc
	v_cmp_ngt_f64_e32 vcc, v[18:19], v[20:21]
	s_and_saveexec_b64 s[8:9], vcc
	s_xor_b64 s[8:9], exec, s[8:9]
	s_cbranch_execz .LBB242_25
; %bb.24:                               ;   in Loop: Header=BB242_21 Depth=1
	v_div_scale_f64 v[18:19], s[14:15], v[6:7], v[6:7], v[4:5]
	v_rcp_f64_e32 v[20:21], v[18:19]
	v_div_scale_f64 v[22:23], vcc, v[4:5], v[6:7], v[4:5]
	v_fma_f64 v[24:25], -v[18:19], v[20:21], 1.0
	v_fmac_f64_e32 v[20:21], v[20:21], v[24:25]
	v_fma_f64 v[24:25], -v[18:19], v[20:21], 1.0
	v_fmac_f64_e32 v[20:21], v[20:21], v[24:25]
	v_mul_f64 v[24:25], v[22:23], v[20:21]
	v_fma_f64 v[18:19], -v[18:19], v[24:25], v[22:23]
	v_div_fmas_f64 v[18:19], v[18:19], v[20:21], v[24:25]
	v_div_fixup_f64 v[18:19], v[18:19], v[6:7], v[4:5]
	v_fmac_f64_e32 v[6:7], v[4:5], v[18:19]
	v_div_scale_f64 v[4:5], s[14:15], v[6:7], v[6:7], 1.0
	v_rcp_f64_e32 v[20:21], v[4:5]
	v_fma_f64 v[22:23], -v[4:5], v[20:21], 1.0
	v_fmac_f64_e32 v[20:21], v[20:21], v[22:23]
	v_fma_f64 v[22:23], -v[4:5], v[20:21], 1.0
	v_fmac_f64_e32 v[20:21], v[20:21], v[22:23]
	v_div_scale_f64 v[22:23], vcc, 1.0, v[6:7], 1.0
	v_mul_f64 v[24:25], v[22:23], v[20:21]
	v_fma_f64 v[4:5], -v[4:5], v[24:25], v[22:23]
	s_nop 1
	v_div_fmas_f64 v[4:5], v[4:5], v[20:21], v[24:25]
	v_div_fixup_f64 v[6:7], v[4:5], v[6:7], 1.0
	v_mul_f64 v[4:5], v[18:19], v[6:7]
	v_xor_b32_e32 v7, 0x80000000, v7
.LBB242_25:                             ;   in Loop: Header=BB242_21 Depth=1
	s_andn2_saveexec_b64 s[8:9], s[8:9]
	s_cbranch_execz .LBB242_27
; %bb.26:                               ;   in Loop: Header=BB242_21 Depth=1
	v_div_scale_f64 v[18:19], s[14:15], v[4:5], v[4:5], v[6:7]
	v_rcp_f64_e32 v[20:21], v[18:19]
	v_div_scale_f64 v[22:23], vcc, v[6:7], v[4:5], v[6:7]
	v_fma_f64 v[24:25], -v[18:19], v[20:21], 1.0
	v_fmac_f64_e32 v[20:21], v[20:21], v[24:25]
	v_fma_f64 v[24:25], -v[18:19], v[20:21], 1.0
	v_fmac_f64_e32 v[20:21], v[20:21], v[24:25]
	v_mul_f64 v[24:25], v[22:23], v[20:21]
	v_fma_f64 v[18:19], -v[18:19], v[24:25], v[22:23]
	v_div_fmas_f64 v[18:19], v[18:19], v[20:21], v[24:25]
	v_div_fixup_f64 v[18:19], v[18:19], v[4:5], v[6:7]
	v_fmac_f64_e32 v[4:5], v[6:7], v[18:19]
	v_div_scale_f64 v[6:7], s[14:15], v[4:5], v[4:5], 1.0
	v_rcp_f64_e32 v[20:21], v[6:7]
	v_fma_f64 v[22:23], -v[6:7], v[20:21], 1.0
	v_fmac_f64_e32 v[20:21], v[20:21], v[22:23]
	v_fma_f64 v[22:23], -v[6:7], v[20:21], 1.0
	v_fmac_f64_e32 v[20:21], v[20:21], v[22:23]
	v_div_scale_f64 v[22:23], vcc, 1.0, v[4:5], 1.0
	v_mul_f64 v[24:25], v[22:23], v[20:21]
	v_fma_f64 v[6:7], -v[6:7], v[24:25], v[22:23]
	s_nop 1
	v_div_fmas_f64 v[6:7], v[6:7], v[20:21], v[24:25]
	v_div_fixup_f64 v[4:5], v[6:7], v[4:5], 1.0
	v_mul_f64 v[6:7], v[18:19], -v[4:5]
.LBB242_27:                             ;   in Loop: Header=BB242_21 Depth=1
	s_or_b64 exec, exec, s[8:9]
.LBB242_28:                             ;   in Loop: Header=BB242_21 Depth=1
	s_waitcnt vmcnt(0) lgkmcnt(0)
	v_mul_f64 v[18:19], v[2:3], v[6:7]
	v_fma_f64 v[18:19], v[0:1], v[4:5], -v[18:19]
	v_mul_f64 v[0:1], v[0:1], v[6:7]
	v_fmac_f64_e32 v[0:1], v[2:3], v[4:5]
	ds_write2_b64 v16, v[18:19], v[0:1] offset1:1
	v_pk_mov_b32 v[2:3], v[0:1], v[0:1] op_sel:[0,1]
	v_pk_mov_b32 v[0:1], v[18:19], v[18:19] op_sel:[0,1]
.LBB242_29:                             ;   in Loop: Header=BB242_21 Depth=1
	s_or_b64 exec, exec, s[6:7]
	v_cmp_gt_i64_e32 vcc, s[4:5], v[8:9]
	s_waitcnt lgkmcnt(0)
	s_barrier
	s_and_saveexec_b64 s[6:7], vcc
	s_cbranch_execz .LBB242_31
; %bb.30:                               ;   in Loop: Header=BB242_21 Depth=1
	flat_load_dwordx4 v[4:7], v[14:15]
	ds_read2_b64 v[18:21], v16 offset1:1
	s_waitcnt vmcnt(0) lgkmcnt(0)
	v_xor_b32_e32 v17, 0x80000000, v7
	v_cndmask_b32_e64 v7, v7, v17, s[0:1]
	v_mul_f64 v[22:23], v[4:5], v[20:21]
	v_mul_f64 v[20:21], v[6:7], v[20:21]
	v_fmac_f64_e32 v[22:23], v[6:7], v[18:19]
	v_fma_f64 v[4:5], v[4:5], v[18:19], -v[20:21]
	v_add_f64 v[0:1], v[0:1], -v[4:5]
	v_add_f64 v[2:3], v[2:3], -v[22:23]
.LBB242_31:                             ;   in Loop: Header=BB242_21 Depth=1
	s_or_b64 exec, exec, s[6:7]
	s_add_u32 s6, s4, -1
	s_addc_u32 s7, s5, -1
	s_add_u32 s4, s4, 1
	s_addc_u32 s5, s5, 0
	v_mov_b32_e32 v4, s13
	v_add_co_u32_e32 v14, vcc, s12, v14
	v_addc_co_u32_e32 v15, vcc, v15, v4, vcc
	v_cmp_lt_u64_e64 s[4:5], s[4:5], 3
	s_and_b64 vcc, exec, s[4:5]
	s_cbranch_vccnz .LBB242_33
; %bb.32:                               ;   in Loop: Header=BB242_21 Depth=1
	s_mov_b64 s[4:5], s[6:7]
	s_branch .LBB242_21
.LBB242_33:
	v_cmp_eq_u32_e32 vcc, 0, v8
	s_and_saveexec_b64 s[0:1], vcc
	s_cbranch_execz .LBB242_41
; %bb.34:
	s_add_u32 s4, s20, s28
	v_mad_u64_u32 v[4:5], s[4:5], s4, v8, 0
	s_addc_u32 s6, s21, s29
	v_mov_b32_e32 v6, v5
	v_mad_u64_u32 v[6:7], s[4:5], s6, v8, v[6:7]
	v_mov_b32_e32 v5, v6
	v_lshlrev_b64 v[4:5], 4, v[4:5]
	v_mov_b32_e32 v6, s3
	v_add_co_u32_e32 v4, vcc, s2, v4
	v_addc_co_u32_e32 v5, vcc, v6, v5, vcc
	flat_load_dwordx4 v[4:7], v[4:5]
	s_andn2_b64 vcc, exec, s[10:11]
	s_cbranch_vccnz .LBB242_40
; %bb.35:
	s_waitcnt vmcnt(0) lgkmcnt(0)
	v_xor_b32_e32 v8, 0x80000000, v5
	v_cmp_gt_f64_e32 vcc, 0, v[4:5]
	v_cndmask_b32_e32 v9, v5, v8, vcc
	v_cndmask_b32_e32 v8, v4, v4, vcc
	v_xor_b32_e32 v12, 0x80000000, v7
	v_cmp_gt_f64_e32 vcc, 0, v[6:7]
	v_cndmask_b32_e32 v13, v7, v12, vcc
	v_cndmask_b32_e32 v12, v6, v6, vcc
	v_cmp_ngt_f64_e32 vcc, v[8:9], v[12:13]
	s_and_saveexec_b64 s[2:3], vcc
	s_xor_b64 s[2:3], exec, s[2:3]
	s_cbranch_execz .LBB242_37
; %bb.36:
	v_div_scale_f64 v[8:9], s[4:5], v[6:7], v[6:7], v[4:5]
	v_rcp_f64_e32 v[12:13], v[8:9]
	v_div_scale_f64 v[14:15], vcc, v[4:5], v[6:7], v[4:5]
	v_fma_f64 v[16:17], -v[8:9], v[12:13], 1.0
	v_fmac_f64_e32 v[12:13], v[12:13], v[16:17]
	v_fma_f64 v[16:17], -v[8:9], v[12:13], 1.0
	v_fmac_f64_e32 v[12:13], v[12:13], v[16:17]
	v_mul_f64 v[16:17], v[14:15], v[12:13]
	v_fma_f64 v[8:9], -v[8:9], v[16:17], v[14:15]
	v_div_fmas_f64 v[8:9], v[8:9], v[12:13], v[16:17]
	v_div_fixup_f64 v[8:9], v[8:9], v[6:7], v[4:5]
	v_fmac_f64_e32 v[6:7], v[4:5], v[8:9]
	v_div_scale_f64 v[4:5], s[4:5], v[6:7], v[6:7], 1.0
	v_rcp_f64_e32 v[12:13], v[4:5]
	v_fma_f64 v[14:15], -v[4:5], v[12:13], 1.0
	v_fmac_f64_e32 v[12:13], v[12:13], v[14:15]
	v_fma_f64 v[14:15], -v[4:5], v[12:13], 1.0
	v_fmac_f64_e32 v[12:13], v[12:13], v[14:15]
	v_div_scale_f64 v[14:15], vcc, 1.0, v[6:7], 1.0
	v_mul_f64 v[16:17], v[14:15], v[12:13]
	v_fma_f64 v[4:5], -v[4:5], v[16:17], v[14:15]
	s_nop 1
	v_div_fmas_f64 v[4:5], v[4:5], v[12:13], v[16:17]
	v_div_fixup_f64 v[6:7], v[4:5], v[6:7], 1.0
	v_mul_f64 v[4:5], v[8:9], v[6:7]
	v_xor_b32_e32 v7, 0x80000000, v7
.LBB242_37:
	s_andn2_saveexec_b64 s[2:3], s[2:3]
	s_cbranch_execz .LBB242_39
; %bb.38:
	v_div_scale_f64 v[8:9], s[4:5], v[4:5], v[4:5], v[6:7]
	v_rcp_f64_e32 v[12:13], v[8:9]
	v_div_scale_f64 v[14:15], vcc, v[6:7], v[4:5], v[6:7]
	v_fma_f64 v[16:17], -v[8:9], v[12:13], 1.0
	v_fmac_f64_e32 v[12:13], v[12:13], v[16:17]
	v_fma_f64 v[16:17], -v[8:9], v[12:13], 1.0
	v_fmac_f64_e32 v[12:13], v[12:13], v[16:17]
	v_mul_f64 v[16:17], v[14:15], v[12:13]
	v_fma_f64 v[8:9], -v[8:9], v[16:17], v[14:15]
	v_div_fmas_f64 v[8:9], v[8:9], v[12:13], v[16:17]
	v_div_fixup_f64 v[8:9], v[8:9], v[4:5], v[6:7]
	v_fmac_f64_e32 v[4:5], v[6:7], v[8:9]
	v_div_scale_f64 v[6:7], s[4:5], v[4:5], v[4:5], 1.0
	v_rcp_f64_e32 v[12:13], v[6:7]
	v_fma_f64 v[14:15], -v[6:7], v[12:13], 1.0
	v_fmac_f64_e32 v[12:13], v[12:13], v[14:15]
	v_fma_f64 v[14:15], -v[6:7], v[12:13], 1.0
	v_fmac_f64_e32 v[12:13], v[12:13], v[14:15]
	v_div_scale_f64 v[14:15], vcc, 1.0, v[4:5], 1.0
	v_mul_f64 v[16:17], v[14:15], v[12:13]
	v_fma_f64 v[6:7], -v[6:7], v[16:17], v[14:15]
	s_nop 1
	v_div_fmas_f64 v[6:7], v[6:7], v[12:13], v[16:17]
	v_div_fixup_f64 v[4:5], v[6:7], v[4:5], 1.0
	v_mul_f64 v[6:7], v[8:9], -v[4:5]
.LBB242_39:
	s_or_b64 exec, exec, s[2:3]
.LBB242_40:
	s_waitcnt vmcnt(0) lgkmcnt(0)
	v_mul_f64 v[8:9], v[2:3], v[6:7]
	v_fma_f64 v[8:9], v[0:1], v[4:5], -v[8:9]
	v_mul_f64 v[2:3], v[2:3], v[4:5]
	v_fmac_f64_e32 v[2:3], v[0:1], v[6:7]
	v_pk_mov_b32 v[0:1], v[8:9], v[8:9] op_sel:[0,1]
.LBB242_41:
	s_or_b64 exec, exec, s[0:1]
	global_store_dwordx4 v[10:11], v[0:3], off
.LBB242_42:
	s_endpgm
	.section	.rodata,"a",@progbits
	.p2align	6, 0x0
	.amdhsa_kernel _ZL40rocblas_trsm_block_backward_substitutionI19rocblas_complex_numIdES1_PKS1_PS1_Lb0ELb0ELb0EEv18rocblas_operation_llT0_T1_lllT2_lllib
		.amdhsa_group_segment_fixed_size 0
		.amdhsa_private_segment_fixed_size 0
		.amdhsa_kernarg_size 368
		.amdhsa_user_sgpr_count 6
		.amdhsa_user_sgpr_private_segment_buffer 1
		.amdhsa_user_sgpr_dispatch_ptr 0
		.amdhsa_user_sgpr_queue_ptr 0
		.amdhsa_user_sgpr_kernarg_segment_ptr 1
		.amdhsa_user_sgpr_dispatch_id 0
		.amdhsa_user_sgpr_flat_scratch_init 0
		.amdhsa_user_sgpr_kernarg_preload_length 0
		.amdhsa_user_sgpr_kernarg_preload_offset 0
		.amdhsa_user_sgpr_private_segment_size 0
		.amdhsa_uses_dynamic_stack 0
		.amdhsa_system_sgpr_private_segment_wavefront_offset 0
		.amdhsa_system_sgpr_workgroup_id_x 1
		.amdhsa_system_sgpr_workgroup_id_y 1
		.amdhsa_system_sgpr_workgroup_id_z 1
		.amdhsa_system_sgpr_workgroup_info 0
		.amdhsa_system_vgpr_workitem_id 1
		.amdhsa_next_free_vgpr 26
		.amdhsa_next_free_sgpr 44
		.amdhsa_accum_offset 28
		.amdhsa_reserve_vcc 1
		.amdhsa_reserve_flat_scratch 0
		.amdhsa_float_round_mode_32 0
		.amdhsa_float_round_mode_16_64 0
		.amdhsa_float_denorm_mode_32 3
		.amdhsa_float_denorm_mode_16_64 3
		.amdhsa_dx10_clamp 1
		.amdhsa_ieee_mode 1
		.amdhsa_fp16_overflow 0
		.amdhsa_tg_split 0
		.amdhsa_exception_fp_ieee_invalid_op 0
		.amdhsa_exception_fp_denorm_src 0
		.amdhsa_exception_fp_ieee_div_zero 0
		.amdhsa_exception_fp_ieee_overflow 0
		.amdhsa_exception_fp_ieee_underflow 0
		.amdhsa_exception_fp_ieee_inexact 0
		.amdhsa_exception_int_div_zero 0
	.end_amdhsa_kernel
	.section	.text._ZL40rocblas_trsm_block_backward_substitutionI19rocblas_complex_numIdES1_PKS1_PS1_Lb0ELb0ELb0EEv18rocblas_operation_llT0_T1_lllT2_lllib,"axG",@progbits,_ZL40rocblas_trsm_block_backward_substitutionI19rocblas_complex_numIdES1_PKS1_PS1_Lb0ELb0ELb0EEv18rocblas_operation_llT0_T1_lllT2_lllib,comdat
.Lfunc_end242:
	.size	_ZL40rocblas_trsm_block_backward_substitutionI19rocblas_complex_numIdES1_PKS1_PS1_Lb0ELb0ELb0EEv18rocblas_operation_llT0_T1_lllT2_lllib, .Lfunc_end242-_ZL40rocblas_trsm_block_backward_substitutionI19rocblas_complex_numIdES1_PKS1_PS1_Lb0ELb0ELb0EEv18rocblas_operation_llT0_T1_lllT2_lllib
                                        ; -- End function
	.section	.AMDGPU.csdata,"",@progbits
; Kernel info:
; codeLenInByte = 2556
; NumSgprs: 48
; NumVgprs: 26
; NumAgprs: 0
; TotalNumVgprs: 26
; ScratchSize: 0
; MemoryBound: 1
; FloatMode: 240
; IeeeMode: 1
; LDSByteSize: 0 bytes/workgroup (compile time only)
; SGPRBlocks: 5
; VGPRBlocks: 3
; NumSGPRsForWavesPerEU: 48
; NumVGPRsForWavesPerEU: 26
; AccumOffset: 28
; Occupancy: 8
; WaveLimiterHint : 1
; COMPUTE_PGM_RSRC2:SCRATCH_EN: 0
; COMPUTE_PGM_RSRC2:USER_SGPR: 6
; COMPUTE_PGM_RSRC2:TRAP_HANDLER: 0
; COMPUTE_PGM_RSRC2:TGID_X_EN: 1
; COMPUTE_PGM_RSRC2:TGID_Y_EN: 1
; COMPUTE_PGM_RSRC2:TGID_Z_EN: 1
; COMPUTE_PGM_RSRC2:TIDIG_COMP_CNT: 1
; COMPUTE_PGM_RSRC3_GFX90A:ACCUM_OFFSET: 6
; COMPUTE_PGM_RSRC3_GFX90A:TG_SPLIT: 0
	.section	.text._ZL39rocblas_trsm_block_forward_substitutionI19rocblas_complex_numIdES1_PKS1_PS1_Lb0ELb0ELb1EEv18rocblas_operation_llT0_T1_lllT2_lllib,"axG",@progbits,_ZL39rocblas_trsm_block_forward_substitutionI19rocblas_complex_numIdES1_PKS1_PS1_Lb0ELb0ELb1EEv18rocblas_operation_llT0_T1_lllT2_lllib,comdat
	.globl	_ZL39rocblas_trsm_block_forward_substitutionI19rocblas_complex_numIdES1_PKS1_PS1_Lb0ELb0ELb1EEv18rocblas_operation_llT0_T1_lllT2_lllib ; -- Begin function _ZL39rocblas_trsm_block_forward_substitutionI19rocblas_complex_numIdES1_PKS1_PS1_Lb0ELb0ELb1EEv18rocblas_operation_llT0_T1_lllT2_lllib
	.p2align	8
	.type	_ZL39rocblas_trsm_block_forward_substitutionI19rocblas_complex_numIdES1_PKS1_PS1_Lb0ELb0ELb1EEv18rocblas_operation_llT0_T1_lllT2_lllib,@function
_ZL39rocblas_trsm_block_forward_substitutionI19rocblas_complex_numIdES1_PKS1_PS1_Lb0ELb0ELb1EEv18rocblas_operation_llT0_T1_lllT2_lllib: ; @_ZL39rocblas_trsm_block_forward_substitutionI19rocblas_complex_numIdES1_PKS1_PS1_Lb0ELb0ELb1EEv18rocblas_operation_llT0_T1_lllT2_lllib
; %bb.0:
	s_load_dwordx16 s[12:27], s[4:5], 0x8
	v_and_b32_e32 v4, 0x3ff, v0
	v_bfe_u32 v8, v0, 10, 10
	s_waitcnt lgkmcnt(0)
	s_mul_i32 s0, s8, s27
	s_mul_hi_u32 s1, s8, s26
	s_add_i32 s1, s1, s0
	s_mul_i32 s0, s8, s26
	s_lshl_b64 s[0:1], s[0:1], 4
	s_add_u32 s2, s20, s0
	s_addc_u32 s3, s21, s1
	s_lshl_b64 s[0:1], s[22:23], 4
	s_add_u32 s2, s2, s0
	s_load_dword s0, s[4:5], 0x6c
	s_load_dword s6, s[4:5], 0x7c
	s_addc_u32 s3, s3, s1
	s_add_u32 s10, s4, 0x70
	s_addc_u32 s11, s5, 0
	s_waitcnt lgkmcnt(0)
	s_lshr_b32 s6, s6, 16
	s_bitcmp0_b32 s0, 0
	s_cbranch_scc1 .LBB243_7
; %bb.1:
	s_lshl_b32 s0, s6, 4
	s_add_i32 s20, s0, 0
	v_cmp_lt_i64_e64 s[0:1], s[12:13], 1
	s_and_b64 vcc, exec, s[0:1]
	s_cbranch_vccnz .LBB243_6
; %bb.2:
	v_lshlrev_b32_e32 v0, 4, v4
	v_mov_b32_e32 v5, 0
	v_mov_b32_e32 v1, s3
	v_add_co_u32_e32 v3, vcc, s2, v0
	v_add_u32_e32 v2, s20, v0
	s_mov_b32 s22, 0
	v_cmp_gt_u64_e64 s[0:1], s[12:13], v[4:5]
	v_addc_co_u32_e32 v5, vcc, 0, v1, vcc
	v_pk_mov_b32 v[0:1], s[12:13], s[12:13] op_sel:[0,1]
	s_branch .LBB243_4
.LBB243_3:                              ;   in Loop: Header=BB243_4 Depth=1
	s_or_b64 exec, exec, s[2:3]
	s_add_i32 s22, s22, s6
	s_ashr_i32 s23, s22, 31
	v_cmp_ge_i64_e32 vcc, s[22:23], v[0:1]
	s_cbranch_vccnz .LBB243_6
.LBB243_4:                              ; =>This Inner Loop Header: Depth=1
	v_add_u32_e32 v6, s22, v8
	v_cmp_gt_i32_e32 vcc, v4, v6
	s_and_b64 s[26:27], s[0:1], vcc
	s_and_saveexec_b64 s[2:3], s[26:27]
	s_cbranch_execz .LBB243_3
; %bb.5:                                ;   in Loop: Header=BB243_4 Depth=1
	v_ashrrev_i32_e32 v7, 31, v6
	v_mul_lo_u32 v9, v6, s25
	v_mul_lo_u32 v7, v7, s24
	v_mad_u64_u32 v[10:11], s[26:27], v6, s24, 0
	v_add3_u32 v11, v11, v9, v7
	v_lshlrev_b64 v[10:11], 4, v[10:11]
	v_add_co_u32_e32 v10, vcc, v3, v10
	v_addc_co_u32_e32 v11, vcc, v5, v11, vcc
	global_load_dwordx4 v[10:13], v[10:11], off
	s_load_dword s9, s[10:11], 0xc
	s_waitcnt lgkmcnt(0)
	s_and_b32 s9, s9, 0xffff
	v_mul_lo_u32 v6, v6, s9
	v_lshl_add_u32 v6, v6, 4, v2
	s_waitcnt vmcnt(0)
	ds_write2_b64 v6, v[10:11], v[12:13] offset1:1
	s_branch .LBB243_3
.LBB243_6:
	s_load_dword s2, s[10:11], 0xc
	s_mov_b64 s[0:1], src_shared_base
	s_mov_b32 s21, s1
	s_mov_b32 s25, 0
	s_waitcnt lgkmcnt(0)
	s_and_b32 s24, s2, 0xffff
	s_mov_b64 s[2:3], s[20:21]
.LBB243_7:
	s_mul_i32 s7, s7, s6
	v_add_u32_e32 v0, s7, v8
	v_mov_b32_e32 v1, 0
	v_cmp_gt_i64_e32 vcc, s[14:15], v[0:1]
	s_and_saveexec_b64 s[0:1], vcc
	s_cbranch_execz .LBB243_17
; %bb.8:
	v_mov_b32_e32 v5, v1
	v_cmp_gt_i64_e32 vcc, s[12:13], v[4:5]
	s_and_b64 exec, exec, vcc
	s_cbranch_execz .LBB243_17
; %bb.9:
	s_load_dwordx8 s[36:43], s[4:5], 0x48
	v_lshlrev_b32_e32 v9, 4, v4
	s_waitcnt lgkmcnt(0)
	s_mul_i32 s1, s8, s43
	s_mul_hi_u32 s6, s8, s42
	s_mul_i32 s0, s8, s42
	s_add_i32 s1, s6, s1
	s_lshl_b64 s[0:1], s[0:1], 4
	s_add_u32 s6, s36, s0
	s_addc_u32 s7, s37, s1
	s_lshl_b64 s[0:1], s[38:39], 4
	s_add_u32 s6, s6, s0
	s_addc_u32 s7, s7, s1
	v_mad_u64_u32 v[2:3], s[0:1], v0, s40, 0
	v_mov_b32_e32 v6, v3
	v_mad_u64_u32 v[0:1], s[0:1], v0, s41, v[6:7]
	v_mov_b32_e32 v3, v0
	v_lshlrev_b64 v[0:1], 4, v[2:3]
	v_mov_b32_e32 v2, s7
	v_add_co_u32_e32 v0, vcc, s6, v0
	v_addc_co_u32_e32 v1, vcc, v2, v1, vcc
	v_add_co_u32_e32 v6, vcc, v0, v9
	v_addc_co_u32_e32 v7, vcc, 0, v1, vcc
	global_load_dwordx4 v[10:13], v[6:7], off
	v_cmp_lt_u64_e64 s[0:1], s[12:13], 2
	s_and_b64 vcc, exec, s[0:1]
	s_waitcnt vmcnt(0)
	v_mul_f64 v[0:1], s[18:19], v[12:13]
	v_mul_f64 v[2:3], s[16:17], v[12:13]
	v_fma_f64 v[0:1], s[16:17], v[10:11], -v[0:1]
	v_fmac_f64_e32 v[2:3], s[18:19], v[10:11]
	s_cbranch_vccnz .LBB243_16
; %bb.10:
	s_load_dword s0, s[4:5], 0x0
	v_lshl_add_u32 v10, v8, 4, 0
	v_mov_b32_e32 v11, s3
	s_mov_b64 s[6:7], 0
	s_waitcnt lgkmcnt(0)
	s_cmpk_eq_i32 s0, 0x71
	s_cselect_b64 vcc, -1, 0
	s_add_u32 s4, s12, -1
	v_add_co_u32_e64 v8, s[0:1], s2, v9
	s_addc_u32 s5, s13, -1
	v_addc_co_u32_e64 v9, s[0:1], 0, v11, s[0:1]
	s_lshl_b64 s[2:3], s[24:25], 4
	s_branch .LBB243_12
.LBB243_11:                             ;   in Loop: Header=BB243_12 Depth=1
	s_or_b64 exec, exec, s[8:9]
	s_add_u32 s6, s6, 1
	s_addc_u32 s7, s7, 0
	v_mov_b32_e32 v11, s3
	v_add_co_u32_e64 v8, s[0:1], s2, v8
	s_cmp_eq_u64 s[4:5], s[6:7]
	v_addc_co_u32_e64 v9, s[0:1], v9, v11, s[0:1]
	s_cbranch_scc1 .LBB243_16
.LBB243_12:                             ; =>This Inner Loop Header: Depth=1
	v_cmp_eq_u64_e64 s[0:1], s[6:7], v[4:5]
	s_barrier
	s_and_saveexec_b64 s[8:9], s[0:1]
	s_cbranch_execz .LBB243_14
; %bb.13:                               ;   in Loop: Header=BB243_12 Depth=1
	ds_write2_b64 v10, v[0:1], v[2:3] offset1:1
.LBB243_14:                             ;   in Loop: Header=BB243_12 Depth=1
	s_or_b64 exec, exec, s[8:9]
	v_cmp_lt_u64_e64 s[0:1], s[6:7], v[4:5]
	s_waitcnt lgkmcnt(0)
	s_barrier
	s_and_saveexec_b64 s[8:9], s[0:1]
	s_cbranch_execz .LBB243_11
; %bb.15:                               ;   in Loop: Header=BB243_12 Depth=1
	flat_load_dwordx4 v[12:15], v[8:9]
	ds_read2_b64 v[16:19], v10 offset1:1
	s_waitcnt vmcnt(0) lgkmcnt(0)
	v_xor_b32_e32 v11, 0x80000000, v15
	v_cndmask_b32_e32 v15, v15, v11, vcc
	v_mul_f64 v[20:21], v[12:13], v[18:19]
	v_mul_f64 v[18:19], v[14:15], v[18:19]
	v_fmac_f64_e32 v[20:21], v[14:15], v[16:17]
	v_fma_f64 v[12:13], v[12:13], v[16:17], -v[18:19]
	v_add_f64 v[0:1], v[0:1], -v[12:13]
	v_add_f64 v[2:3], v[2:3], -v[20:21]
	s_branch .LBB243_11
.LBB243_16:
	global_store_dwordx4 v[6:7], v[0:3], off
.LBB243_17:
	s_endpgm
	.section	.rodata,"a",@progbits
	.p2align	6, 0x0
	.amdhsa_kernel _ZL39rocblas_trsm_block_forward_substitutionI19rocblas_complex_numIdES1_PKS1_PS1_Lb0ELb0ELb1EEv18rocblas_operation_llT0_T1_lllT2_lllib
		.amdhsa_group_segment_fixed_size 0
		.amdhsa_private_segment_fixed_size 0
		.amdhsa_kernarg_size 368
		.amdhsa_user_sgpr_count 6
		.amdhsa_user_sgpr_private_segment_buffer 1
		.amdhsa_user_sgpr_dispatch_ptr 0
		.amdhsa_user_sgpr_queue_ptr 0
		.amdhsa_user_sgpr_kernarg_segment_ptr 1
		.amdhsa_user_sgpr_dispatch_id 0
		.amdhsa_user_sgpr_flat_scratch_init 0
		.amdhsa_user_sgpr_kernarg_preload_length 0
		.amdhsa_user_sgpr_kernarg_preload_offset 0
		.amdhsa_user_sgpr_private_segment_size 0
		.amdhsa_uses_dynamic_stack 0
		.amdhsa_system_sgpr_private_segment_wavefront_offset 0
		.amdhsa_system_sgpr_workgroup_id_x 1
		.amdhsa_system_sgpr_workgroup_id_y 1
		.amdhsa_system_sgpr_workgroup_id_z 1
		.amdhsa_system_sgpr_workgroup_info 0
		.amdhsa_system_vgpr_workitem_id 1
		.amdhsa_next_free_vgpr 22
		.amdhsa_next_free_sgpr 44
		.amdhsa_accum_offset 24
		.amdhsa_reserve_vcc 1
		.amdhsa_reserve_flat_scratch 0
		.amdhsa_float_round_mode_32 0
		.amdhsa_float_round_mode_16_64 0
		.amdhsa_float_denorm_mode_32 3
		.amdhsa_float_denorm_mode_16_64 3
		.amdhsa_dx10_clamp 1
		.amdhsa_ieee_mode 1
		.amdhsa_fp16_overflow 0
		.amdhsa_tg_split 0
		.amdhsa_exception_fp_ieee_invalid_op 0
		.amdhsa_exception_fp_denorm_src 0
		.amdhsa_exception_fp_ieee_div_zero 0
		.amdhsa_exception_fp_ieee_overflow 0
		.amdhsa_exception_fp_ieee_underflow 0
		.amdhsa_exception_fp_ieee_inexact 0
		.amdhsa_exception_int_div_zero 0
	.end_amdhsa_kernel
	.section	.text._ZL39rocblas_trsm_block_forward_substitutionI19rocblas_complex_numIdES1_PKS1_PS1_Lb0ELb0ELb1EEv18rocblas_operation_llT0_T1_lllT2_lllib,"axG",@progbits,_ZL39rocblas_trsm_block_forward_substitutionI19rocblas_complex_numIdES1_PKS1_PS1_Lb0ELb0ELb1EEv18rocblas_operation_llT0_T1_lllT2_lllib,comdat
.Lfunc_end243:
	.size	_ZL39rocblas_trsm_block_forward_substitutionI19rocblas_complex_numIdES1_PKS1_PS1_Lb0ELb0ELb1EEv18rocblas_operation_llT0_T1_lllT2_lllib, .Lfunc_end243-_ZL39rocblas_trsm_block_forward_substitutionI19rocblas_complex_numIdES1_PKS1_PS1_Lb0ELb0ELb1EEv18rocblas_operation_llT0_T1_lllT2_lllib
                                        ; -- End function
	.section	.AMDGPU.csdata,"",@progbits
; Kernel info:
; codeLenInByte = 832
; NumSgprs: 48
; NumVgprs: 22
; NumAgprs: 0
; TotalNumVgprs: 22
; ScratchSize: 0
; MemoryBound: 0
; FloatMode: 240
; IeeeMode: 1
; LDSByteSize: 0 bytes/workgroup (compile time only)
; SGPRBlocks: 5
; VGPRBlocks: 2
; NumSGPRsForWavesPerEU: 48
; NumVGPRsForWavesPerEU: 22
; AccumOffset: 24
; Occupancy: 8
; WaveLimiterHint : 1
; COMPUTE_PGM_RSRC2:SCRATCH_EN: 0
; COMPUTE_PGM_RSRC2:USER_SGPR: 6
; COMPUTE_PGM_RSRC2:TRAP_HANDLER: 0
; COMPUTE_PGM_RSRC2:TGID_X_EN: 1
; COMPUTE_PGM_RSRC2:TGID_Y_EN: 1
; COMPUTE_PGM_RSRC2:TGID_Z_EN: 1
; COMPUTE_PGM_RSRC2:TIDIG_COMP_CNT: 1
; COMPUTE_PGM_RSRC3_GFX90A:ACCUM_OFFSET: 5
; COMPUTE_PGM_RSRC3_GFX90A:TG_SPLIT: 0
	.section	.text._ZL40rocblas_trsm_block_backward_substitutionI19rocblas_complex_numIdES1_PKS1_PS1_Lb0ELb0ELb1EEv18rocblas_operation_llT0_T1_lllT2_lllib,"axG",@progbits,_ZL40rocblas_trsm_block_backward_substitutionI19rocblas_complex_numIdES1_PKS1_PS1_Lb0ELb0ELb1EEv18rocblas_operation_llT0_T1_lllT2_lllib,comdat
	.globl	_ZL40rocblas_trsm_block_backward_substitutionI19rocblas_complex_numIdES1_PKS1_PS1_Lb0ELb0ELb1EEv18rocblas_operation_llT0_T1_lllT2_lllib ; -- Begin function _ZL40rocblas_trsm_block_backward_substitutionI19rocblas_complex_numIdES1_PKS1_PS1_Lb0ELb0ELb1EEv18rocblas_operation_llT0_T1_lllT2_lllib
	.p2align	8
	.type	_ZL40rocblas_trsm_block_backward_substitutionI19rocblas_complex_numIdES1_PKS1_PS1_Lb0ELb0ELb1EEv18rocblas_operation_llT0_T1_lllT2_lllib,@function
_ZL40rocblas_trsm_block_backward_substitutionI19rocblas_complex_numIdES1_PKS1_PS1_Lb0ELb0ELb1EEv18rocblas_operation_llT0_T1_lllT2_lllib: ; @_ZL40rocblas_trsm_block_backward_substitutionI19rocblas_complex_numIdES1_PKS1_PS1_Lb0ELb0ELb1EEv18rocblas_operation_llT0_T1_lllT2_lllib
; %bb.0:
	s_load_dwordx16 s[12:27], s[4:5], 0x8
	v_and_b32_e32 v4, 0x3ff, v0
	v_bfe_u32 v8, v0, 10, 10
	s_waitcnt lgkmcnt(0)
	s_mul_i32 s0, s8, s27
	s_mul_hi_u32 s1, s8, s26
	s_add_i32 s1, s1, s0
	s_mul_i32 s0, s8, s26
	s_lshl_b64 s[0:1], s[0:1], 4
	s_add_u32 s2, s20, s0
	s_addc_u32 s3, s21, s1
	s_lshl_b64 s[0:1], s[22:23], 4
	s_add_u32 s2, s2, s0
	s_addc_u32 s3, s3, s1
	s_load_dword s0, s[4:5], 0x6c
	s_load_dword s1, s[4:5], 0x7c
	s_add_u32 s22, s4, 0x70
	s_addc_u32 s23, s5, 0
	s_mov_b64 s[20:21], 1
	s_waitcnt lgkmcnt(0)
	s_lshr_b32 s6, s1, 16
	s_bitcmp0_b32 s0, 0
	s_cbranch_scc1 .LBB244_6
; %bb.1:
	s_lshl_b32 s0, s6, 4
	s_add_i32 s26, s0, 0
	v_cmp_lt_i64_e64 s[0:1], s[12:13], 1
	s_mov_b64 s[10:11], 1
	s_and_b64 vcc, exec, s[0:1]
	s_cbranch_vccnz .LBB244_7
; %bb.2:
	v_mad_u64_u32 v[0:1], s[20:21], v4, s24, 0
	v_mov_b32_e32 v2, v1
	v_mad_u64_u32 v[2:3], s[20:21], v4, s25, v[2:3]
	v_mov_b32_e32 v1, v2
	v_mov_b32_e32 v5, 0
	v_lshlrev_b64 v[0:1], 4, v[0:1]
	v_cmp_gt_u64_e64 s[0:1], s[12:13], v[4:5]
	v_mov_b32_e32 v2, s3
	v_add_co_u32_e32 v5, vcc, s2, v0
	v_lshl_add_u32 v6, v4, 4, s26
	v_addc_co_u32_e32 v7, vcc, v2, v1, vcc
	s_mov_b32 s20, 0
	v_pk_mov_b32 v[0:1], s[12:13], s[12:13] op_sel:[0,1]
	s_branch .LBB244_4
.LBB244_3:                              ;   in Loop: Header=BB244_4 Depth=1
	s_or_b64 exec, exec, s[2:3]
	s_add_i32 s20, s20, s6
	s_ashr_i32 s21, s20, 31
	v_cmp_ge_i64_e32 vcc, s[20:21], v[0:1]
	s_cbranch_vccnz .LBB244_7
.LBB244_4:                              ; =>This Inner Loop Header: Depth=1
	v_add_u32_e32 v2, s20, v8
	v_ashrrev_i32_e32 v3, 31, v2
	v_cmp_gt_i64_e32 vcc, s[12:13], v[2:3]
	v_cmp_lt_i32_e64 s[2:3], v4, v2
	s_and_b64 s[2:3], s[2:3], vcc
	s_and_b64 s[24:25], s[0:1], s[2:3]
	s_and_saveexec_b64 s[2:3], s[24:25]
	s_cbranch_execz .LBB244_3
; %bb.5:                                ;   in Loop: Header=BB244_4 Depth=1
	v_lshlrev_b64 v[10:11], 4, v[2:3]
	v_add_co_u32_e32 v10, vcc, v5, v10
	v_addc_co_u32_e32 v11, vcc, v7, v11, vcc
	global_load_dwordx4 v[10:13], v[10:11], off
	s_load_dword s9, s[22:23], 0xc
	s_waitcnt lgkmcnt(0)
	s_and_b32 s9, s9, 0xffff
	v_mul_lo_u32 v2, v2, s9
	v_lshl_add_u32 v2, v2, 4, v6
	s_waitcnt vmcnt(0)
	ds_write2_b64 v2, v[10:11], v[12:13] offset1:1
	s_branch .LBB244_3
.LBB244_6:
	s_mov_b32 s10, s24
	s_mov_b32 s11, s25
	s_branch .LBB244_8
.LBB244_7:
	s_load_dword s2, s[22:23], 0xc
	s_mov_b64 s[0:1], src_shared_base
	s_mov_b32 s27, s1
	s_waitcnt lgkmcnt(0)
	s_and_b32 s20, s2, 0xffff
	s_mov_b64 s[2:3], s[26:27]
.LBB244_8:
	s_mul_i32 s7, s7, s6
	v_add_u32_e32 v0, s7, v8
	v_mov_b32_e32 v1, 0
	v_cmp_gt_i64_e32 vcc, s[14:15], v[0:1]
	s_and_saveexec_b64 s[0:1], vcc
	s_cbranch_execz .LBB244_19
; %bb.9:
	v_mov_b32_e32 v5, v1
	v_cmp_gt_i64_e32 vcc, s[12:13], v[4:5]
	s_and_b64 exec, exec, vcc
	s_cbranch_execz .LBB244_19
; %bb.10:
	s_load_dwordx8 s[24:31], s[4:5], 0x48
	v_lshlrev_b64 v[0:1], 4, v[0:1]
	s_waitcnt lgkmcnt(0)
	s_mul_i32 s1, s8, s31
	s_mul_hi_u32 s6, s8, s30
	s_mul_i32 s0, s8, s30
	s_add_i32 s1, s6, s1
	s_lshl_b64 s[0:1], s[0:1], 4
	s_add_u32 s6, s24, s0
	s_addc_u32 s7, s25, s1
	s_lshl_b64 s[0:1], s[26:27], 4
	s_add_u32 s6, s6, s0
	s_addc_u32 s7, s7, s1
	v_mad_u64_u32 v[2:3], s[0:1], v4, s28, 0
	v_mov_b32_e32 v6, v3
	v_mad_u64_u32 v[6:7], s[0:1], v4, s29, v[6:7]
	v_mov_b32_e32 v3, v6
	v_lshlrev_b64 v[2:3], 4, v[2:3]
	v_mov_b32_e32 v6, s7
	v_add_co_u32_e32 v2, vcc, s6, v2
	v_addc_co_u32_e32 v3, vcc, v6, v3, vcc
	v_add_co_u32_e32 v6, vcc, v2, v0
	v_addc_co_u32_e32 v7, vcc, v3, v1, vcc
	global_load_dwordx4 v[10:13], v[6:7], off
	v_cmp_lt_u64_e64 s[0:1], s[12:13], 2
	s_and_b64 vcc, exec, s[0:1]
	s_waitcnt vmcnt(0)
	v_mul_f64 v[0:1], s[18:19], v[12:13]
	v_mul_f64 v[2:3], s[16:17], v[12:13]
	v_fma_f64 v[0:1], s[16:17], v[10:11], -v[0:1]
	v_fmac_f64_e32 v[2:3], s[18:19], v[10:11]
	s_cbranch_vccnz .LBB244_18
; %bb.11:
	s_load_dword s4, s[4:5], 0x0
	v_lshl_add_u32 v10, v8, 4, 0
	v_mad_u64_u32 v[8:9], s[0:1], s10, v4, 0
	v_mov_b32_e32 v12, v9
	s_waitcnt lgkmcnt(0)
	s_cmpk_eq_i32 s4, 0x71
	v_mad_u64_u32 v[12:13], s[4:5], s11, v4, v[12:13]
	s_cselect_b64 s[0:1], -1, 0
	s_add_u32 s4, s12, -1
	s_addc_u32 s5, s13, -1
	s_mul_i32 s6, s20, s5
	s_mul_hi_u32 s7, s20, s4
	s_add_i32 s7, s7, s6
	s_mul_i32 s6, s20, s4
	v_mov_b32_e32 v9, v12
	s_lshl_b64 s[6:7], s[6:7], 4
	v_lshlrev_b64 v[8:9], 4, v[8:9]
	s_add_u32 s2, s2, s6
	s_addc_u32 s3, s3, s7
	v_add_co_u32_e32 v8, vcc, s2, v8
	s_lshl_b32 s2, s20, 4
	v_mov_b32_e32 v11, s3
	s_sub_u32 s6, 0, s2
	v_addc_co_u32_e32 v9, vcc, v11, v9, vcc
	s_subb_u32 s7, 0, 0
.LBB244_12:                             ; =>This Inner Loop Header: Depth=1
	v_cmp_eq_u64_e32 vcc, s[4:5], v[4:5]
	s_barrier
	s_and_saveexec_b64 s[2:3], vcc
	s_cbranch_execz .LBB244_14
; %bb.13:                               ;   in Loop: Header=BB244_12 Depth=1
	ds_write2_b64 v10, v[0:1], v[2:3] offset1:1
.LBB244_14:                             ;   in Loop: Header=BB244_12 Depth=1
	s_or_b64 exec, exec, s[2:3]
	v_cmp_gt_i64_e32 vcc, s[4:5], v[4:5]
	s_waitcnt lgkmcnt(0)
	s_barrier
	s_and_saveexec_b64 s[2:3], vcc
	s_cbranch_execz .LBB244_16
; %bb.15:                               ;   in Loop: Header=BB244_12 Depth=1
	flat_load_dwordx4 v[12:15], v[8:9]
	ds_read2_b64 v[16:19], v10 offset1:1
	s_waitcnt vmcnt(0) lgkmcnt(0)
	v_xor_b32_e32 v11, 0x80000000, v15
	v_cndmask_b32_e64 v15, v15, v11, s[0:1]
	v_mul_f64 v[20:21], v[12:13], v[18:19]
	v_mul_f64 v[18:19], v[14:15], v[18:19]
	v_fmac_f64_e32 v[20:21], v[14:15], v[16:17]
	v_fma_f64 v[12:13], v[12:13], v[16:17], -v[18:19]
	v_add_f64 v[0:1], v[0:1], -v[12:13]
	v_add_f64 v[2:3], v[2:3], -v[20:21]
.LBB244_16:                             ;   in Loop: Header=BB244_12 Depth=1
	s_or_b64 exec, exec, s[2:3]
	s_add_u32 s2, s4, -1
	s_addc_u32 s3, s5, -1
	s_add_u32 s4, s4, 1
	s_addc_u32 s5, s5, 0
	v_mov_b32_e32 v11, s7
	v_add_co_u32_e32 v8, vcc, s6, v8
	v_addc_co_u32_e32 v9, vcc, v9, v11, vcc
	v_cmp_lt_u64_e64 s[4:5], s[4:5], 3
	s_and_b64 vcc, exec, s[4:5]
	s_cbranch_vccnz .LBB244_18
; %bb.17:                               ;   in Loop: Header=BB244_12 Depth=1
	s_mov_b64 s[4:5], s[2:3]
	s_branch .LBB244_12
.LBB244_18:
	global_store_dwordx4 v[6:7], v[0:3], off
.LBB244_19:
	s_endpgm
	.section	.rodata,"a",@progbits
	.p2align	6, 0x0
	.amdhsa_kernel _ZL40rocblas_trsm_block_backward_substitutionI19rocblas_complex_numIdES1_PKS1_PS1_Lb0ELb0ELb1EEv18rocblas_operation_llT0_T1_lllT2_lllib
		.amdhsa_group_segment_fixed_size 0
		.amdhsa_private_segment_fixed_size 0
		.amdhsa_kernarg_size 368
		.amdhsa_user_sgpr_count 6
		.amdhsa_user_sgpr_private_segment_buffer 1
		.amdhsa_user_sgpr_dispatch_ptr 0
		.amdhsa_user_sgpr_queue_ptr 0
		.amdhsa_user_sgpr_kernarg_segment_ptr 1
		.amdhsa_user_sgpr_dispatch_id 0
		.amdhsa_user_sgpr_flat_scratch_init 0
		.amdhsa_user_sgpr_kernarg_preload_length 0
		.amdhsa_user_sgpr_kernarg_preload_offset 0
		.amdhsa_user_sgpr_private_segment_size 0
		.amdhsa_uses_dynamic_stack 0
		.amdhsa_system_sgpr_private_segment_wavefront_offset 0
		.amdhsa_system_sgpr_workgroup_id_x 1
		.amdhsa_system_sgpr_workgroup_id_y 1
		.amdhsa_system_sgpr_workgroup_id_z 1
		.amdhsa_system_sgpr_workgroup_info 0
		.amdhsa_system_vgpr_workitem_id 1
		.amdhsa_next_free_vgpr 22
		.amdhsa_next_free_sgpr 32
		.amdhsa_accum_offset 24
		.amdhsa_reserve_vcc 1
		.amdhsa_reserve_flat_scratch 0
		.amdhsa_float_round_mode_32 0
		.amdhsa_float_round_mode_16_64 0
		.amdhsa_float_denorm_mode_32 3
		.amdhsa_float_denorm_mode_16_64 3
		.amdhsa_dx10_clamp 1
		.amdhsa_ieee_mode 1
		.amdhsa_fp16_overflow 0
		.amdhsa_tg_split 0
		.amdhsa_exception_fp_ieee_invalid_op 0
		.amdhsa_exception_fp_denorm_src 0
		.amdhsa_exception_fp_ieee_div_zero 0
		.amdhsa_exception_fp_ieee_overflow 0
		.amdhsa_exception_fp_ieee_underflow 0
		.amdhsa_exception_fp_ieee_inexact 0
		.amdhsa_exception_int_div_zero 0
	.end_amdhsa_kernel
	.section	.text._ZL40rocblas_trsm_block_backward_substitutionI19rocblas_complex_numIdES1_PKS1_PS1_Lb0ELb0ELb1EEv18rocblas_operation_llT0_T1_lllT2_lllib,"axG",@progbits,_ZL40rocblas_trsm_block_backward_substitutionI19rocblas_complex_numIdES1_PKS1_PS1_Lb0ELb0ELb1EEv18rocblas_operation_llT0_T1_lllT2_lllib,comdat
.Lfunc_end244:
	.size	_ZL40rocblas_trsm_block_backward_substitutionI19rocblas_complex_numIdES1_PKS1_PS1_Lb0ELb0ELb1EEv18rocblas_operation_llT0_T1_lllT2_lllib, .Lfunc_end244-_ZL40rocblas_trsm_block_backward_substitutionI19rocblas_complex_numIdES1_PKS1_PS1_Lb0ELb0ELb1EEv18rocblas_operation_llT0_T1_lllT2_lllib
                                        ; -- End function
	.section	.AMDGPU.csdata,"",@progbits
; Kernel info:
; codeLenInByte = 924
; NumSgprs: 36
; NumVgprs: 22
; NumAgprs: 0
; TotalNumVgprs: 22
; ScratchSize: 0
; MemoryBound: 0
; FloatMode: 240
; IeeeMode: 1
; LDSByteSize: 0 bytes/workgroup (compile time only)
; SGPRBlocks: 4
; VGPRBlocks: 2
; NumSGPRsForWavesPerEU: 36
; NumVGPRsForWavesPerEU: 22
; AccumOffset: 24
; Occupancy: 8
; WaveLimiterHint : 1
; COMPUTE_PGM_RSRC2:SCRATCH_EN: 0
; COMPUTE_PGM_RSRC2:USER_SGPR: 6
; COMPUTE_PGM_RSRC2:TRAP_HANDLER: 0
; COMPUTE_PGM_RSRC2:TGID_X_EN: 1
; COMPUTE_PGM_RSRC2:TGID_Y_EN: 1
; COMPUTE_PGM_RSRC2:TGID_Z_EN: 1
; COMPUTE_PGM_RSRC2:TIDIG_COMP_CNT: 1
; COMPUTE_PGM_RSRC3_GFX90A:ACCUM_OFFSET: 5
; COMPUTE_PGM_RSRC3_GFX90A:TG_SPLIT: 0
	.section	.text._ZL39rocblas_trsm_block_forward_substitutionI19rocblas_complex_numIdES1_PKS1_PS1_Lb0ELb1ELb0EEv18rocblas_operation_llT0_T1_lllT2_lllib,"axG",@progbits,_ZL39rocblas_trsm_block_forward_substitutionI19rocblas_complex_numIdES1_PKS1_PS1_Lb0ELb1ELb0EEv18rocblas_operation_llT0_T1_lllT2_lllib,comdat
	.globl	_ZL39rocblas_trsm_block_forward_substitutionI19rocblas_complex_numIdES1_PKS1_PS1_Lb0ELb1ELb0EEv18rocblas_operation_llT0_T1_lllT2_lllib ; -- Begin function _ZL39rocblas_trsm_block_forward_substitutionI19rocblas_complex_numIdES1_PKS1_PS1_Lb0ELb1ELb0EEv18rocblas_operation_llT0_T1_lllT2_lllib
	.p2align	8
	.type	_ZL39rocblas_trsm_block_forward_substitutionI19rocblas_complex_numIdES1_PKS1_PS1_Lb0ELb1ELb0EEv18rocblas_operation_llT0_T1_lllT2_lllib,@function
_ZL39rocblas_trsm_block_forward_substitutionI19rocblas_complex_numIdES1_PKS1_PS1_Lb0ELb1ELb0EEv18rocblas_operation_llT0_T1_lllT2_lllib: ; @_ZL39rocblas_trsm_block_forward_substitutionI19rocblas_complex_numIdES1_PKS1_PS1_Lb0ELb1ELb0EEv18rocblas_operation_llT0_T1_lllT2_lllib
; %bb.0:
	s_load_dword s0, s[4:5], 0x6c
	s_load_dwordx16 s[12:27], s[4:5], 0x8
	s_load_dword s6, s[4:5], 0x7c
	v_and_b32_e32 v8, 0x3ff, v0
	v_bfe_u32 v14, v0, 10, 10
	s_waitcnt lgkmcnt(0)
	s_bitcmp1_b32 s0, 0
	s_cselect_b64 s[0:1], -1, 0
	s_xor_b64 s[2:3], s[0:1], -1
	s_mul_i32 s0, s8, s27
	s_mul_hi_u32 s1, s8, s26
	s_add_i32 s1, s1, s0
	s_mul_i32 s0, s8, s26
	s_lshl_b64 s[0:1], s[0:1], 4
	s_add_u32 s9, s20, s0
	s_addc_u32 s11, s21, s1
	s_lshl_b64 s[0:1], s[22:23], 4
	s_add_u32 s10, s9, s0
	s_addc_u32 s11, s11, s1
	s_add_u32 s20, s4, 0x70
	s_addc_u32 s21, s5, 0
	s_lshr_b32 s6, s6, 16
	s_and_b64 vcc, exec, s[2:3]
	s_cbranch_vccnz .LBB245_15
; %bb.1:
	s_lshl_b32 s0, s6, 4
	s_add_i32 s22, s0, 0
	v_cmp_lt_i64_e64 s[0:1], s[12:13], 1
	s_and_b64 vcc, exec, s[0:1]
	s_cbranch_vccnz .LBB245_14
; %bb.2:
	v_lshlrev_b32_e32 v0, 4, v8
	v_mov_b32_e32 v9, 0
	v_cmp_le_u64_e32 vcc, s[12:13], v[8:9]
	v_mov_b32_e32 v1, s11
	v_add_co_u32_e64 v9, s[0:1], s10, v0
	v_add_u32_e32 v15, s22, v0
	v_addc_co_u32_e64 v16, s[0:1], 0, v1, s[0:1]
	v_mad_u64_u32 v[0:1], s[0:1], v8, s24, 0
	v_mov_b32_e32 v2, v1
	v_mad_u64_u32 v[2:3], s[0:1], v8, s25, v[2:3]
	v_mov_b32_e32 v1, v2
	v_lshlrev_b64 v[0:1], 4, v[0:1]
	v_add_co_u32_e64 v10, s[0:1], v9, v0
	v_addc_co_u32_e64 v11, s[0:1], v16, v1, s[0:1]
	s_xor_b64 s[0:1], vcc, -1
	s_mov_b32 s10, s6
	v_mov_b32_e32 v17, v14
	s_branch .LBB245_6
.LBB245_3:                              ;   in Loop: Header=BB245_6 Depth=1
	s_or_b64 exec, exec, s[30:31]
	s_load_dword s9, s[20:21], 0xc
	s_waitcnt lgkmcnt(0)
	s_and_b32 s9, s9, 0xffff
	v_mul_u32_u24_e32 v0, s9, v8
	v_lshl_add_u32 v0, v0, 4, v15
	ds_write2_b64 v0, v[12:13], v[6:7] offset1:1
.LBB245_4:                              ;   in Loop: Header=BB245_6 Depth=1
	s_or_b64 exec, exec, s[28:29]
.LBB245_5:                              ;   in Loop: Header=BB245_6 Depth=1
	s_or_b64 exec, exec, s[26:27]
	s_ashr_i32 s11, s10, 31
	v_pk_mov_b32 v[0:1], s[12:13], s[12:13] op_sel:[0,1]
	v_cmp_ge_i64_e32 vcc, s[10:11], v[0:1]
	v_add_u32_e32 v17, s6, v17
	s_add_i32 s10, s10, s6
	s_cbranch_vccnz .LBB245_14
.LBB245_6:                              ; =>This Inner Loop Header: Depth=1
	v_cmp_gt_i32_e32 vcc, v8, v17
	s_and_b64 s[26:27], s[0:1], vcc
	s_and_saveexec_b64 s[28:29], s[26:27]
	s_xor_b64 s[26:27], exec, s[28:29]
	s_cbranch_execz .LBB245_8
; %bb.7:                                ;   in Loop: Header=BB245_6 Depth=1
	v_ashrrev_i32_e32 v0, 31, v17
	v_mul_lo_u32 v2, v17, s25
	v_mul_lo_u32 v3, v0, s24
	v_mad_u64_u32 v[0:1], s[28:29], v17, s24, 0
	v_add3_u32 v1, v1, v2, v3
	v_lshlrev_b64 v[0:1], 4, v[0:1]
	v_add_co_u32_e32 v0, vcc, v9, v0
	v_addc_co_u32_e32 v1, vcc, v16, v1, vcc
	global_load_dwordx4 v[0:3], v[0:1], off
	s_load_dword s9, s[20:21], 0xc
	s_waitcnt lgkmcnt(0)
	s_and_b32 s9, s9, 0xffff
	v_mul_lo_u32 v4, v17, s9
	v_lshl_add_u32 v4, v4, 4, v15
	s_waitcnt vmcnt(0)
	ds_write2_b64 v4, v[0:1], v[2:3] offset1:1
.LBB245_8:                              ;   in Loop: Header=BB245_6 Depth=1
	s_andn2_saveexec_b64 s[26:27], s[26:27]
	s_cbranch_execz .LBB245_5
; %bb.9:                                ;   in Loop: Header=BB245_6 Depth=1
	v_cmp_eq_u32_e32 vcc, v8, v17
	s_and_b64 s[30:31], s[0:1], vcc
	s_and_saveexec_b64 s[28:29], s[30:31]
	s_cbranch_execz .LBB245_4
; %bb.10:                               ;   in Loop: Header=BB245_6 Depth=1
	global_load_dwordx4 v[0:3], v[10:11], off
                                        ; implicit-def: $vgpr12_vgpr13
	s_waitcnt vmcnt(0)
	v_xor_b32_e32 v5, 0x80000000, v1
	v_cmp_gt_f64_e32 vcc, 0, v[0:1]
	v_xor_b32_e32 v6, 0x80000000, v3
	v_cndmask_b32_e32 v5, v1, v5, vcc
	v_cmp_gt_f64_e32 vcc, 0, v[2:3]
	v_mov_b32_e32 v4, v0
	v_cndmask_b32_e32 v7, v3, v6, vcc
	v_mov_b32_e32 v6, v2
	v_cmp_ngt_f64_e32 vcc, v[4:5], v[6:7]
	s_and_saveexec_b64 s[30:31], vcc
	s_xor_b64 s[30:31], exec, s[30:31]
                                        ; implicit-def: $vgpr4_vgpr5_vgpr6_vgpr7
	s_cbranch_execz .LBB245_12
; %bb.11:                               ;   in Loop: Header=BB245_6 Depth=1
	v_div_scale_f64 v[4:5], s[34:35], v[2:3], v[2:3], v[0:1]
	v_rcp_f64_e32 v[6:7], v[4:5]
	v_div_scale_f64 v[12:13], vcc, v[0:1], v[2:3], v[0:1]
	v_fma_f64 v[18:19], -v[4:5], v[6:7], 1.0
	v_fmac_f64_e32 v[6:7], v[6:7], v[18:19]
	v_fma_f64 v[18:19], -v[4:5], v[6:7], 1.0
	v_fmac_f64_e32 v[6:7], v[6:7], v[18:19]
	v_mul_f64 v[18:19], v[12:13], v[6:7]
	v_fma_f64 v[4:5], -v[4:5], v[18:19], v[12:13]
	v_div_fmas_f64 v[4:5], v[4:5], v[6:7], v[18:19]
	v_div_fixup_f64 v[4:5], v[4:5], v[2:3], v[0:1]
	v_fmac_f64_e32 v[2:3], v[0:1], v[4:5]
	v_div_scale_f64 v[0:1], s[34:35], v[2:3], v[2:3], 1.0
	v_rcp_f64_e32 v[6:7], v[0:1]
	v_fma_f64 v[12:13], -v[0:1], v[6:7], 1.0
	v_fmac_f64_e32 v[6:7], v[6:7], v[12:13]
	v_fma_f64 v[12:13], -v[0:1], v[6:7], 1.0
	v_fmac_f64_e32 v[6:7], v[6:7], v[12:13]
	v_div_scale_f64 v[12:13], vcc, 1.0, v[2:3], 1.0
	v_mul_f64 v[18:19], v[12:13], v[6:7]
	v_fma_f64 v[0:1], -v[0:1], v[18:19], v[12:13]
	s_nop 1
	v_div_fmas_f64 v[0:1], v[0:1], v[6:7], v[18:19]
	v_div_fixup_f64 v[6:7], v[0:1], v[2:3], 1.0
	v_mul_f64 v[12:13], v[4:5], v[6:7]
	v_xor_b32_e32 v7, 0x80000000, v7
                                        ; implicit-def: $vgpr0_vgpr1
.LBB245_12:                             ;   in Loop: Header=BB245_6 Depth=1
	s_andn2_saveexec_b64 s[30:31], s[30:31]
	s_cbranch_execz .LBB245_3
; %bb.13:                               ;   in Loop: Header=BB245_6 Depth=1
	v_div_scale_f64 v[4:5], s[34:35], v[0:1], v[0:1], v[2:3]
	v_rcp_f64_e32 v[6:7], v[4:5]
	v_div_scale_f64 v[12:13], vcc, v[2:3], v[0:1], v[2:3]
	v_fma_f64 v[18:19], -v[4:5], v[6:7], 1.0
	v_fmac_f64_e32 v[6:7], v[6:7], v[18:19]
	v_fma_f64 v[18:19], -v[4:5], v[6:7], 1.0
	v_fmac_f64_e32 v[6:7], v[6:7], v[18:19]
	v_mul_f64 v[18:19], v[12:13], v[6:7]
	v_fma_f64 v[4:5], -v[4:5], v[18:19], v[12:13]
	v_div_fmas_f64 v[4:5], v[4:5], v[6:7], v[18:19]
	v_div_fixup_f64 v[4:5], v[4:5], v[0:1], v[2:3]
	v_fmac_f64_e32 v[0:1], v[2:3], v[4:5]
	v_div_scale_f64 v[2:3], s[34:35], v[0:1], v[0:1], 1.0
	v_rcp_f64_e32 v[6:7], v[2:3]
	v_fma_f64 v[12:13], -v[2:3], v[6:7], 1.0
	v_fmac_f64_e32 v[6:7], v[6:7], v[12:13]
	v_fma_f64 v[12:13], -v[2:3], v[6:7], 1.0
	v_fmac_f64_e32 v[6:7], v[6:7], v[12:13]
	v_div_scale_f64 v[12:13], vcc, 1.0, v[0:1], 1.0
	v_mul_f64 v[18:19], v[12:13], v[6:7]
	v_fma_f64 v[2:3], -v[2:3], v[18:19], v[12:13]
	s_nop 1
	v_div_fmas_f64 v[2:3], v[2:3], v[6:7], v[18:19]
	v_div_fixup_f64 v[12:13], v[2:3], v[0:1], 1.0
	v_mul_f64 v[6:7], v[4:5], -v[12:13]
	s_branch .LBB245_3
.LBB245_14:
	s_load_dword s9, s[20:21], 0xc
	s_mov_b64 s[0:1], src_shared_base
	s_mov_b32 s23, s1
	s_mov_b32 s25, 0
	s_mov_b64 s[10:11], s[22:23]
	s_waitcnt lgkmcnt(0)
	s_and_b32 s24, s9, 0xffff
.LBB245_15:
	s_mul_i32 s7, s7, s6
	v_add_u32_e32 v0, s7, v14
	v_mov_b32_e32 v1, 0
	v_cmp_gt_i64_e32 vcc, s[14:15], v[0:1]
	s_and_saveexec_b64 s[0:1], vcc
	s_cbranch_execz .LBB245_39
; %bb.16:
	v_mov_b32_e32 v9, v1
	v_cmp_gt_i64_e32 vcc, s[12:13], v[8:9]
	s_and_b64 exec, exec, vcc
	s_cbranch_execz .LBB245_39
; %bb.17:
	s_load_dwordx8 s[36:43], s[4:5], 0x48
	v_lshlrev_b64 v[0:1], 4, v[0:1]
	s_waitcnt lgkmcnt(0)
	s_mul_i32 s1, s8, s43
	s_mul_hi_u32 s6, s8, s42
	s_mul_i32 s0, s8, s42
	s_add_i32 s1, s6, s1
	s_lshl_b64 s[0:1], s[0:1], 4
	s_add_u32 s6, s36, s0
	s_addc_u32 s7, s37, s1
	s_lshl_b64 s[0:1], s[38:39], 4
	s_add_u32 s6, s6, s0
	s_addc_u32 s7, s7, s1
	v_mad_u64_u32 v[2:3], s[0:1], v8, s40, 0
	v_mov_b32_e32 v4, v3
	v_mad_u64_u32 v[4:5], s[0:1], v8, s41, v[4:5]
	v_mov_b32_e32 v3, v4
	v_lshlrev_b64 v[2:3], 4, v[2:3]
	v_mov_b32_e32 v4, s7
	v_add_co_u32_e32 v2, vcc, s6, v2
	v_addc_co_u32_e32 v3, vcc, v4, v3, vcc
	v_add_co_u32_e32 v10, vcc, v2, v0
	v_addc_co_u32_e32 v11, vcc, v3, v1, vcc
	global_load_dwordx4 v[4:7], v[10:11], off
	v_cmp_lt_u64_e64 s[0:1], s[12:13], 2
	s_add_u32 s6, s12, -1
	s_addc_u32 s7, s13, -1
	s_and_b64 vcc, exec, s[0:1]
	s_waitcnt vmcnt(0)
	v_mul_f64 v[0:1], s[18:19], v[6:7]
	v_mul_f64 v[2:3], s[16:17], v[6:7]
	v_fma_f64 v[0:1], s[16:17], v[4:5], -v[0:1]
	v_fmac_f64_e32 v[2:3], s[18:19], v[4:5]
	s_cbranch_vccnz .LBB245_30
; %bb.18:
	s_load_dword s4, s[4:5], 0x0
	v_mad_u64_u32 v[4:5], s[0:1], v8, s24, v[8:9]
	v_mov_b32_e32 v6, v5
	v_lshl_add_u32 v16, v14, 4, 0
	s_waitcnt lgkmcnt(0)
	s_cmpk_eq_i32 s4, 0x71
	v_mad_u64_u32 v[6:7], s[4:5], v8, s25, v[6:7]
	v_mov_b32_e32 v5, v6
	v_lshlrev_b64 v[4:5], 4, v[4:5]
	v_mov_b32_e32 v6, s11
	v_add_co_u32_e32 v12, vcc, s10, v4
	v_addc_co_u32_e32 v13, vcc, v6, v5, vcc
	v_lshlrev_b32_e32 v4, 4, v8
	v_add_co_u32_e32 v14, vcc, s10, v4
	s_cselect_b64 s[0:1], -1, 0
	v_addc_co_u32_e32 v15, vcc, 0, v6, vcc
	s_lshl_b64 s[4:5], s[24:25], 4
	s_mov_b64 s[8:9], 0
	s_branch .LBB245_20
.LBB245_19:                             ;   in Loop: Header=BB245_20 Depth=1
	s_or_b64 exec, exec, s[12:13]
	s_add_u32 s8, s8, 1
	s_addc_u32 s9, s9, 0
	v_mov_b32_e32 v4, s5
	v_add_co_u32_e32 v14, vcc, s4, v14
	s_cmp_eq_u64 s[6:7], s[8:9]
	v_addc_co_u32_e32 v15, vcc, v15, v4, vcc
	s_cbranch_scc1 .LBB245_30
.LBB245_20:                             ; =>This Inner Loop Header: Depth=1
	v_cmp_eq_u64_e32 vcc, s[8:9], v[8:9]
	s_barrier
	s_and_saveexec_b64 s[12:13], vcc
	s_cbranch_execz .LBB245_28
; %bb.21:                               ;   in Loop: Header=BB245_20 Depth=1
	flat_load_dwordx4 v[4:7], v[12:13]
	s_andn2_b64 vcc, exec, s[2:3]
	s_cbranch_vccnz .LBB245_27
; %bb.22:                               ;   in Loop: Header=BB245_20 Depth=1
	s_waitcnt vmcnt(0) lgkmcnt(0)
	v_xor_b32_e32 v17, 0x80000000, v5
	v_cmp_gt_f64_e32 vcc, 0, v[4:5]
	v_cndmask_b32_e32 v19, v5, v17, vcc
	v_cndmask_b32_e32 v18, v4, v4, vcc
	v_xor_b32_e32 v17, 0x80000000, v7
	v_cmp_gt_f64_e32 vcc, 0, v[6:7]
	v_cndmask_b32_e32 v21, v7, v17, vcc
	v_cndmask_b32_e32 v20, v6, v6, vcc
	v_cmp_ngt_f64_e32 vcc, v[18:19], v[20:21]
	s_and_saveexec_b64 s[14:15], vcc
	s_xor_b64 s[14:15], exec, s[14:15]
	s_cbranch_execz .LBB245_24
; %bb.23:                               ;   in Loop: Header=BB245_20 Depth=1
	v_div_scale_f64 v[18:19], s[16:17], v[6:7], v[6:7], v[4:5]
	v_rcp_f64_e32 v[20:21], v[18:19]
	v_div_scale_f64 v[22:23], vcc, v[4:5], v[6:7], v[4:5]
	v_fma_f64 v[24:25], -v[18:19], v[20:21], 1.0
	v_fmac_f64_e32 v[20:21], v[20:21], v[24:25]
	v_fma_f64 v[24:25], -v[18:19], v[20:21], 1.0
	v_fmac_f64_e32 v[20:21], v[20:21], v[24:25]
	v_mul_f64 v[24:25], v[22:23], v[20:21]
	v_fma_f64 v[18:19], -v[18:19], v[24:25], v[22:23]
	v_div_fmas_f64 v[18:19], v[18:19], v[20:21], v[24:25]
	v_div_fixup_f64 v[18:19], v[18:19], v[6:7], v[4:5]
	v_fmac_f64_e32 v[6:7], v[4:5], v[18:19]
	v_div_scale_f64 v[4:5], s[16:17], v[6:7], v[6:7], 1.0
	v_rcp_f64_e32 v[20:21], v[4:5]
	v_fma_f64 v[22:23], -v[4:5], v[20:21], 1.0
	v_fmac_f64_e32 v[20:21], v[20:21], v[22:23]
	v_fma_f64 v[22:23], -v[4:5], v[20:21], 1.0
	v_fmac_f64_e32 v[20:21], v[20:21], v[22:23]
	v_div_scale_f64 v[22:23], vcc, 1.0, v[6:7], 1.0
	v_mul_f64 v[24:25], v[22:23], v[20:21]
	v_fma_f64 v[4:5], -v[4:5], v[24:25], v[22:23]
	s_nop 1
	v_div_fmas_f64 v[4:5], v[4:5], v[20:21], v[24:25]
	v_div_fixup_f64 v[6:7], v[4:5], v[6:7], 1.0
	v_mul_f64 v[4:5], v[18:19], v[6:7]
	v_xor_b32_e32 v7, 0x80000000, v7
.LBB245_24:                             ;   in Loop: Header=BB245_20 Depth=1
	s_andn2_saveexec_b64 s[14:15], s[14:15]
	s_cbranch_execz .LBB245_26
; %bb.25:                               ;   in Loop: Header=BB245_20 Depth=1
	v_div_scale_f64 v[18:19], s[16:17], v[4:5], v[4:5], v[6:7]
	v_rcp_f64_e32 v[20:21], v[18:19]
	v_div_scale_f64 v[22:23], vcc, v[6:7], v[4:5], v[6:7]
	v_fma_f64 v[24:25], -v[18:19], v[20:21], 1.0
	v_fmac_f64_e32 v[20:21], v[20:21], v[24:25]
	v_fma_f64 v[24:25], -v[18:19], v[20:21], 1.0
	v_fmac_f64_e32 v[20:21], v[20:21], v[24:25]
	v_mul_f64 v[24:25], v[22:23], v[20:21]
	v_fma_f64 v[18:19], -v[18:19], v[24:25], v[22:23]
	v_div_fmas_f64 v[18:19], v[18:19], v[20:21], v[24:25]
	v_div_fixup_f64 v[18:19], v[18:19], v[4:5], v[6:7]
	v_fmac_f64_e32 v[4:5], v[6:7], v[18:19]
	v_div_scale_f64 v[6:7], s[16:17], v[4:5], v[4:5], 1.0
	v_rcp_f64_e32 v[20:21], v[6:7]
	v_fma_f64 v[22:23], -v[6:7], v[20:21], 1.0
	v_fmac_f64_e32 v[20:21], v[20:21], v[22:23]
	v_fma_f64 v[22:23], -v[6:7], v[20:21], 1.0
	v_fmac_f64_e32 v[20:21], v[20:21], v[22:23]
	v_div_scale_f64 v[22:23], vcc, 1.0, v[4:5], 1.0
	v_mul_f64 v[24:25], v[22:23], v[20:21]
	v_fma_f64 v[6:7], -v[6:7], v[24:25], v[22:23]
	s_nop 1
	v_div_fmas_f64 v[6:7], v[6:7], v[20:21], v[24:25]
	v_div_fixup_f64 v[4:5], v[6:7], v[4:5], 1.0
	v_mul_f64 v[6:7], v[18:19], -v[4:5]
.LBB245_26:                             ;   in Loop: Header=BB245_20 Depth=1
	s_or_b64 exec, exec, s[14:15]
.LBB245_27:                             ;   in Loop: Header=BB245_20 Depth=1
	s_waitcnt vmcnt(0) lgkmcnt(0)
	v_mul_f64 v[18:19], v[2:3], v[6:7]
	v_fma_f64 v[18:19], v[0:1], v[4:5], -v[18:19]
	v_mul_f64 v[0:1], v[0:1], v[6:7]
	v_fmac_f64_e32 v[0:1], v[2:3], v[4:5]
	ds_write2_b64 v16, v[18:19], v[0:1] offset1:1
	v_pk_mov_b32 v[2:3], v[0:1], v[0:1] op_sel:[0,1]
	v_pk_mov_b32 v[0:1], v[18:19], v[18:19] op_sel:[0,1]
.LBB245_28:                             ;   in Loop: Header=BB245_20 Depth=1
	s_or_b64 exec, exec, s[12:13]
	v_cmp_lt_u64_e32 vcc, s[8:9], v[8:9]
	s_waitcnt lgkmcnt(0)
	s_barrier
	s_and_saveexec_b64 s[12:13], vcc
	s_cbranch_execz .LBB245_19
; %bb.29:                               ;   in Loop: Header=BB245_20 Depth=1
	flat_load_dwordx4 v[4:7], v[14:15]
	ds_read2_b64 v[18:21], v16 offset1:1
	s_waitcnt vmcnt(0) lgkmcnt(0)
	v_xor_b32_e32 v17, 0x80000000, v7
	v_cndmask_b32_e64 v7, v7, v17, s[0:1]
	v_mul_f64 v[22:23], v[4:5], v[20:21]
	v_mul_f64 v[20:21], v[6:7], v[20:21]
	v_fmac_f64_e32 v[22:23], v[6:7], v[18:19]
	v_fma_f64 v[4:5], v[4:5], v[18:19], -v[20:21]
	v_add_f64 v[0:1], v[0:1], -v[4:5]
	v_add_f64 v[2:3], v[2:3], -v[22:23]
	s_branch .LBB245_19
.LBB245_30:
	v_cmp_eq_u64_e32 vcc, s[6:7], v[8:9]
	s_and_saveexec_b64 s[0:1], vcc
	s_cbranch_execz .LBB245_38
; %bb.31:
	v_mad_u64_u32 v[4:5], s[4:5], v8, s24, v[8:9]
	v_mov_b32_e32 v6, v5
	v_mad_u64_u32 v[6:7], s[4:5], v8, s25, v[6:7]
	v_mov_b32_e32 v5, v6
	v_lshlrev_b64 v[4:5], 4, v[4:5]
	v_mov_b32_e32 v6, s11
	v_add_co_u32_e32 v4, vcc, s10, v4
	v_addc_co_u32_e32 v5, vcc, v6, v5, vcc
	flat_load_dwordx4 v[4:7], v[4:5]
	s_andn2_b64 vcc, exec, s[2:3]
	s_cbranch_vccnz .LBB245_37
; %bb.32:
	s_waitcnt vmcnt(0) lgkmcnt(0)
	v_xor_b32_e32 v8, 0x80000000, v5
	v_cmp_gt_f64_e32 vcc, 0, v[4:5]
	v_cndmask_b32_e32 v9, v5, v8, vcc
	v_cndmask_b32_e32 v8, v4, v4, vcc
	v_xor_b32_e32 v12, 0x80000000, v7
	v_cmp_gt_f64_e32 vcc, 0, v[6:7]
	v_cndmask_b32_e32 v13, v7, v12, vcc
	v_cndmask_b32_e32 v12, v6, v6, vcc
	v_cmp_ngt_f64_e32 vcc, v[8:9], v[12:13]
	s_and_saveexec_b64 s[2:3], vcc
	s_xor_b64 s[2:3], exec, s[2:3]
	s_cbranch_execz .LBB245_34
; %bb.33:
	v_div_scale_f64 v[8:9], s[4:5], v[6:7], v[6:7], v[4:5]
	v_rcp_f64_e32 v[12:13], v[8:9]
	v_div_scale_f64 v[14:15], vcc, v[4:5], v[6:7], v[4:5]
	v_fma_f64 v[16:17], -v[8:9], v[12:13], 1.0
	v_fmac_f64_e32 v[12:13], v[12:13], v[16:17]
	v_fma_f64 v[16:17], -v[8:9], v[12:13], 1.0
	v_fmac_f64_e32 v[12:13], v[12:13], v[16:17]
	v_mul_f64 v[16:17], v[14:15], v[12:13]
	v_fma_f64 v[8:9], -v[8:9], v[16:17], v[14:15]
	v_div_fmas_f64 v[8:9], v[8:9], v[12:13], v[16:17]
	v_div_fixup_f64 v[8:9], v[8:9], v[6:7], v[4:5]
	v_fmac_f64_e32 v[6:7], v[4:5], v[8:9]
	v_div_scale_f64 v[4:5], s[4:5], v[6:7], v[6:7], 1.0
	v_rcp_f64_e32 v[12:13], v[4:5]
	v_fma_f64 v[14:15], -v[4:5], v[12:13], 1.0
	v_fmac_f64_e32 v[12:13], v[12:13], v[14:15]
	v_fma_f64 v[14:15], -v[4:5], v[12:13], 1.0
	v_fmac_f64_e32 v[12:13], v[12:13], v[14:15]
	v_div_scale_f64 v[14:15], vcc, 1.0, v[6:7], 1.0
	v_mul_f64 v[16:17], v[14:15], v[12:13]
	v_fma_f64 v[4:5], -v[4:5], v[16:17], v[14:15]
	s_nop 1
	v_div_fmas_f64 v[4:5], v[4:5], v[12:13], v[16:17]
	v_div_fixup_f64 v[6:7], v[4:5], v[6:7], 1.0
	v_mul_f64 v[4:5], v[8:9], v[6:7]
	v_xor_b32_e32 v7, 0x80000000, v7
.LBB245_34:
	s_andn2_saveexec_b64 s[2:3], s[2:3]
	s_cbranch_execz .LBB245_36
; %bb.35:
	v_div_scale_f64 v[8:9], s[4:5], v[4:5], v[4:5], v[6:7]
	v_rcp_f64_e32 v[12:13], v[8:9]
	v_div_scale_f64 v[14:15], vcc, v[6:7], v[4:5], v[6:7]
	v_fma_f64 v[16:17], -v[8:9], v[12:13], 1.0
	v_fmac_f64_e32 v[12:13], v[12:13], v[16:17]
	v_fma_f64 v[16:17], -v[8:9], v[12:13], 1.0
	v_fmac_f64_e32 v[12:13], v[12:13], v[16:17]
	v_mul_f64 v[16:17], v[14:15], v[12:13]
	v_fma_f64 v[8:9], -v[8:9], v[16:17], v[14:15]
	v_div_fmas_f64 v[8:9], v[8:9], v[12:13], v[16:17]
	v_div_fixup_f64 v[8:9], v[8:9], v[4:5], v[6:7]
	v_fmac_f64_e32 v[4:5], v[6:7], v[8:9]
	v_div_scale_f64 v[6:7], s[4:5], v[4:5], v[4:5], 1.0
	v_rcp_f64_e32 v[12:13], v[6:7]
	v_fma_f64 v[14:15], -v[6:7], v[12:13], 1.0
	v_fmac_f64_e32 v[12:13], v[12:13], v[14:15]
	v_fma_f64 v[14:15], -v[6:7], v[12:13], 1.0
	v_fmac_f64_e32 v[12:13], v[12:13], v[14:15]
	v_div_scale_f64 v[14:15], vcc, 1.0, v[4:5], 1.0
	v_mul_f64 v[16:17], v[14:15], v[12:13]
	v_fma_f64 v[6:7], -v[6:7], v[16:17], v[14:15]
	s_nop 1
	v_div_fmas_f64 v[6:7], v[6:7], v[12:13], v[16:17]
	v_div_fixup_f64 v[4:5], v[6:7], v[4:5], 1.0
	v_mul_f64 v[6:7], v[8:9], -v[4:5]
.LBB245_36:
	s_or_b64 exec, exec, s[2:3]
.LBB245_37:
	s_waitcnt vmcnt(0) lgkmcnt(0)
	v_mul_f64 v[8:9], v[2:3], v[6:7]
	v_fma_f64 v[8:9], v[0:1], v[4:5], -v[8:9]
	v_mul_f64 v[2:3], v[2:3], v[4:5]
	v_fmac_f64_e32 v[2:3], v[0:1], v[6:7]
	v_pk_mov_b32 v[0:1], v[8:9], v[8:9] op_sel:[0,1]
.LBB245_38:
	s_or_b64 exec, exec, s[0:1]
	global_store_dwordx4 v[10:11], v[0:3], off
.LBB245_39:
	s_endpgm
	.section	.rodata,"a",@progbits
	.p2align	6, 0x0
	.amdhsa_kernel _ZL39rocblas_trsm_block_forward_substitutionI19rocblas_complex_numIdES1_PKS1_PS1_Lb0ELb1ELb0EEv18rocblas_operation_llT0_T1_lllT2_lllib
		.amdhsa_group_segment_fixed_size 0
		.amdhsa_private_segment_fixed_size 0
		.amdhsa_kernarg_size 368
		.amdhsa_user_sgpr_count 6
		.amdhsa_user_sgpr_private_segment_buffer 1
		.amdhsa_user_sgpr_dispatch_ptr 0
		.amdhsa_user_sgpr_queue_ptr 0
		.amdhsa_user_sgpr_kernarg_segment_ptr 1
		.amdhsa_user_sgpr_dispatch_id 0
		.amdhsa_user_sgpr_flat_scratch_init 0
		.amdhsa_user_sgpr_kernarg_preload_length 0
		.amdhsa_user_sgpr_kernarg_preload_offset 0
		.amdhsa_user_sgpr_private_segment_size 0
		.amdhsa_uses_dynamic_stack 0
		.amdhsa_system_sgpr_private_segment_wavefront_offset 0
		.amdhsa_system_sgpr_workgroup_id_x 1
		.amdhsa_system_sgpr_workgroup_id_y 1
		.amdhsa_system_sgpr_workgroup_id_z 1
		.amdhsa_system_sgpr_workgroup_info 0
		.amdhsa_system_vgpr_workitem_id 1
		.amdhsa_next_free_vgpr 26
		.amdhsa_next_free_sgpr 44
		.amdhsa_accum_offset 28
		.amdhsa_reserve_vcc 1
		.amdhsa_reserve_flat_scratch 0
		.amdhsa_float_round_mode_32 0
		.amdhsa_float_round_mode_16_64 0
		.amdhsa_float_denorm_mode_32 3
		.amdhsa_float_denorm_mode_16_64 3
		.amdhsa_dx10_clamp 1
		.amdhsa_ieee_mode 1
		.amdhsa_fp16_overflow 0
		.amdhsa_tg_split 0
		.amdhsa_exception_fp_ieee_invalid_op 0
		.amdhsa_exception_fp_denorm_src 0
		.amdhsa_exception_fp_ieee_div_zero 0
		.amdhsa_exception_fp_ieee_overflow 0
		.amdhsa_exception_fp_ieee_underflow 0
		.amdhsa_exception_fp_ieee_inexact 0
		.amdhsa_exception_int_div_zero 0
	.end_amdhsa_kernel
	.section	.text._ZL39rocblas_trsm_block_forward_substitutionI19rocblas_complex_numIdES1_PKS1_PS1_Lb0ELb1ELb0EEv18rocblas_operation_llT0_T1_lllT2_lllib,"axG",@progbits,_ZL39rocblas_trsm_block_forward_substitutionI19rocblas_complex_numIdES1_PKS1_PS1_Lb0ELb1ELb0EEv18rocblas_operation_llT0_T1_lllT2_lllib,comdat
.Lfunc_end245:
	.size	_ZL39rocblas_trsm_block_forward_substitutionI19rocblas_complex_numIdES1_PKS1_PS1_Lb0ELb1ELb0EEv18rocblas_operation_llT0_T1_lllT2_lllib, .Lfunc_end245-_ZL39rocblas_trsm_block_forward_substitutionI19rocblas_complex_numIdES1_PKS1_PS1_Lb0ELb1ELb0EEv18rocblas_operation_llT0_T1_lllT2_lllib
                                        ; -- End function
	.section	.AMDGPU.csdata,"",@progbits
; Kernel info:
; codeLenInByte = 2436
; NumSgprs: 48
; NumVgprs: 26
; NumAgprs: 0
; TotalNumVgprs: 26
; ScratchSize: 0
; MemoryBound: 1
; FloatMode: 240
; IeeeMode: 1
; LDSByteSize: 0 bytes/workgroup (compile time only)
; SGPRBlocks: 5
; VGPRBlocks: 3
; NumSGPRsForWavesPerEU: 48
; NumVGPRsForWavesPerEU: 26
; AccumOffset: 28
; Occupancy: 8
; WaveLimiterHint : 1
; COMPUTE_PGM_RSRC2:SCRATCH_EN: 0
; COMPUTE_PGM_RSRC2:USER_SGPR: 6
; COMPUTE_PGM_RSRC2:TRAP_HANDLER: 0
; COMPUTE_PGM_RSRC2:TGID_X_EN: 1
; COMPUTE_PGM_RSRC2:TGID_Y_EN: 1
; COMPUTE_PGM_RSRC2:TGID_Z_EN: 1
; COMPUTE_PGM_RSRC2:TIDIG_COMP_CNT: 1
; COMPUTE_PGM_RSRC3_GFX90A:ACCUM_OFFSET: 6
; COMPUTE_PGM_RSRC3_GFX90A:TG_SPLIT: 0
	.section	.text._ZL40rocblas_trsm_block_backward_substitutionI19rocblas_complex_numIdES1_PKS1_PS1_Lb0ELb1ELb0EEv18rocblas_operation_llT0_T1_lllT2_lllib,"axG",@progbits,_ZL40rocblas_trsm_block_backward_substitutionI19rocblas_complex_numIdES1_PKS1_PS1_Lb0ELb1ELb0EEv18rocblas_operation_llT0_T1_lllT2_lllib,comdat
	.globl	_ZL40rocblas_trsm_block_backward_substitutionI19rocblas_complex_numIdES1_PKS1_PS1_Lb0ELb1ELb0EEv18rocblas_operation_llT0_T1_lllT2_lllib ; -- Begin function _ZL40rocblas_trsm_block_backward_substitutionI19rocblas_complex_numIdES1_PKS1_PS1_Lb0ELb1ELb0EEv18rocblas_operation_llT0_T1_lllT2_lllib
	.p2align	8
	.type	_ZL40rocblas_trsm_block_backward_substitutionI19rocblas_complex_numIdES1_PKS1_PS1_Lb0ELb1ELb0EEv18rocblas_operation_llT0_T1_lllT2_lllib,@function
_ZL40rocblas_trsm_block_backward_substitutionI19rocblas_complex_numIdES1_PKS1_PS1_Lb0ELb1ELb0EEv18rocblas_operation_llT0_T1_lllT2_lllib: ; @_ZL40rocblas_trsm_block_backward_substitutionI19rocblas_complex_numIdES1_PKS1_PS1_Lb0ELb1ELb0EEv18rocblas_operation_llT0_T1_lllT2_lllib
; %bb.0:
	s_load_dwordx16 s[12:27], s[4:5], 0x8
	s_load_dword s0, s[4:5], 0x6c
	s_load_dword s6, s[4:5], 0x7c
	v_and_b32_e32 v8, 0x3ff, v0
	v_bfe_u32 v16, v0, 10, 10
	s_waitcnt lgkmcnt(0)
	s_bitcmp1_b32 s0, 0
	s_cselect_b64 s[0:1], -1, 0
	s_xor_b64 s[10:11], s[0:1], -1
	s_mul_i32 s0, s8, s27
	s_mul_hi_u32 s1, s8, s26
	s_add_i32 s1, s1, s0
	s_mul_i32 s0, s8, s26
	s_lshl_b64 s[0:1], s[0:1], 4
	s_add_u32 s2, s20, s0
	s_addc_u32 s3, s21, s1
	s_lshl_b64 s[0:1], s[22:23], 4
	s_add_u32 s2, s2, s0
	s_addc_u32 s3, s3, s1
	s_add_u32 s22, s4, 0x70
	s_addc_u32 s23, s5, 0
	s_lshr_b32 s6, s6, 16
	s_mov_b64 s[20:21], 1
	s_and_b64 vcc, exec, s[10:11]
	s_cbranch_vccnz .LBB246_15
; %bb.1:
	s_lshl_b32 s0, s6, 4
	s_add_i32 s26, s0, 0
	v_cmp_lt_i64_e64 s[0:1], s[12:13], 1
	s_mov_b64 s[28:29], 1
	s_and_b64 vcc, exec, s[0:1]
	s_cbranch_vccnz .LBB246_16
; %bb.2:
	v_mad_u64_u32 v[0:1], s[30:31], v8, s24, 0
	v_mov_b32_e32 v2, v1
	v_mad_u64_u32 v[2:3], s[24:25], v8, s25, v[2:3]
	v_mov_b32_e32 v1, v2
	v_mov_b32_e32 v9, 0
	v_lshlrev_b64 v[0:1], 4, v[0:1]
	v_cmp_le_u64_e64 s[20:21], s[12:13], v[8:9]
	v_cmp_gt_u64_e64 s[0:1], s[12:13], v[8:9]
	v_mov_b32_e32 v2, s3
	v_add_co_u32_e32 v9, vcc, s2, v0
	v_lshlrev_b32_e32 v4, 4, v8
	v_addc_co_u32_e32 v18, vcc, v2, v1, vcc
	v_add_co_u32_e32 v10, vcc, v9, v4
	v_add_u32_e32 v17, s26, v4
	v_addc_co_u32_e32 v11, vcc, 0, v18, vcc
	s_xor_b64 s[24:25], s[20:21], -1
	s_mov_b32 s30, s6
	v_mov_b32_e32 v12, v16
	s_branch .LBB246_5
.LBB246_3:                              ;   in Loop: Header=BB246_5 Depth=1
	s_or_b64 exec, exec, s[34:35]
	s_load_dword s9, s[22:23], 0xc
	s_waitcnt lgkmcnt(0)
	s_and_b32 s9, s9, 0xffff
	v_mul_u32_u24_e32 v0, s9, v8
	v_lshl_add_u32 v0, v0, 4, v17
	ds_write2_b64 v0, v[14:15], v[6:7] offset1:1
.LBB246_4:                              ;   in Loop: Header=BB246_5 Depth=1
	s_or_b64 exec, exec, s[2:3]
	s_ashr_i32 s31, s30, 31
	v_pk_mov_b32 v[0:1], s[12:13], s[12:13] op_sel:[0,1]
	v_cmp_ge_i64_e32 vcc, s[30:31], v[0:1]
	v_add_u32_e32 v12, s6, v12
	s_add_i32 s30, s30, s6
	s_cbranch_vccnz .LBB246_16
.LBB246_5:                              ; =>This Inner Loop Header: Depth=1
	s_mov_b64 s[36:37], s[20:21]
	s_and_saveexec_b64 s[34:35], s[0:1]
	s_cbranch_execz .LBB246_9
; %bb.6:                                ;   in Loop: Header=BB246_5 Depth=1
	v_ashrrev_i32_e32 v13, 31, v12
	v_cmp_gt_i64_e32 vcc, s[12:13], v[12:13]
	v_cmp_lt_i32_e64 s[2:3], v8, v12
	s_and_b64 s[38:39], s[2:3], vcc
	s_mov_b64 s[36:37], -1
	s_and_saveexec_b64 s[2:3], s[38:39]
	s_cbranch_execz .LBB246_8
; %bb.7:                                ;   in Loop: Header=BB246_5 Depth=1
	v_lshlrev_b64 v[0:1], 4, v[12:13]
	v_add_co_u32_e32 v0, vcc, v9, v0
	v_addc_co_u32_e32 v1, vcc, v18, v1, vcc
	global_load_dwordx4 v[0:3], v[0:1], off
	s_load_dword s9, s[22:23], 0xc
	s_xor_b64 s[36:37], exec, -1
	s_waitcnt lgkmcnt(0)
	s_and_b32 s9, s9, 0xffff
	v_mul_lo_u32 v4, v12, s9
	v_lshl_add_u32 v4, v4, 4, v17
	s_waitcnt vmcnt(0)
	ds_write2_b64 v4, v[0:1], v[2:3] offset1:1
.LBB246_8:                              ;   in Loop: Header=BB246_5 Depth=1
	s_or_b64 exec, exec, s[2:3]
	s_andn2_b64 s[2:3], s[20:21], exec
	s_and_b64 s[36:37], s[36:37], exec
	s_or_b64 s[36:37], s[2:3], s[36:37]
.LBB246_9:                              ;   in Loop: Header=BB246_5 Depth=1
	s_or_b64 exec, exec, s[34:35]
	s_and_saveexec_b64 s[2:3], s[36:37]
	s_cbranch_execz .LBB246_4
; %bb.10:                               ;   in Loop: Header=BB246_5 Depth=1
	v_cmp_eq_u32_e32 vcc, v8, v12
	s_and_b64 s[34:35], s[24:25], vcc
	s_and_b64 exec, exec, s[34:35]
	s_cbranch_execz .LBB246_4
; %bb.11:                               ;   in Loop: Header=BB246_5 Depth=1
	global_load_dwordx4 v[0:3], v[10:11], off
                                        ; implicit-def: $vgpr14_vgpr15
	s_waitcnt vmcnt(0)
	v_xor_b32_e32 v5, 0x80000000, v1
	v_cmp_gt_f64_e32 vcc, 0, v[0:1]
	v_xor_b32_e32 v6, 0x80000000, v3
	v_cndmask_b32_e32 v5, v1, v5, vcc
	v_cmp_gt_f64_e32 vcc, 0, v[2:3]
	v_mov_b32_e32 v4, v0
	v_cndmask_b32_e32 v7, v3, v6, vcc
	v_mov_b32_e32 v6, v2
	v_cmp_ngt_f64_e32 vcc, v[4:5], v[6:7]
	s_and_saveexec_b64 s[34:35], vcc
	s_xor_b64 s[34:35], exec, s[34:35]
                                        ; implicit-def: $vgpr4_vgpr5_vgpr6_vgpr7
	s_cbranch_execz .LBB246_13
; %bb.12:                               ;   in Loop: Header=BB246_5 Depth=1
	v_div_scale_f64 v[4:5], s[36:37], v[2:3], v[2:3], v[0:1]
	v_rcp_f64_e32 v[6:7], v[4:5]
	v_div_scale_f64 v[14:15], vcc, v[0:1], v[2:3], v[0:1]
	v_fma_f64 v[20:21], -v[4:5], v[6:7], 1.0
	v_fmac_f64_e32 v[6:7], v[6:7], v[20:21]
	v_fma_f64 v[20:21], -v[4:5], v[6:7], 1.0
	v_fmac_f64_e32 v[6:7], v[6:7], v[20:21]
	v_mul_f64 v[20:21], v[14:15], v[6:7]
	v_fma_f64 v[4:5], -v[4:5], v[20:21], v[14:15]
	v_div_fmas_f64 v[4:5], v[4:5], v[6:7], v[20:21]
	v_div_fixup_f64 v[4:5], v[4:5], v[2:3], v[0:1]
	v_fmac_f64_e32 v[2:3], v[0:1], v[4:5]
	v_div_scale_f64 v[0:1], s[36:37], v[2:3], v[2:3], 1.0
	v_rcp_f64_e32 v[6:7], v[0:1]
	v_fma_f64 v[14:15], -v[0:1], v[6:7], 1.0
	v_fmac_f64_e32 v[6:7], v[6:7], v[14:15]
	v_fma_f64 v[14:15], -v[0:1], v[6:7], 1.0
	v_fmac_f64_e32 v[6:7], v[6:7], v[14:15]
	v_div_scale_f64 v[14:15], vcc, 1.0, v[2:3], 1.0
	v_mul_f64 v[20:21], v[14:15], v[6:7]
	v_fma_f64 v[0:1], -v[0:1], v[20:21], v[14:15]
	s_nop 1
	v_div_fmas_f64 v[0:1], v[0:1], v[6:7], v[20:21]
	v_div_fixup_f64 v[6:7], v[0:1], v[2:3], 1.0
	v_mul_f64 v[14:15], v[4:5], v[6:7]
	v_xor_b32_e32 v7, 0x80000000, v7
                                        ; implicit-def: $vgpr0_vgpr1
.LBB246_13:                             ;   in Loop: Header=BB246_5 Depth=1
	s_andn2_saveexec_b64 s[34:35], s[34:35]
	s_cbranch_execz .LBB246_3
; %bb.14:                               ;   in Loop: Header=BB246_5 Depth=1
	v_div_scale_f64 v[4:5], s[36:37], v[0:1], v[0:1], v[2:3]
	v_rcp_f64_e32 v[6:7], v[4:5]
	v_div_scale_f64 v[14:15], vcc, v[2:3], v[0:1], v[2:3]
	v_fma_f64 v[20:21], -v[4:5], v[6:7], 1.0
	v_fmac_f64_e32 v[6:7], v[6:7], v[20:21]
	v_fma_f64 v[20:21], -v[4:5], v[6:7], 1.0
	v_fmac_f64_e32 v[6:7], v[6:7], v[20:21]
	v_mul_f64 v[20:21], v[14:15], v[6:7]
	v_fma_f64 v[4:5], -v[4:5], v[20:21], v[14:15]
	v_div_fmas_f64 v[4:5], v[4:5], v[6:7], v[20:21]
	v_div_fixup_f64 v[4:5], v[4:5], v[0:1], v[2:3]
	v_fmac_f64_e32 v[0:1], v[2:3], v[4:5]
	v_div_scale_f64 v[2:3], s[36:37], v[0:1], v[0:1], 1.0
	v_rcp_f64_e32 v[6:7], v[2:3]
	v_fma_f64 v[14:15], -v[2:3], v[6:7], 1.0
	v_fmac_f64_e32 v[6:7], v[6:7], v[14:15]
	v_fma_f64 v[14:15], -v[2:3], v[6:7], 1.0
	v_fmac_f64_e32 v[6:7], v[6:7], v[14:15]
	v_div_scale_f64 v[14:15], vcc, 1.0, v[0:1], 1.0
	v_mul_f64 v[20:21], v[14:15], v[6:7]
	v_fma_f64 v[2:3], -v[2:3], v[20:21], v[14:15]
	s_nop 1
	v_div_fmas_f64 v[2:3], v[2:3], v[6:7], v[20:21]
	v_div_fixup_f64 v[14:15], v[2:3], v[0:1], 1.0
	v_mul_f64 v[6:7], v[4:5], -v[14:15]
	s_branch .LBB246_3
.LBB246_15:
	s_mov_b32 s28, s24
	s_mov_b32 s29, s25
	s_branch .LBB246_17
.LBB246_16:
	s_load_dword s2, s[22:23], 0xc
	s_mov_b64 s[0:1], src_shared_base
	s_mov_b32 s27, s1
	s_mov_b32 s21, 0
	s_waitcnt lgkmcnt(0)
	s_and_b32 s20, s2, 0xffff
	s_mov_b64 s[2:3], s[26:27]
.LBB246_17:
	s_mul_i32 s7, s7, s6
	v_add_u32_e32 v0, s7, v16
	v_mov_b32_e32 v1, 0
	v_cmp_gt_i64_e32 vcc, s[14:15], v[0:1]
	s_and_saveexec_b64 s[0:1], vcc
	s_cbranch_execz .LBB246_42
; %bb.18:
	v_mov_b32_e32 v9, v1
	v_cmp_gt_i64_e32 vcc, s[12:13], v[8:9]
	s_and_b64 exec, exec, vcc
	s_cbranch_execz .LBB246_42
; %bb.19:
	s_load_dwordx8 s[36:43], s[4:5], 0x48
	s_waitcnt lgkmcnt(0)
	s_mul_i32 s1, s8, s43
	s_mul_hi_u32 s6, s8, s42
	s_mul_i32 s0, s8, s42
	s_add_i32 s1, s6, s1
	s_lshl_b64 s[0:1], s[0:1], 4
	s_add_u32 s6, s36, s0
	s_addc_u32 s7, s37, s1
	s_lshl_b64 s[0:1], s[38:39], 4
	s_add_u32 s6, s6, s0
	s_addc_u32 s7, s7, s1
	v_mad_u64_u32 v[2:3], s[0:1], v0, s40, 0
	v_mov_b32_e32 v4, v3
	v_mad_u64_u32 v[0:1], s[0:1], v0, s41, v[4:5]
	v_mov_b32_e32 v3, v0
	v_lshlrev_b64 v[0:1], 4, v[2:3]
	v_mov_b32_e32 v2, s7
	v_add_co_u32_e32 v0, vcc, s6, v0
	v_addc_co_u32_e32 v1, vcc, v2, v1, vcc
	v_lshlrev_b32_e32 v2, 4, v8
	v_add_co_u32_e32 v10, vcc, v0, v2
	v_addc_co_u32_e32 v11, vcc, 0, v1, vcc
	global_load_dwordx4 v[4:7], v[10:11], off
	v_cmp_lt_u64_e64 s[0:1], s[12:13], 2
	s_and_b64 vcc, exec, s[0:1]
	s_waitcnt vmcnt(0)
	v_mul_f64 v[0:1], s[18:19], v[6:7]
	v_mul_f64 v[2:3], s[16:17], v[6:7]
	v_fma_f64 v[0:1], s[16:17], v[4:5], -v[0:1]
	v_fmac_f64_e32 v[2:3], s[18:19], v[4:5]
	s_cbranch_vccnz .LBB246_33
; %bb.20:
	s_load_dword s0, s[4:5], 0x0
	v_lshl_add_u32 v16, v16, 4, 0
	s_waitcnt lgkmcnt(0)
	s_cmpk_eq_i32 s0, 0x71
	s_cselect_b64 s[0:1], -1, 0
	s_add_u32 s4, s20, s28
	v_mad_u64_u32 v[4:5], s[4:5], s4, v8, 0
	s_addc_u32 s6, s21, s29
	v_mov_b32_e32 v6, v5
	v_mad_u64_u32 v[6:7], s[4:5], s6, v8, v[6:7]
	v_mov_b32_e32 v5, v6
	v_lshlrev_b64 v[4:5], 4, v[4:5]
	v_mov_b32_e32 v6, s3
	v_add_co_u32_e32 v12, vcc, s2, v4
	v_addc_co_u32_e32 v13, vcc, v6, v5, vcc
	v_mad_u64_u32 v[4:5], s[4:5], s28, v8, 0
	v_mov_b32_e32 v6, v5
	v_mad_u64_u32 v[6:7], s[4:5], s29, v8, v[6:7]
	s_add_u32 s4, s12, -1
	s_addc_u32 s5, s13, -1
	s_mul_i32 s6, s20, s5
	s_mul_hi_u32 s7, s20, s4
	s_add_i32 s7, s7, s6
	s_mul_i32 s6, s20, s4
	v_mov_b32_e32 v5, v6
	s_lshl_b64 s[6:7], s[6:7], 4
	v_lshlrev_b64 v[4:5], 4, v[4:5]
	s_add_u32 s6, s2, s6
	s_addc_u32 s7, s3, s7
	v_add_co_u32_e32 v14, vcc, s6, v4
	s_lshl_b32 s6, s20, 4
	v_mov_b32_e32 v6, s7
	s_sub_u32 s12, 0, s6
	v_addc_co_u32_e32 v15, vcc, v6, v5, vcc
	s_subb_u32 s13, 0, 0
.LBB246_21:                             ; =>This Inner Loop Header: Depth=1
	v_cmp_eq_u64_e32 vcc, s[4:5], v[8:9]
	s_barrier
	s_and_saveexec_b64 s[6:7], vcc
	s_cbranch_execz .LBB246_29
; %bb.22:                               ;   in Loop: Header=BB246_21 Depth=1
	flat_load_dwordx4 v[4:7], v[12:13]
	s_andn2_b64 vcc, exec, s[10:11]
	s_cbranch_vccnz .LBB246_28
; %bb.23:                               ;   in Loop: Header=BB246_21 Depth=1
	s_waitcnt vmcnt(0) lgkmcnt(0)
	v_xor_b32_e32 v17, 0x80000000, v5
	v_cmp_gt_f64_e32 vcc, 0, v[4:5]
	v_cndmask_b32_e32 v19, v5, v17, vcc
	v_cndmask_b32_e32 v18, v4, v4, vcc
	v_xor_b32_e32 v17, 0x80000000, v7
	v_cmp_gt_f64_e32 vcc, 0, v[6:7]
	v_cndmask_b32_e32 v21, v7, v17, vcc
	v_cndmask_b32_e32 v20, v6, v6, vcc
	v_cmp_ngt_f64_e32 vcc, v[18:19], v[20:21]
	s_and_saveexec_b64 s[8:9], vcc
	s_xor_b64 s[8:9], exec, s[8:9]
	s_cbranch_execz .LBB246_25
; %bb.24:                               ;   in Loop: Header=BB246_21 Depth=1
	v_div_scale_f64 v[18:19], s[14:15], v[6:7], v[6:7], v[4:5]
	v_rcp_f64_e32 v[20:21], v[18:19]
	v_div_scale_f64 v[22:23], vcc, v[4:5], v[6:7], v[4:5]
	v_fma_f64 v[24:25], -v[18:19], v[20:21], 1.0
	v_fmac_f64_e32 v[20:21], v[20:21], v[24:25]
	v_fma_f64 v[24:25], -v[18:19], v[20:21], 1.0
	v_fmac_f64_e32 v[20:21], v[20:21], v[24:25]
	v_mul_f64 v[24:25], v[22:23], v[20:21]
	v_fma_f64 v[18:19], -v[18:19], v[24:25], v[22:23]
	v_div_fmas_f64 v[18:19], v[18:19], v[20:21], v[24:25]
	v_div_fixup_f64 v[18:19], v[18:19], v[6:7], v[4:5]
	v_fmac_f64_e32 v[6:7], v[4:5], v[18:19]
	v_div_scale_f64 v[4:5], s[14:15], v[6:7], v[6:7], 1.0
	v_rcp_f64_e32 v[20:21], v[4:5]
	v_fma_f64 v[22:23], -v[4:5], v[20:21], 1.0
	v_fmac_f64_e32 v[20:21], v[20:21], v[22:23]
	v_fma_f64 v[22:23], -v[4:5], v[20:21], 1.0
	v_fmac_f64_e32 v[20:21], v[20:21], v[22:23]
	v_div_scale_f64 v[22:23], vcc, 1.0, v[6:7], 1.0
	v_mul_f64 v[24:25], v[22:23], v[20:21]
	v_fma_f64 v[4:5], -v[4:5], v[24:25], v[22:23]
	s_nop 1
	v_div_fmas_f64 v[4:5], v[4:5], v[20:21], v[24:25]
	v_div_fixup_f64 v[6:7], v[4:5], v[6:7], 1.0
	v_mul_f64 v[4:5], v[18:19], v[6:7]
	v_xor_b32_e32 v7, 0x80000000, v7
.LBB246_25:                             ;   in Loop: Header=BB246_21 Depth=1
	s_andn2_saveexec_b64 s[8:9], s[8:9]
	s_cbranch_execz .LBB246_27
; %bb.26:                               ;   in Loop: Header=BB246_21 Depth=1
	v_div_scale_f64 v[18:19], s[14:15], v[4:5], v[4:5], v[6:7]
	v_rcp_f64_e32 v[20:21], v[18:19]
	v_div_scale_f64 v[22:23], vcc, v[6:7], v[4:5], v[6:7]
	v_fma_f64 v[24:25], -v[18:19], v[20:21], 1.0
	v_fmac_f64_e32 v[20:21], v[20:21], v[24:25]
	v_fma_f64 v[24:25], -v[18:19], v[20:21], 1.0
	v_fmac_f64_e32 v[20:21], v[20:21], v[24:25]
	v_mul_f64 v[24:25], v[22:23], v[20:21]
	v_fma_f64 v[18:19], -v[18:19], v[24:25], v[22:23]
	v_div_fmas_f64 v[18:19], v[18:19], v[20:21], v[24:25]
	v_div_fixup_f64 v[18:19], v[18:19], v[4:5], v[6:7]
	v_fmac_f64_e32 v[4:5], v[6:7], v[18:19]
	v_div_scale_f64 v[6:7], s[14:15], v[4:5], v[4:5], 1.0
	v_rcp_f64_e32 v[20:21], v[6:7]
	v_fma_f64 v[22:23], -v[6:7], v[20:21], 1.0
	v_fmac_f64_e32 v[20:21], v[20:21], v[22:23]
	v_fma_f64 v[22:23], -v[6:7], v[20:21], 1.0
	v_fmac_f64_e32 v[20:21], v[20:21], v[22:23]
	v_div_scale_f64 v[22:23], vcc, 1.0, v[4:5], 1.0
	v_mul_f64 v[24:25], v[22:23], v[20:21]
	v_fma_f64 v[6:7], -v[6:7], v[24:25], v[22:23]
	s_nop 1
	v_div_fmas_f64 v[6:7], v[6:7], v[20:21], v[24:25]
	v_div_fixup_f64 v[4:5], v[6:7], v[4:5], 1.0
	v_mul_f64 v[6:7], v[18:19], -v[4:5]
.LBB246_27:                             ;   in Loop: Header=BB246_21 Depth=1
	s_or_b64 exec, exec, s[8:9]
.LBB246_28:                             ;   in Loop: Header=BB246_21 Depth=1
	s_waitcnt vmcnt(0) lgkmcnt(0)
	v_mul_f64 v[18:19], v[2:3], v[6:7]
	v_fma_f64 v[18:19], v[0:1], v[4:5], -v[18:19]
	v_mul_f64 v[0:1], v[0:1], v[6:7]
	v_fmac_f64_e32 v[0:1], v[2:3], v[4:5]
	ds_write2_b64 v16, v[18:19], v[0:1] offset1:1
	v_pk_mov_b32 v[2:3], v[0:1], v[0:1] op_sel:[0,1]
	v_pk_mov_b32 v[0:1], v[18:19], v[18:19] op_sel:[0,1]
.LBB246_29:                             ;   in Loop: Header=BB246_21 Depth=1
	s_or_b64 exec, exec, s[6:7]
	v_cmp_gt_i64_e32 vcc, s[4:5], v[8:9]
	s_waitcnt lgkmcnt(0)
	s_barrier
	s_and_saveexec_b64 s[6:7], vcc
	s_cbranch_execz .LBB246_31
; %bb.30:                               ;   in Loop: Header=BB246_21 Depth=1
	flat_load_dwordx4 v[4:7], v[14:15]
	ds_read2_b64 v[18:21], v16 offset1:1
	s_waitcnt vmcnt(0) lgkmcnt(0)
	v_xor_b32_e32 v17, 0x80000000, v7
	v_cndmask_b32_e64 v7, v7, v17, s[0:1]
	v_mul_f64 v[22:23], v[4:5], v[20:21]
	v_mul_f64 v[20:21], v[6:7], v[20:21]
	v_fmac_f64_e32 v[22:23], v[6:7], v[18:19]
	v_fma_f64 v[4:5], v[4:5], v[18:19], -v[20:21]
	v_add_f64 v[0:1], v[0:1], -v[4:5]
	v_add_f64 v[2:3], v[2:3], -v[22:23]
.LBB246_31:                             ;   in Loop: Header=BB246_21 Depth=1
	s_or_b64 exec, exec, s[6:7]
	s_add_u32 s6, s4, -1
	s_addc_u32 s7, s5, -1
	s_add_u32 s4, s4, 1
	s_addc_u32 s5, s5, 0
	v_mov_b32_e32 v4, s13
	v_add_co_u32_e32 v14, vcc, s12, v14
	v_addc_co_u32_e32 v15, vcc, v15, v4, vcc
	v_cmp_lt_u64_e64 s[4:5], s[4:5], 3
	s_and_b64 vcc, exec, s[4:5]
	s_cbranch_vccnz .LBB246_33
; %bb.32:                               ;   in Loop: Header=BB246_21 Depth=1
	s_mov_b64 s[4:5], s[6:7]
	s_branch .LBB246_21
.LBB246_33:
	v_cmp_eq_u32_e32 vcc, 0, v8
	s_and_saveexec_b64 s[0:1], vcc
	s_cbranch_execz .LBB246_41
; %bb.34:
	s_add_u32 s4, s20, s28
	v_mad_u64_u32 v[4:5], s[4:5], s4, v8, 0
	s_addc_u32 s6, s21, s29
	v_mov_b32_e32 v6, v5
	v_mad_u64_u32 v[6:7], s[4:5], s6, v8, v[6:7]
	v_mov_b32_e32 v5, v6
	v_lshlrev_b64 v[4:5], 4, v[4:5]
	v_mov_b32_e32 v6, s3
	v_add_co_u32_e32 v4, vcc, s2, v4
	v_addc_co_u32_e32 v5, vcc, v6, v5, vcc
	flat_load_dwordx4 v[4:7], v[4:5]
	s_andn2_b64 vcc, exec, s[10:11]
	s_cbranch_vccnz .LBB246_40
; %bb.35:
	s_waitcnt vmcnt(0) lgkmcnt(0)
	v_xor_b32_e32 v8, 0x80000000, v5
	v_cmp_gt_f64_e32 vcc, 0, v[4:5]
	v_cndmask_b32_e32 v9, v5, v8, vcc
	v_cndmask_b32_e32 v8, v4, v4, vcc
	v_xor_b32_e32 v12, 0x80000000, v7
	v_cmp_gt_f64_e32 vcc, 0, v[6:7]
	v_cndmask_b32_e32 v13, v7, v12, vcc
	v_cndmask_b32_e32 v12, v6, v6, vcc
	v_cmp_ngt_f64_e32 vcc, v[8:9], v[12:13]
	s_and_saveexec_b64 s[2:3], vcc
	s_xor_b64 s[2:3], exec, s[2:3]
	s_cbranch_execz .LBB246_37
; %bb.36:
	v_div_scale_f64 v[8:9], s[4:5], v[6:7], v[6:7], v[4:5]
	v_rcp_f64_e32 v[12:13], v[8:9]
	v_div_scale_f64 v[14:15], vcc, v[4:5], v[6:7], v[4:5]
	v_fma_f64 v[16:17], -v[8:9], v[12:13], 1.0
	v_fmac_f64_e32 v[12:13], v[12:13], v[16:17]
	v_fma_f64 v[16:17], -v[8:9], v[12:13], 1.0
	v_fmac_f64_e32 v[12:13], v[12:13], v[16:17]
	v_mul_f64 v[16:17], v[14:15], v[12:13]
	v_fma_f64 v[8:9], -v[8:9], v[16:17], v[14:15]
	v_div_fmas_f64 v[8:9], v[8:9], v[12:13], v[16:17]
	v_div_fixup_f64 v[8:9], v[8:9], v[6:7], v[4:5]
	v_fmac_f64_e32 v[6:7], v[4:5], v[8:9]
	v_div_scale_f64 v[4:5], s[4:5], v[6:7], v[6:7], 1.0
	v_rcp_f64_e32 v[12:13], v[4:5]
	v_fma_f64 v[14:15], -v[4:5], v[12:13], 1.0
	v_fmac_f64_e32 v[12:13], v[12:13], v[14:15]
	v_fma_f64 v[14:15], -v[4:5], v[12:13], 1.0
	v_fmac_f64_e32 v[12:13], v[12:13], v[14:15]
	v_div_scale_f64 v[14:15], vcc, 1.0, v[6:7], 1.0
	v_mul_f64 v[16:17], v[14:15], v[12:13]
	v_fma_f64 v[4:5], -v[4:5], v[16:17], v[14:15]
	s_nop 1
	v_div_fmas_f64 v[4:5], v[4:5], v[12:13], v[16:17]
	v_div_fixup_f64 v[6:7], v[4:5], v[6:7], 1.0
	v_mul_f64 v[4:5], v[8:9], v[6:7]
	v_xor_b32_e32 v7, 0x80000000, v7
.LBB246_37:
	s_andn2_saveexec_b64 s[2:3], s[2:3]
	s_cbranch_execz .LBB246_39
; %bb.38:
	v_div_scale_f64 v[8:9], s[4:5], v[4:5], v[4:5], v[6:7]
	v_rcp_f64_e32 v[12:13], v[8:9]
	v_div_scale_f64 v[14:15], vcc, v[6:7], v[4:5], v[6:7]
	v_fma_f64 v[16:17], -v[8:9], v[12:13], 1.0
	v_fmac_f64_e32 v[12:13], v[12:13], v[16:17]
	v_fma_f64 v[16:17], -v[8:9], v[12:13], 1.0
	v_fmac_f64_e32 v[12:13], v[12:13], v[16:17]
	v_mul_f64 v[16:17], v[14:15], v[12:13]
	v_fma_f64 v[8:9], -v[8:9], v[16:17], v[14:15]
	v_div_fmas_f64 v[8:9], v[8:9], v[12:13], v[16:17]
	v_div_fixup_f64 v[8:9], v[8:9], v[4:5], v[6:7]
	v_fmac_f64_e32 v[4:5], v[6:7], v[8:9]
	v_div_scale_f64 v[6:7], s[4:5], v[4:5], v[4:5], 1.0
	v_rcp_f64_e32 v[12:13], v[6:7]
	v_fma_f64 v[14:15], -v[6:7], v[12:13], 1.0
	v_fmac_f64_e32 v[12:13], v[12:13], v[14:15]
	v_fma_f64 v[14:15], -v[6:7], v[12:13], 1.0
	v_fmac_f64_e32 v[12:13], v[12:13], v[14:15]
	v_div_scale_f64 v[14:15], vcc, 1.0, v[4:5], 1.0
	v_mul_f64 v[16:17], v[14:15], v[12:13]
	v_fma_f64 v[6:7], -v[6:7], v[16:17], v[14:15]
	s_nop 1
	v_div_fmas_f64 v[6:7], v[6:7], v[12:13], v[16:17]
	v_div_fixup_f64 v[4:5], v[6:7], v[4:5], 1.0
	v_mul_f64 v[6:7], v[8:9], -v[4:5]
.LBB246_39:
	s_or_b64 exec, exec, s[2:3]
.LBB246_40:
	s_waitcnt vmcnt(0) lgkmcnt(0)
	v_mul_f64 v[8:9], v[2:3], v[6:7]
	v_fma_f64 v[8:9], v[0:1], v[4:5], -v[8:9]
	v_mul_f64 v[2:3], v[2:3], v[4:5]
	v_fmac_f64_e32 v[2:3], v[0:1], v[6:7]
	v_pk_mov_b32 v[0:1], v[8:9], v[8:9] op_sel:[0,1]
.LBB246_41:
	s_or_b64 exec, exec, s[0:1]
	global_store_dwordx4 v[10:11], v[0:3], off
.LBB246_42:
	s_endpgm
	.section	.rodata,"a",@progbits
	.p2align	6, 0x0
	.amdhsa_kernel _ZL40rocblas_trsm_block_backward_substitutionI19rocblas_complex_numIdES1_PKS1_PS1_Lb0ELb1ELb0EEv18rocblas_operation_llT0_T1_lllT2_lllib
		.amdhsa_group_segment_fixed_size 0
		.amdhsa_private_segment_fixed_size 0
		.amdhsa_kernarg_size 368
		.amdhsa_user_sgpr_count 6
		.amdhsa_user_sgpr_private_segment_buffer 1
		.amdhsa_user_sgpr_dispatch_ptr 0
		.amdhsa_user_sgpr_queue_ptr 0
		.amdhsa_user_sgpr_kernarg_segment_ptr 1
		.amdhsa_user_sgpr_dispatch_id 0
		.amdhsa_user_sgpr_flat_scratch_init 0
		.amdhsa_user_sgpr_kernarg_preload_length 0
		.amdhsa_user_sgpr_kernarg_preload_offset 0
		.amdhsa_user_sgpr_private_segment_size 0
		.amdhsa_uses_dynamic_stack 0
		.amdhsa_system_sgpr_private_segment_wavefront_offset 0
		.amdhsa_system_sgpr_workgroup_id_x 1
		.amdhsa_system_sgpr_workgroup_id_y 1
		.amdhsa_system_sgpr_workgroup_id_z 1
		.amdhsa_system_sgpr_workgroup_info 0
		.amdhsa_system_vgpr_workitem_id 1
		.amdhsa_next_free_vgpr 26
		.amdhsa_next_free_sgpr 44
		.amdhsa_accum_offset 28
		.amdhsa_reserve_vcc 1
		.amdhsa_reserve_flat_scratch 0
		.amdhsa_float_round_mode_32 0
		.amdhsa_float_round_mode_16_64 0
		.amdhsa_float_denorm_mode_32 3
		.amdhsa_float_denorm_mode_16_64 3
		.amdhsa_dx10_clamp 1
		.amdhsa_ieee_mode 1
		.amdhsa_fp16_overflow 0
		.amdhsa_tg_split 0
		.amdhsa_exception_fp_ieee_invalid_op 0
		.amdhsa_exception_fp_denorm_src 0
		.amdhsa_exception_fp_ieee_div_zero 0
		.amdhsa_exception_fp_ieee_overflow 0
		.amdhsa_exception_fp_ieee_underflow 0
		.amdhsa_exception_fp_ieee_inexact 0
		.amdhsa_exception_int_div_zero 0
	.end_amdhsa_kernel
	.section	.text._ZL40rocblas_trsm_block_backward_substitutionI19rocblas_complex_numIdES1_PKS1_PS1_Lb0ELb1ELb0EEv18rocblas_operation_llT0_T1_lllT2_lllib,"axG",@progbits,_ZL40rocblas_trsm_block_backward_substitutionI19rocblas_complex_numIdES1_PKS1_PS1_Lb0ELb1ELb0EEv18rocblas_operation_llT0_T1_lllT2_lllib,comdat
.Lfunc_end246:
	.size	_ZL40rocblas_trsm_block_backward_substitutionI19rocblas_complex_numIdES1_PKS1_PS1_Lb0ELb1ELb0EEv18rocblas_operation_llT0_T1_lllT2_lllib, .Lfunc_end246-_ZL40rocblas_trsm_block_backward_substitutionI19rocblas_complex_numIdES1_PKS1_PS1_Lb0ELb1ELb0EEv18rocblas_operation_llT0_T1_lllT2_lllib
                                        ; -- End function
	.section	.AMDGPU.csdata,"",@progbits
; Kernel info:
; codeLenInByte = 2552
; NumSgprs: 48
; NumVgprs: 26
; NumAgprs: 0
; TotalNumVgprs: 26
; ScratchSize: 0
; MemoryBound: 1
; FloatMode: 240
; IeeeMode: 1
; LDSByteSize: 0 bytes/workgroup (compile time only)
; SGPRBlocks: 5
; VGPRBlocks: 3
; NumSGPRsForWavesPerEU: 48
; NumVGPRsForWavesPerEU: 26
; AccumOffset: 28
; Occupancy: 8
; WaveLimiterHint : 1
; COMPUTE_PGM_RSRC2:SCRATCH_EN: 0
; COMPUTE_PGM_RSRC2:USER_SGPR: 6
; COMPUTE_PGM_RSRC2:TRAP_HANDLER: 0
; COMPUTE_PGM_RSRC2:TGID_X_EN: 1
; COMPUTE_PGM_RSRC2:TGID_Y_EN: 1
; COMPUTE_PGM_RSRC2:TGID_Z_EN: 1
; COMPUTE_PGM_RSRC2:TIDIG_COMP_CNT: 1
; COMPUTE_PGM_RSRC3_GFX90A:ACCUM_OFFSET: 6
; COMPUTE_PGM_RSRC3_GFX90A:TG_SPLIT: 0
	.section	.text._ZL39rocblas_trsm_block_forward_substitutionI19rocblas_complex_numIdES1_PKS1_PS1_Lb0ELb1ELb1EEv18rocblas_operation_llT0_T1_lllT2_lllib,"axG",@progbits,_ZL39rocblas_trsm_block_forward_substitutionI19rocblas_complex_numIdES1_PKS1_PS1_Lb0ELb1ELb1EEv18rocblas_operation_llT0_T1_lllT2_lllib,comdat
	.globl	_ZL39rocblas_trsm_block_forward_substitutionI19rocblas_complex_numIdES1_PKS1_PS1_Lb0ELb1ELb1EEv18rocblas_operation_llT0_T1_lllT2_lllib ; -- Begin function _ZL39rocblas_trsm_block_forward_substitutionI19rocblas_complex_numIdES1_PKS1_PS1_Lb0ELb1ELb1EEv18rocblas_operation_llT0_T1_lllT2_lllib
	.p2align	8
	.type	_ZL39rocblas_trsm_block_forward_substitutionI19rocblas_complex_numIdES1_PKS1_PS1_Lb0ELb1ELb1EEv18rocblas_operation_llT0_T1_lllT2_lllib,@function
_ZL39rocblas_trsm_block_forward_substitutionI19rocblas_complex_numIdES1_PKS1_PS1_Lb0ELb1ELb1EEv18rocblas_operation_llT0_T1_lllT2_lllib: ; @_ZL39rocblas_trsm_block_forward_substitutionI19rocblas_complex_numIdES1_PKS1_PS1_Lb0ELb1ELb1EEv18rocblas_operation_llT0_T1_lllT2_lllib
; %bb.0:
	s_load_dwordx16 s[12:27], s[4:5], 0x8
	v_and_b32_e32 v4, 0x3ff, v0
	v_bfe_u32 v8, v0, 10, 10
	s_waitcnt lgkmcnt(0)
	s_mul_i32 s0, s8, s27
	s_mul_hi_u32 s1, s8, s26
	s_add_i32 s1, s1, s0
	s_mul_i32 s0, s8, s26
	s_lshl_b64 s[0:1], s[0:1], 4
	s_add_u32 s2, s20, s0
	s_addc_u32 s3, s21, s1
	s_lshl_b64 s[0:1], s[22:23], 4
	s_add_u32 s2, s2, s0
	s_load_dword s0, s[4:5], 0x6c
	s_load_dword s6, s[4:5], 0x7c
	s_addc_u32 s3, s3, s1
	s_add_u32 s10, s4, 0x70
	s_addc_u32 s11, s5, 0
	s_waitcnt lgkmcnt(0)
	s_lshr_b32 s6, s6, 16
	s_bitcmp0_b32 s0, 0
	s_cbranch_scc1 .LBB247_7
; %bb.1:
	s_lshl_b32 s0, s6, 4
	s_add_i32 s20, s0, 0
	v_cmp_lt_i64_e64 s[0:1], s[12:13], 1
	s_and_b64 vcc, exec, s[0:1]
	s_cbranch_vccnz .LBB247_6
; %bb.2:
	v_lshlrev_b32_e32 v0, 4, v4
	v_mov_b32_e32 v5, 0
	v_mov_b32_e32 v1, s3
	v_add_co_u32_e32 v3, vcc, s2, v0
	v_add_u32_e32 v2, s20, v0
	s_mov_b32 s22, 0
	v_cmp_gt_u64_e64 s[0:1], s[12:13], v[4:5]
	v_addc_co_u32_e32 v5, vcc, 0, v1, vcc
	v_pk_mov_b32 v[0:1], s[12:13], s[12:13] op_sel:[0,1]
	s_branch .LBB247_4
.LBB247_3:                              ;   in Loop: Header=BB247_4 Depth=1
	s_or_b64 exec, exec, s[2:3]
	s_add_i32 s22, s22, s6
	s_ashr_i32 s23, s22, 31
	v_cmp_ge_i64_e32 vcc, s[22:23], v[0:1]
	s_cbranch_vccnz .LBB247_6
.LBB247_4:                              ; =>This Inner Loop Header: Depth=1
	v_add_u32_e32 v6, s22, v8
	v_cmp_gt_i32_e32 vcc, v4, v6
	s_and_b64 s[26:27], s[0:1], vcc
	s_and_saveexec_b64 s[2:3], s[26:27]
	s_cbranch_execz .LBB247_3
; %bb.5:                                ;   in Loop: Header=BB247_4 Depth=1
	v_ashrrev_i32_e32 v7, 31, v6
	v_mul_lo_u32 v9, v6, s25
	v_mul_lo_u32 v7, v7, s24
	v_mad_u64_u32 v[10:11], s[26:27], v6, s24, 0
	v_add3_u32 v11, v11, v9, v7
	v_lshlrev_b64 v[10:11], 4, v[10:11]
	v_add_co_u32_e32 v10, vcc, v3, v10
	v_addc_co_u32_e32 v11, vcc, v5, v11, vcc
	global_load_dwordx4 v[10:13], v[10:11], off
	s_load_dword s9, s[10:11], 0xc
	s_waitcnt lgkmcnt(0)
	s_and_b32 s9, s9, 0xffff
	v_mul_lo_u32 v6, v6, s9
	v_lshl_add_u32 v6, v6, 4, v2
	s_waitcnt vmcnt(0)
	ds_write2_b64 v6, v[10:11], v[12:13] offset1:1
	s_branch .LBB247_3
.LBB247_6:
	s_load_dword s2, s[10:11], 0xc
	s_mov_b64 s[0:1], src_shared_base
	s_mov_b32 s21, s1
	s_mov_b32 s25, 0
	s_waitcnt lgkmcnt(0)
	s_and_b32 s24, s2, 0xffff
	s_mov_b64 s[2:3], s[20:21]
.LBB247_7:
	s_mul_i32 s7, s7, s6
	v_add_u32_e32 v0, s7, v8
	v_mov_b32_e32 v1, 0
	v_cmp_gt_i64_e32 vcc, s[14:15], v[0:1]
	s_and_saveexec_b64 s[0:1], vcc
	s_cbranch_execz .LBB247_17
; %bb.8:
	v_mov_b32_e32 v5, v1
	v_cmp_gt_i64_e32 vcc, s[12:13], v[4:5]
	s_and_b64 exec, exec, vcc
	s_cbranch_execz .LBB247_17
; %bb.9:
	s_load_dwordx8 s[36:43], s[4:5], 0x48
	v_lshlrev_b64 v[0:1], 4, v[0:1]
	s_waitcnt lgkmcnt(0)
	s_mul_i32 s1, s8, s43
	s_mul_hi_u32 s6, s8, s42
	s_mul_i32 s0, s8, s42
	s_add_i32 s1, s6, s1
	s_lshl_b64 s[0:1], s[0:1], 4
	s_add_u32 s6, s36, s0
	s_addc_u32 s7, s37, s1
	s_lshl_b64 s[0:1], s[38:39], 4
	s_add_u32 s6, s6, s0
	s_addc_u32 s7, s7, s1
	v_mad_u64_u32 v[2:3], s[0:1], v4, s40, 0
	v_mov_b32_e32 v6, v3
	v_mad_u64_u32 v[6:7], s[0:1], v4, s41, v[6:7]
	v_mov_b32_e32 v3, v6
	v_lshlrev_b64 v[2:3], 4, v[2:3]
	v_mov_b32_e32 v6, s7
	v_add_co_u32_e32 v2, vcc, s6, v2
	v_addc_co_u32_e32 v3, vcc, v6, v3, vcc
	v_add_co_u32_e32 v6, vcc, v2, v0
	v_addc_co_u32_e32 v7, vcc, v3, v1, vcc
	global_load_dwordx4 v[10:13], v[6:7], off
	v_cmp_lt_u64_e64 s[0:1], s[12:13], 2
	s_and_b64 vcc, exec, s[0:1]
	s_waitcnt vmcnt(0)
	v_mul_f64 v[0:1], s[18:19], v[12:13]
	v_mul_f64 v[2:3], s[16:17], v[12:13]
	v_fma_f64 v[0:1], s[16:17], v[10:11], -v[0:1]
	v_fmac_f64_e32 v[2:3], s[18:19], v[10:11]
	s_cbranch_vccnz .LBB247_16
; %bb.10:
	s_load_dword s0, s[4:5], 0x0
	v_lshl_add_u32 v10, v8, 4, 0
	v_lshlrev_b32_e32 v8, 4, v4
	v_mov_b32_e32 v9, s3
	s_mov_b64 s[6:7], 0
	s_waitcnt lgkmcnt(0)
	s_cmpk_eq_i32 s0, 0x71
	s_cselect_b64 vcc, -1, 0
	s_add_u32 s4, s12, -1
	v_add_co_u32_e64 v8, s[0:1], s2, v8
	s_addc_u32 s5, s13, -1
	v_addc_co_u32_e64 v9, s[0:1], 0, v9, s[0:1]
	s_lshl_b64 s[2:3], s[24:25], 4
	s_branch .LBB247_12
.LBB247_11:                             ;   in Loop: Header=BB247_12 Depth=1
	s_or_b64 exec, exec, s[8:9]
	s_add_u32 s6, s6, 1
	s_addc_u32 s7, s7, 0
	v_mov_b32_e32 v11, s3
	v_add_co_u32_e64 v8, s[0:1], s2, v8
	s_cmp_eq_u64 s[4:5], s[6:7]
	v_addc_co_u32_e64 v9, s[0:1], v9, v11, s[0:1]
	s_cbranch_scc1 .LBB247_16
.LBB247_12:                             ; =>This Inner Loop Header: Depth=1
	v_cmp_eq_u64_e64 s[0:1], s[6:7], v[4:5]
	s_barrier
	s_and_saveexec_b64 s[8:9], s[0:1]
	s_cbranch_execz .LBB247_14
; %bb.13:                               ;   in Loop: Header=BB247_12 Depth=1
	ds_write2_b64 v10, v[0:1], v[2:3] offset1:1
.LBB247_14:                             ;   in Loop: Header=BB247_12 Depth=1
	s_or_b64 exec, exec, s[8:9]
	v_cmp_lt_u64_e64 s[0:1], s[6:7], v[4:5]
	s_waitcnt lgkmcnt(0)
	s_barrier
	s_and_saveexec_b64 s[8:9], s[0:1]
	s_cbranch_execz .LBB247_11
; %bb.15:                               ;   in Loop: Header=BB247_12 Depth=1
	flat_load_dwordx4 v[12:15], v[8:9]
	ds_read2_b64 v[16:19], v10 offset1:1
	s_waitcnt vmcnt(0) lgkmcnt(0)
	v_xor_b32_e32 v11, 0x80000000, v15
	v_cndmask_b32_e32 v15, v15, v11, vcc
	v_mul_f64 v[20:21], v[12:13], v[18:19]
	v_mul_f64 v[18:19], v[14:15], v[18:19]
	v_fmac_f64_e32 v[20:21], v[14:15], v[16:17]
	v_fma_f64 v[12:13], v[12:13], v[16:17], -v[18:19]
	v_add_f64 v[0:1], v[0:1], -v[12:13]
	v_add_f64 v[2:3], v[2:3], -v[20:21]
	s_branch .LBB247_11
.LBB247_16:
	global_store_dwordx4 v[6:7], v[0:3], off
.LBB247_17:
	s_endpgm
	.section	.rodata,"a",@progbits
	.p2align	6, 0x0
	.amdhsa_kernel _ZL39rocblas_trsm_block_forward_substitutionI19rocblas_complex_numIdES1_PKS1_PS1_Lb0ELb1ELb1EEv18rocblas_operation_llT0_T1_lllT2_lllib
		.amdhsa_group_segment_fixed_size 0
		.amdhsa_private_segment_fixed_size 0
		.amdhsa_kernarg_size 368
		.amdhsa_user_sgpr_count 6
		.amdhsa_user_sgpr_private_segment_buffer 1
		.amdhsa_user_sgpr_dispatch_ptr 0
		.amdhsa_user_sgpr_queue_ptr 0
		.amdhsa_user_sgpr_kernarg_segment_ptr 1
		.amdhsa_user_sgpr_dispatch_id 0
		.amdhsa_user_sgpr_flat_scratch_init 0
		.amdhsa_user_sgpr_kernarg_preload_length 0
		.amdhsa_user_sgpr_kernarg_preload_offset 0
		.amdhsa_user_sgpr_private_segment_size 0
		.amdhsa_uses_dynamic_stack 0
		.amdhsa_system_sgpr_private_segment_wavefront_offset 0
		.amdhsa_system_sgpr_workgroup_id_x 1
		.amdhsa_system_sgpr_workgroup_id_y 1
		.amdhsa_system_sgpr_workgroup_id_z 1
		.amdhsa_system_sgpr_workgroup_info 0
		.amdhsa_system_vgpr_workitem_id 1
		.amdhsa_next_free_vgpr 22
		.amdhsa_next_free_sgpr 44
		.amdhsa_accum_offset 24
		.amdhsa_reserve_vcc 1
		.amdhsa_reserve_flat_scratch 0
		.amdhsa_float_round_mode_32 0
		.amdhsa_float_round_mode_16_64 0
		.amdhsa_float_denorm_mode_32 3
		.amdhsa_float_denorm_mode_16_64 3
		.amdhsa_dx10_clamp 1
		.amdhsa_ieee_mode 1
		.amdhsa_fp16_overflow 0
		.amdhsa_tg_split 0
		.amdhsa_exception_fp_ieee_invalid_op 0
		.amdhsa_exception_fp_denorm_src 0
		.amdhsa_exception_fp_ieee_div_zero 0
		.amdhsa_exception_fp_ieee_overflow 0
		.amdhsa_exception_fp_ieee_underflow 0
		.amdhsa_exception_fp_ieee_inexact 0
		.amdhsa_exception_int_div_zero 0
	.end_amdhsa_kernel
	.section	.text._ZL39rocblas_trsm_block_forward_substitutionI19rocblas_complex_numIdES1_PKS1_PS1_Lb0ELb1ELb1EEv18rocblas_operation_llT0_T1_lllT2_lllib,"axG",@progbits,_ZL39rocblas_trsm_block_forward_substitutionI19rocblas_complex_numIdES1_PKS1_PS1_Lb0ELb1ELb1EEv18rocblas_operation_llT0_T1_lllT2_lllib,comdat
.Lfunc_end247:
	.size	_ZL39rocblas_trsm_block_forward_substitutionI19rocblas_complex_numIdES1_PKS1_PS1_Lb0ELb1ELb1EEv18rocblas_operation_llT0_T1_lllT2_lllib, .Lfunc_end247-_ZL39rocblas_trsm_block_forward_substitutionI19rocblas_complex_numIdES1_PKS1_PS1_Lb0ELb1ELb1EEv18rocblas_operation_llT0_T1_lllT2_lllib
                                        ; -- End function
	.section	.AMDGPU.csdata,"",@progbits
; Kernel info:
; codeLenInByte = 840
; NumSgprs: 48
; NumVgprs: 22
; NumAgprs: 0
; TotalNumVgprs: 22
; ScratchSize: 0
; MemoryBound: 0
; FloatMode: 240
; IeeeMode: 1
; LDSByteSize: 0 bytes/workgroup (compile time only)
; SGPRBlocks: 5
; VGPRBlocks: 2
; NumSGPRsForWavesPerEU: 48
; NumVGPRsForWavesPerEU: 22
; AccumOffset: 24
; Occupancy: 8
; WaveLimiterHint : 1
; COMPUTE_PGM_RSRC2:SCRATCH_EN: 0
; COMPUTE_PGM_RSRC2:USER_SGPR: 6
; COMPUTE_PGM_RSRC2:TRAP_HANDLER: 0
; COMPUTE_PGM_RSRC2:TGID_X_EN: 1
; COMPUTE_PGM_RSRC2:TGID_Y_EN: 1
; COMPUTE_PGM_RSRC2:TGID_Z_EN: 1
; COMPUTE_PGM_RSRC2:TIDIG_COMP_CNT: 1
; COMPUTE_PGM_RSRC3_GFX90A:ACCUM_OFFSET: 5
; COMPUTE_PGM_RSRC3_GFX90A:TG_SPLIT: 0
	.section	.text._ZL40rocblas_trsm_block_backward_substitutionI19rocblas_complex_numIdES1_PKS1_PS1_Lb0ELb1ELb1EEv18rocblas_operation_llT0_T1_lllT2_lllib,"axG",@progbits,_ZL40rocblas_trsm_block_backward_substitutionI19rocblas_complex_numIdES1_PKS1_PS1_Lb0ELb1ELb1EEv18rocblas_operation_llT0_T1_lllT2_lllib,comdat
	.globl	_ZL40rocblas_trsm_block_backward_substitutionI19rocblas_complex_numIdES1_PKS1_PS1_Lb0ELb1ELb1EEv18rocblas_operation_llT0_T1_lllT2_lllib ; -- Begin function _ZL40rocblas_trsm_block_backward_substitutionI19rocblas_complex_numIdES1_PKS1_PS1_Lb0ELb1ELb1EEv18rocblas_operation_llT0_T1_lllT2_lllib
	.p2align	8
	.type	_ZL40rocblas_trsm_block_backward_substitutionI19rocblas_complex_numIdES1_PKS1_PS1_Lb0ELb1ELb1EEv18rocblas_operation_llT0_T1_lllT2_lllib,@function
_ZL40rocblas_trsm_block_backward_substitutionI19rocblas_complex_numIdES1_PKS1_PS1_Lb0ELb1ELb1EEv18rocblas_operation_llT0_T1_lllT2_lllib: ; @_ZL40rocblas_trsm_block_backward_substitutionI19rocblas_complex_numIdES1_PKS1_PS1_Lb0ELb1ELb1EEv18rocblas_operation_llT0_T1_lllT2_lllib
; %bb.0:
	s_load_dwordx16 s[12:27], s[4:5], 0x8
	v_and_b32_e32 v4, 0x3ff, v0
	v_bfe_u32 v8, v0, 10, 10
	s_waitcnt lgkmcnt(0)
	s_mul_i32 s0, s8, s27
	s_mul_hi_u32 s1, s8, s26
	s_add_i32 s1, s1, s0
	s_mul_i32 s0, s8, s26
	s_lshl_b64 s[0:1], s[0:1], 4
	s_add_u32 s2, s20, s0
	s_addc_u32 s3, s21, s1
	s_lshl_b64 s[0:1], s[22:23], 4
	s_add_u32 s2, s2, s0
	s_addc_u32 s3, s3, s1
	s_load_dword s0, s[4:5], 0x6c
	s_load_dword s1, s[4:5], 0x7c
	s_add_u32 s22, s4, 0x70
	s_addc_u32 s23, s5, 0
	s_mov_b64 s[20:21], 1
	s_waitcnt lgkmcnt(0)
	s_lshr_b32 s6, s1, 16
	s_bitcmp0_b32 s0, 0
	s_cbranch_scc1 .LBB248_6
; %bb.1:
	s_lshl_b32 s0, s6, 4
	s_add_i32 s26, s0, 0
	v_cmp_lt_i64_e64 s[0:1], s[12:13], 1
	s_mov_b64 s[10:11], 1
	s_and_b64 vcc, exec, s[0:1]
	s_cbranch_vccnz .LBB248_7
; %bb.2:
	v_mad_u64_u32 v[0:1], s[20:21], v4, s24, 0
	v_mov_b32_e32 v2, v1
	v_mad_u64_u32 v[2:3], s[20:21], v4, s25, v[2:3]
	v_mov_b32_e32 v1, v2
	v_mov_b32_e32 v5, 0
	v_lshlrev_b64 v[0:1], 4, v[0:1]
	v_cmp_gt_u64_e64 s[0:1], s[12:13], v[4:5]
	v_mov_b32_e32 v2, s3
	v_add_co_u32_e32 v5, vcc, s2, v0
	v_lshl_add_u32 v6, v4, 4, s26
	v_addc_co_u32_e32 v7, vcc, v2, v1, vcc
	s_mov_b32 s20, 0
	v_pk_mov_b32 v[0:1], s[12:13], s[12:13] op_sel:[0,1]
	s_branch .LBB248_4
.LBB248_3:                              ;   in Loop: Header=BB248_4 Depth=1
	s_or_b64 exec, exec, s[2:3]
	s_add_i32 s20, s20, s6
	s_ashr_i32 s21, s20, 31
	v_cmp_ge_i64_e32 vcc, s[20:21], v[0:1]
	s_cbranch_vccnz .LBB248_7
.LBB248_4:                              ; =>This Inner Loop Header: Depth=1
	v_add_u32_e32 v2, s20, v8
	v_ashrrev_i32_e32 v3, 31, v2
	v_cmp_gt_i64_e32 vcc, s[12:13], v[2:3]
	v_cmp_lt_i32_e64 s[2:3], v4, v2
	s_and_b64 s[2:3], s[2:3], vcc
	s_and_b64 s[24:25], s[0:1], s[2:3]
	s_and_saveexec_b64 s[2:3], s[24:25]
	s_cbranch_execz .LBB248_3
; %bb.5:                                ;   in Loop: Header=BB248_4 Depth=1
	v_lshlrev_b64 v[10:11], 4, v[2:3]
	v_add_co_u32_e32 v10, vcc, v5, v10
	v_addc_co_u32_e32 v11, vcc, v7, v11, vcc
	global_load_dwordx4 v[10:13], v[10:11], off
	s_load_dword s9, s[22:23], 0xc
	s_waitcnt lgkmcnt(0)
	s_and_b32 s9, s9, 0xffff
	v_mul_lo_u32 v2, v2, s9
	v_lshl_add_u32 v2, v2, 4, v6
	s_waitcnt vmcnt(0)
	ds_write2_b64 v2, v[10:11], v[12:13] offset1:1
	s_branch .LBB248_3
.LBB248_6:
	s_mov_b32 s10, s24
	s_mov_b32 s11, s25
	s_branch .LBB248_8
.LBB248_7:
	s_load_dword s2, s[22:23], 0xc
	s_mov_b64 s[0:1], src_shared_base
	s_mov_b32 s27, s1
	s_waitcnt lgkmcnt(0)
	s_and_b32 s20, s2, 0xffff
	s_mov_b64 s[2:3], s[26:27]
.LBB248_8:
	s_mul_i32 s7, s7, s6
	v_add_u32_e32 v0, s7, v8
	v_mov_b32_e32 v1, 0
	v_cmp_gt_i64_e32 vcc, s[14:15], v[0:1]
	s_and_saveexec_b64 s[0:1], vcc
	s_cbranch_execz .LBB248_19
; %bb.9:
	v_mov_b32_e32 v5, v1
	v_cmp_gt_i64_e32 vcc, s[12:13], v[4:5]
	s_and_b64 exec, exec, vcc
	s_cbranch_execz .LBB248_19
; %bb.10:
	s_load_dwordx8 s[24:31], s[4:5], 0x48
	s_waitcnt lgkmcnt(0)
	s_mul_i32 s1, s8, s31
	s_mul_hi_u32 s6, s8, s30
	s_mul_i32 s0, s8, s30
	s_add_i32 s1, s6, s1
	s_lshl_b64 s[0:1], s[0:1], 4
	s_add_u32 s6, s24, s0
	s_addc_u32 s7, s25, s1
	s_lshl_b64 s[0:1], s[26:27], 4
	s_add_u32 s6, s6, s0
	s_addc_u32 s7, s7, s1
	v_mad_u64_u32 v[2:3], s[0:1], v0, s28, 0
	v_mov_b32_e32 v6, v3
	v_mad_u64_u32 v[0:1], s[0:1], v0, s29, v[6:7]
	v_mov_b32_e32 v3, v0
	v_lshlrev_b64 v[0:1], 4, v[2:3]
	v_mov_b32_e32 v2, s7
	v_add_co_u32_e32 v0, vcc, s6, v0
	v_addc_co_u32_e32 v1, vcc, v2, v1, vcc
	v_lshlrev_b32_e32 v2, 4, v4
	v_add_co_u32_e32 v6, vcc, v0, v2
	v_addc_co_u32_e32 v7, vcc, 0, v1, vcc
	global_load_dwordx4 v[10:13], v[6:7], off
	v_cmp_lt_u64_e64 s[0:1], s[12:13], 2
	s_and_b64 vcc, exec, s[0:1]
	s_waitcnt vmcnt(0)
	v_mul_f64 v[0:1], s[18:19], v[12:13]
	v_mul_f64 v[2:3], s[16:17], v[12:13]
	v_fma_f64 v[0:1], s[16:17], v[10:11], -v[0:1]
	v_fmac_f64_e32 v[2:3], s[18:19], v[10:11]
	s_cbranch_vccnz .LBB248_18
; %bb.11:
	s_load_dword s4, s[4:5], 0x0
	v_lshl_add_u32 v10, v8, 4, 0
	v_mad_u64_u32 v[8:9], s[0:1], s10, v4, 0
	v_mov_b32_e32 v12, v9
	s_waitcnt lgkmcnt(0)
	s_cmpk_eq_i32 s4, 0x71
	v_mad_u64_u32 v[12:13], s[4:5], s11, v4, v[12:13]
	s_cselect_b64 s[0:1], -1, 0
	s_add_u32 s4, s12, -1
	s_addc_u32 s5, s13, -1
	s_mul_i32 s6, s20, s5
	s_mul_hi_u32 s7, s20, s4
	s_add_i32 s7, s7, s6
	s_mul_i32 s6, s20, s4
	v_mov_b32_e32 v9, v12
	s_lshl_b64 s[6:7], s[6:7], 4
	v_lshlrev_b64 v[8:9], 4, v[8:9]
	s_add_u32 s2, s2, s6
	s_addc_u32 s3, s3, s7
	v_add_co_u32_e32 v8, vcc, s2, v8
	s_lshl_b32 s2, s20, 4
	v_mov_b32_e32 v11, s3
	s_sub_u32 s6, 0, s2
	v_addc_co_u32_e32 v9, vcc, v11, v9, vcc
	s_subb_u32 s7, 0, 0
.LBB248_12:                             ; =>This Inner Loop Header: Depth=1
	v_cmp_eq_u64_e32 vcc, s[4:5], v[4:5]
	s_barrier
	s_and_saveexec_b64 s[2:3], vcc
	s_cbranch_execz .LBB248_14
; %bb.13:                               ;   in Loop: Header=BB248_12 Depth=1
	ds_write2_b64 v10, v[0:1], v[2:3] offset1:1
.LBB248_14:                             ;   in Loop: Header=BB248_12 Depth=1
	s_or_b64 exec, exec, s[2:3]
	v_cmp_gt_i64_e32 vcc, s[4:5], v[4:5]
	s_waitcnt lgkmcnt(0)
	s_barrier
	s_and_saveexec_b64 s[2:3], vcc
	s_cbranch_execz .LBB248_16
; %bb.15:                               ;   in Loop: Header=BB248_12 Depth=1
	flat_load_dwordx4 v[12:15], v[8:9]
	ds_read2_b64 v[16:19], v10 offset1:1
	s_waitcnt vmcnt(0) lgkmcnt(0)
	v_xor_b32_e32 v11, 0x80000000, v15
	v_cndmask_b32_e64 v15, v15, v11, s[0:1]
	v_mul_f64 v[20:21], v[12:13], v[18:19]
	v_mul_f64 v[18:19], v[14:15], v[18:19]
	v_fmac_f64_e32 v[20:21], v[14:15], v[16:17]
	v_fma_f64 v[12:13], v[12:13], v[16:17], -v[18:19]
	v_add_f64 v[0:1], v[0:1], -v[12:13]
	v_add_f64 v[2:3], v[2:3], -v[20:21]
.LBB248_16:                             ;   in Loop: Header=BB248_12 Depth=1
	s_or_b64 exec, exec, s[2:3]
	s_add_u32 s2, s4, -1
	s_addc_u32 s3, s5, -1
	s_add_u32 s4, s4, 1
	s_addc_u32 s5, s5, 0
	v_mov_b32_e32 v11, s7
	v_add_co_u32_e32 v8, vcc, s6, v8
	v_addc_co_u32_e32 v9, vcc, v9, v11, vcc
	v_cmp_lt_u64_e64 s[4:5], s[4:5], 3
	s_and_b64 vcc, exec, s[4:5]
	s_cbranch_vccnz .LBB248_18
; %bb.17:                               ;   in Loop: Header=BB248_12 Depth=1
	s_mov_b64 s[4:5], s[2:3]
	s_branch .LBB248_12
.LBB248_18:
	global_store_dwordx4 v[6:7], v[0:3], off
.LBB248_19:
	s_endpgm
	.section	.rodata,"a",@progbits
	.p2align	6, 0x0
	.amdhsa_kernel _ZL40rocblas_trsm_block_backward_substitutionI19rocblas_complex_numIdES1_PKS1_PS1_Lb0ELb1ELb1EEv18rocblas_operation_llT0_T1_lllT2_lllib
		.amdhsa_group_segment_fixed_size 0
		.amdhsa_private_segment_fixed_size 0
		.amdhsa_kernarg_size 368
		.amdhsa_user_sgpr_count 6
		.amdhsa_user_sgpr_private_segment_buffer 1
		.amdhsa_user_sgpr_dispatch_ptr 0
		.amdhsa_user_sgpr_queue_ptr 0
		.amdhsa_user_sgpr_kernarg_segment_ptr 1
		.amdhsa_user_sgpr_dispatch_id 0
		.amdhsa_user_sgpr_flat_scratch_init 0
		.amdhsa_user_sgpr_kernarg_preload_length 0
		.amdhsa_user_sgpr_kernarg_preload_offset 0
		.amdhsa_user_sgpr_private_segment_size 0
		.amdhsa_uses_dynamic_stack 0
		.amdhsa_system_sgpr_private_segment_wavefront_offset 0
		.amdhsa_system_sgpr_workgroup_id_x 1
		.amdhsa_system_sgpr_workgroup_id_y 1
		.amdhsa_system_sgpr_workgroup_id_z 1
		.amdhsa_system_sgpr_workgroup_info 0
		.amdhsa_system_vgpr_workitem_id 1
		.amdhsa_next_free_vgpr 22
		.amdhsa_next_free_sgpr 32
		.amdhsa_accum_offset 24
		.amdhsa_reserve_vcc 1
		.amdhsa_reserve_flat_scratch 0
		.amdhsa_float_round_mode_32 0
		.amdhsa_float_round_mode_16_64 0
		.amdhsa_float_denorm_mode_32 3
		.amdhsa_float_denorm_mode_16_64 3
		.amdhsa_dx10_clamp 1
		.amdhsa_ieee_mode 1
		.amdhsa_fp16_overflow 0
		.amdhsa_tg_split 0
		.amdhsa_exception_fp_ieee_invalid_op 0
		.amdhsa_exception_fp_denorm_src 0
		.amdhsa_exception_fp_ieee_div_zero 0
		.amdhsa_exception_fp_ieee_overflow 0
		.amdhsa_exception_fp_ieee_underflow 0
		.amdhsa_exception_fp_ieee_inexact 0
		.amdhsa_exception_int_div_zero 0
	.end_amdhsa_kernel
	.section	.text._ZL40rocblas_trsm_block_backward_substitutionI19rocblas_complex_numIdES1_PKS1_PS1_Lb0ELb1ELb1EEv18rocblas_operation_llT0_T1_lllT2_lllib,"axG",@progbits,_ZL40rocblas_trsm_block_backward_substitutionI19rocblas_complex_numIdES1_PKS1_PS1_Lb0ELb1ELb1EEv18rocblas_operation_llT0_T1_lllT2_lllib,comdat
.Lfunc_end248:
	.size	_ZL40rocblas_trsm_block_backward_substitutionI19rocblas_complex_numIdES1_PKS1_PS1_Lb0ELb1ELb1EEv18rocblas_operation_llT0_T1_lllT2_lllib, .Lfunc_end248-_ZL40rocblas_trsm_block_backward_substitutionI19rocblas_complex_numIdES1_PKS1_PS1_Lb0ELb1ELb1EEv18rocblas_operation_llT0_T1_lllT2_lllib
                                        ; -- End function
	.section	.AMDGPU.csdata,"",@progbits
; Kernel info:
; codeLenInByte = 920
; NumSgprs: 36
; NumVgprs: 22
; NumAgprs: 0
; TotalNumVgprs: 22
; ScratchSize: 0
; MemoryBound: 0
; FloatMode: 240
; IeeeMode: 1
; LDSByteSize: 0 bytes/workgroup (compile time only)
; SGPRBlocks: 4
; VGPRBlocks: 2
; NumSGPRsForWavesPerEU: 36
; NumVGPRsForWavesPerEU: 22
; AccumOffset: 24
; Occupancy: 8
; WaveLimiterHint : 1
; COMPUTE_PGM_RSRC2:SCRATCH_EN: 0
; COMPUTE_PGM_RSRC2:USER_SGPR: 6
; COMPUTE_PGM_RSRC2:TRAP_HANDLER: 0
; COMPUTE_PGM_RSRC2:TGID_X_EN: 1
; COMPUTE_PGM_RSRC2:TGID_Y_EN: 1
; COMPUTE_PGM_RSRC2:TGID_Z_EN: 1
; COMPUTE_PGM_RSRC2:TIDIG_COMP_CNT: 1
; COMPUTE_PGM_RSRC3_GFX90A:ACCUM_OFFSET: 5
; COMPUTE_PGM_RSRC3_GFX90A:TG_SPLIT: 0
	.section	.text._ZL39rocblas_trsm_block_forward_substitutionI19rocblas_complex_numIdES1_PKS1_PS1_Lb1ELb1ELb0EEv18rocblas_operation_llT0_T1_lllT2_lllib,"axG",@progbits,_ZL39rocblas_trsm_block_forward_substitutionI19rocblas_complex_numIdES1_PKS1_PS1_Lb1ELb1ELb0EEv18rocblas_operation_llT0_T1_lllT2_lllib,comdat
	.globl	_ZL39rocblas_trsm_block_forward_substitutionI19rocblas_complex_numIdES1_PKS1_PS1_Lb1ELb1ELb0EEv18rocblas_operation_llT0_T1_lllT2_lllib ; -- Begin function _ZL39rocblas_trsm_block_forward_substitutionI19rocblas_complex_numIdES1_PKS1_PS1_Lb1ELb1ELb0EEv18rocblas_operation_llT0_T1_lllT2_lllib
	.p2align	8
	.type	_ZL39rocblas_trsm_block_forward_substitutionI19rocblas_complex_numIdES1_PKS1_PS1_Lb1ELb1ELb0EEv18rocblas_operation_llT0_T1_lllT2_lllib,@function
_ZL39rocblas_trsm_block_forward_substitutionI19rocblas_complex_numIdES1_PKS1_PS1_Lb1ELb1ELb0EEv18rocblas_operation_llT0_T1_lllT2_lllib: ; @_ZL39rocblas_trsm_block_forward_substitutionI19rocblas_complex_numIdES1_PKS1_PS1_Lb1ELb1ELb0EEv18rocblas_operation_llT0_T1_lllT2_lllib
; %bb.0:
	s_load_dwordx16 s[12:27], s[4:5], 0x8
	s_load_dword s0, s[4:5], 0x6c
	s_load_dword s6, s[4:5], 0x7c
	v_and_b32_e32 v8, 0x3ff, v0
	v_bfe_u32 v16, v0, 10, 10
	s_waitcnt lgkmcnt(0)
	s_bitcmp1_b32 s0, 0
	s_cselect_b64 s[0:1], -1, 0
	s_xor_b64 s[2:3], s[0:1], -1
	s_mul_i32 s0, s8, s27
	s_mul_hi_u32 s1, s8, s26
	s_add_i32 s1, s1, s0
	s_mul_i32 s0, s8, s26
	s_lshl_b64 s[0:1], s[0:1], 4
	s_add_u32 s9, s20, s0
	s_addc_u32 s21, s21, s1
	s_lshl_b64 s[0:1], s[22:23], 4
	s_add_u32 s20, s9, s0
	s_addc_u32 s21, s21, s1
	s_add_u32 s26, s4, 0x70
	s_addc_u32 s27, s5, 0
	s_lshr_b32 s6, s6, 16
	s_mov_b64 s[22:23], 1
	s_and_b64 vcc, exec, s[2:3]
	s_cbranch_vccnz .LBB249_14
; %bb.1:
	s_lshl_b32 s0, s6, 4
	s_add_i32 s28, s0, 0
	v_cmp_lt_i64_e64 s[0:1], s[12:13], 1
	s_mov_b64 s[10:11], 1
	s_and_b64 vcc, exec, s[0:1]
	s_cbranch_vccnz .LBB249_15
; %bb.2:
	v_mad_u64_u32 v[0:1], s[0:1], v8, s24, 0
	v_mov_b32_e32 v2, v1
	v_mad_u64_u32 v[2:3], s[0:1], v8, s25, v[2:3]
	v_mov_b32_e32 v1, v2
	v_mov_b32_e32 v9, 0
	v_lshlrev_b64 v[0:1], 4, v[0:1]
	v_cmp_le_u64_e32 vcc, s[12:13], v[8:9]
	v_mov_b32_e32 v2, s21
	v_add_co_u32_e64 v9, s[0:1], s20, v0
	v_lshlrev_b32_e32 v4, 4, v8
	v_addc_co_u32_e64 v18, s[0:1], v2, v1, s[0:1]
	v_add_co_u32_e64 v10, s[0:1], v9, v4
	v_addc_co_u32_e64 v11, s[0:1], 0, v18, s[0:1]
	v_add_u32_e32 v17, s28, v4
	s_xor_b64 s[0:1], vcc, -1
	s_mov_b32 s20, s6
	v_mov_b32_e32 v12, v16
	s_branch .LBB249_6
.LBB249_3:                              ;   in Loop: Header=BB249_6 Depth=1
	s_or_b64 exec, exec, s[30:31]
	s_load_dword s9, s[26:27], 0xc
	s_waitcnt lgkmcnt(0)
	s_and_b32 s9, s9, 0xffff
	v_mul_u32_u24_e32 v0, s9, v8
	v_lshl_add_u32 v0, v0, 4, v17
	ds_write2_b64 v0, v[14:15], v[6:7] offset1:1
.LBB249_4:                              ;   in Loop: Header=BB249_6 Depth=1
	s_or_b64 exec, exec, s[24:25]
.LBB249_5:                              ;   in Loop: Header=BB249_6 Depth=1
	s_or_b64 exec, exec, s[22:23]
	s_ashr_i32 s21, s20, 31
	v_pk_mov_b32 v[0:1], s[12:13], s[12:13] op_sel:[0,1]
	v_cmp_ge_i64_e32 vcc, s[20:21], v[0:1]
	v_add_u32_e32 v12, s6, v12
	s_add_i32 s20, s20, s6
	s_cbranch_vccnz .LBB249_15
.LBB249_6:                              ; =>This Inner Loop Header: Depth=1
	v_cmp_gt_i32_e32 vcc, v8, v12
	s_and_b64 s[22:23], s[0:1], vcc
	s_and_saveexec_b64 s[24:25], s[22:23]
	s_xor_b64 s[22:23], exec, s[24:25]
	s_cbranch_execz .LBB249_8
; %bb.7:                                ;   in Loop: Header=BB249_6 Depth=1
	v_ashrrev_i32_e32 v13, 31, v12
	v_lshlrev_b64 v[0:1], 4, v[12:13]
	v_add_co_u32_e32 v0, vcc, v9, v0
	v_addc_co_u32_e32 v1, vcc, v18, v1, vcc
	global_load_dwordx4 v[0:3], v[0:1], off
	s_load_dword s9, s[26:27], 0xc
	s_waitcnt lgkmcnt(0)
	s_and_b32 s9, s9, 0xffff
	v_mul_lo_u32 v4, v12, s9
	v_lshl_add_u32 v4, v4, 4, v17
	s_waitcnt vmcnt(0)
	ds_write2_b64 v4, v[0:1], v[2:3] offset1:1
.LBB249_8:                              ;   in Loop: Header=BB249_6 Depth=1
	s_andn2_saveexec_b64 s[22:23], s[22:23]
	s_cbranch_execz .LBB249_5
; %bb.9:                                ;   in Loop: Header=BB249_6 Depth=1
	v_cmp_eq_u32_e32 vcc, v8, v12
	s_and_b64 s[30:31], s[0:1], vcc
	s_and_saveexec_b64 s[24:25], s[30:31]
	s_cbranch_execz .LBB249_4
; %bb.10:                               ;   in Loop: Header=BB249_6 Depth=1
	global_load_dwordx4 v[0:3], v[10:11], off
                                        ; implicit-def: $vgpr14_vgpr15
	s_waitcnt vmcnt(0)
	v_xor_b32_e32 v5, 0x80000000, v1
	v_cmp_gt_f64_e32 vcc, 0, v[0:1]
	v_xor_b32_e32 v6, 0x80000000, v3
	v_cndmask_b32_e32 v5, v1, v5, vcc
	v_cmp_gt_f64_e32 vcc, 0, v[2:3]
	v_mov_b32_e32 v4, v0
	v_cndmask_b32_e32 v7, v3, v6, vcc
	v_mov_b32_e32 v6, v2
	v_cmp_ngt_f64_e32 vcc, v[4:5], v[6:7]
	s_and_saveexec_b64 s[30:31], vcc
	s_xor_b64 s[30:31], exec, s[30:31]
                                        ; implicit-def: $vgpr4_vgpr5_vgpr6_vgpr7
	s_cbranch_execz .LBB249_12
; %bb.11:                               ;   in Loop: Header=BB249_6 Depth=1
	v_div_scale_f64 v[4:5], s[34:35], v[2:3], v[2:3], v[0:1]
	v_rcp_f64_e32 v[6:7], v[4:5]
	v_div_scale_f64 v[14:15], vcc, v[0:1], v[2:3], v[0:1]
	v_fma_f64 v[20:21], -v[4:5], v[6:7], 1.0
	v_fmac_f64_e32 v[6:7], v[6:7], v[20:21]
	v_fma_f64 v[20:21], -v[4:5], v[6:7], 1.0
	v_fmac_f64_e32 v[6:7], v[6:7], v[20:21]
	v_mul_f64 v[20:21], v[14:15], v[6:7]
	v_fma_f64 v[4:5], -v[4:5], v[20:21], v[14:15]
	v_div_fmas_f64 v[4:5], v[4:5], v[6:7], v[20:21]
	v_div_fixup_f64 v[4:5], v[4:5], v[2:3], v[0:1]
	v_fmac_f64_e32 v[2:3], v[0:1], v[4:5]
	v_div_scale_f64 v[0:1], s[34:35], v[2:3], v[2:3], 1.0
	v_rcp_f64_e32 v[6:7], v[0:1]
	v_fma_f64 v[14:15], -v[0:1], v[6:7], 1.0
	v_fmac_f64_e32 v[6:7], v[6:7], v[14:15]
	v_fma_f64 v[14:15], -v[0:1], v[6:7], 1.0
	v_fmac_f64_e32 v[6:7], v[6:7], v[14:15]
	v_div_scale_f64 v[14:15], vcc, 1.0, v[2:3], 1.0
	v_mul_f64 v[20:21], v[14:15], v[6:7]
	v_fma_f64 v[0:1], -v[0:1], v[20:21], v[14:15]
	s_nop 1
	v_div_fmas_f64 v[0:1], v[0:1], v[6:7], v[20:21]
	v_div_fixup_f64 v[6:7], v[0:1], v[2:3], 1.0
	v_mul_f64 v[14:15], v[4:5], v[6:7]
	v_xor_b32_e32 v7, 0x80000000, v7
                                        ; implicit-def: $vgpr0_vgpr1
.LBB249_12:                             ;   in Loop: Header=BB249_6 Depth=1
	s_andn2_saveexec_b64 s[30:31], s[30:31]
	s_cbranch_execz .LBB249_3
; %bb.13:                               ;   in Loop: Header=BB249_6 Depth=1
	v_div_scale_f64 v[4:5], s[34:35], v[0:1], v[0:1], v[2:3]
	v_rcp_f64_e32 v[6:7], v[4:5]
	v_div_scale_f64 v[14:15], vcc, v[2:3], v[0:1], v[2:3]
	v_fma_f64 v[20:21], -v[4:5], v[6:7], 1.0
	v_fmac_f64_e32 v[6:7], v[6:7], v[20:21]
	v_fma_f64 v[20:21], -v[4:5], v[6:7], 1.0
	v_fmac_f64_e32 v[6:7], v[6:7], v[20:21]
	v_mul_f64 v[20:21], v[14:15], v[6:7]
	v_fma_f64 v[4:5], -v[4:5], v[20:21], v[14:15]
	v_div_fmas_f64 v[4:5], v[4:5], v[6:7], v[20:21]
	v_div_fixup_f64 v[4:5], v[4:5], v[0:1], v[2:3]
	v_fmac_f64_e32 v[0:1], v[2:3], v[4:5]
	v_div_scale_f64 v[2:3], s[34:35], v[0:1], v[0:1], 1.0
	v_rcp_f64_e32 v[6:7], v[2:3]
	v_fma_f64 v[14:15], -v[2:3], v[6:7], 1.0
	v_fmac_f64_e32 v[6:7], v[6:7], v[14:15]
	v_fma_f64 v[14:15], -v[2:3], v[6:7], 1.0
	v_fmac_f64_e32 v[6:7], v[6:7], v[14:15]
	v_div_scale_f64 v[14:15], vcc, 1.0, v[0:1], 1.0
	v_mul_f64 v[20:21], v[14:15], v[6:7]
	v_fma_f64 v[2:3], -v[2:3], v[20:21], v[14:15]
	s_nop 1
	v_div_fmas_f64 v[2:3], v[2:3], v[6:7], v[20:21]
	v_div_fixup_f64 v[14:15], v[2:3], v[0:1], 1.0
	v_mul_f64 v[6:7], v[4:5], -v[14:15]
	s_branch .LBB249_3
.LBB249_14:
	s_mov_b32 s10, s24
	s_mov_b32 s11, s25
	s_branch .LBB249_16
.LBB249_15:
	s_load_dword s9, s[26:27], 0xc
	s_mov_b64 s[0:1], src_shared_base
	s_mov_b32 s29, s1
	s_mov_b32 s23, 0
	s_mov_b64 s[20:21], s[28:29]
	s_waitcnt lgkmcnt(0)
	s_and_b32 s22, s9, 0xffff
.LBB249_16:
	s_mul_i32 s7, s7, s6
	v_add_u32_e32 v0, s7, v16
	v_mov_b32_e32 v1, 0
	v_cmp_gt_i64_e32 vcc, s[14:15], v[0:1]
	s_and_saveexec_b64 s[0:1], vcc
	s_cbranch_execz .LBB249_40
; %bb.17:
	v_mov_b32_e32 v9, v1
	v_cmp_gt_i64_e32 vcc, s[12:13], v[8:9]
	s_and_b64 exec, exec, vcc
	s_cbranch_execz .LBB249_40
; %bb.18:
	s_load_dwordx8 s[24:31], s[4:5], 0x48
	v_lshlrev_b64 v[0:1], 4, v[0:1]
	s_waitcnt lgkmcnt(0)
	s_mul_i32 s1, s8, s31
	s_mul_hi_u32 s6, s8, s30
	s_mul_i32 s0, s8, s30
	s_add_i32 s1, s6, s1
	s_lshl_b64 s[0:1], s[0:1], 4
	s_add_u32 s6, s24, s0
	s_addc_u32 s7, s25, s1
	s_lshl_b64 s[0:1], s[26:27], 4
	s_add_u32 s6, s6, s0
	s_addc_u32 s7, s7, s1
	v_mad_u64_u32 v[2:3], s[0:1], v8, s28, 0
	v_mov_b32_e32 v4, v3
	v_mad_u64_u32 v[4:5], s[0:1], v8, s29, v[4:5]
	v_mov_b32_e32 v3, v4
	v_lshlrev_b64 v[2:3], 4, v[2:3]
	v_mov_b32_e32 v4, s7
	v_add_co_u32_e32 v2, vcc, s6, v2
	v_addc_co_u32_e32 v3, vcc, v4, v3, vcc
	v_add_co_u32_e32 v10, vcc, v2, v0
	v_addc_co_u32_e32 v11, vcc, v3, v1, vcc
	global_load_dwordx4 v[4:7], v[10:11], off
	v_cmp_lt_u64_e64 s[0:1], s[12:13], 2
	s_add_u32 s6, s12, -1
	s_addc_u32 s7, s13, -1
	s_and_b64 vcc, exec, s[0:1]
	s_waitcnt vmcnt(0)
	v_mul_f64 v[0:1], s[18:19], v[6:7]
	v_mul_f64 v[2:3], s[16:17], v[6:7]
	v_fma_f64 v[0:1], s[16:17], v[4:5], -v[0:1]
	v_fmac_f64_e32 v[2:3], s[18:19], v[4:5]
	s_cbranch_vccnz .LBB249_31
; %bb.19:
	s_load_dword s0, s[4:5], 0x0
	v_mov_b32_e32 v15, s21
	s_mov_b32 s14, 0
	v_lshl_add_u32 v16, v16, 4, 0
	s_waitcnt lgkmcnt(0)
	s_cmpk_eq_i32 s0, 0x71
	s_cselect_b64 s[0:1], -1, 0
	s_add_u32 s4, s22, s10
	v_mad_u64_u32 v[4:5], s[4:5], s4, v8, 0
	s_addc_u32 s8, s23, s11
	v_mov_b32_e32 v6, v5
	v_mad_u64_u32 v[6:7], s[4:5], s8, v8, v[6:7]
	v_mov_b32_e32 v5, v6
	v_lshlrev_b64 v[4:5], 4, v[4:5]
	v_add_co_u32_e32 v12, vcc, s20, v4
	v_addc_co_u32_e32 v13, vcc, v15, v5, vcc
	v_mad_u64_u32 v[4:5], s[4:5], s10, v8, 0
	v_mov_b32_e32 v6, v5
	v_mad_u64_u32 v[6:7], s[4:5], s11, v8, v[6:7]
	v_mov_b32_e32 v5, v6
	v_lshlrev_b64 v[4:5], 4, v[4:5]
	v_add_co_u32_e32 v14, vcc, s20, v4
	v_addc_co_u32_e32 v15, vcc, v15, v5, vcc
	s_lshl_b32 s15, s22, 4
	s_mov_b64 s[4:5], 0
	s_branch .LBB249_21
.LBB249_20:                             ;   in Loop: Header=BB249_21 Depth=1
	s_or_b64 exec, exec, s[8:9]
	s_add_u32 s4, s4, 1
	s_addc_u32 s5, s5, 0
	v_mov_b32_e32 v4, s14
	v_add_co_u32_e32 v14, vcc, s15, v14
	s_cmp_eq_u64 s[6:7], s[4:5]
	v_addc_co_u32_e32 v15, vcc, v15, v4, vcc
	s_cbranch_scc1 .LBB249_31
.LBB249_21:                             ; =>This Inner Loop Header: Depth=1
	v_cmp_eq_u64_e32 vcc, s[4:5], v[8:9]
	s_barrier
	s_and_saveexec_b64 s[8:9], vcc
	s_cbranch_execz .LBB249_29
; %bb.22:                               ;   in Loop: Header=BB249_21 Depth=1
	flat_load_dwordx4 v[4:7], v[12:13]
	s_andn2_b64 vcc, exec, s[2:3]
	s_cbranch_vccnz .LBB249_28
; %bb.23:                               ;   in Loop: Header=BB249_21 Depth=1
	s_waitcnt vmcnt(0) lgkmcnt(0)
	v_xor_b32_e32 v17, 0x80000000, v5
	v_cmp_gt_f64_e32 vcc, 0, v[4:5]
	v_cndmask_b32_e32 v19, v5, v17, vcc
	v_cndmask_b32_e32 v18, v4, v4, vcc
	v_xor_b32_e32 v17, 0x80000000, v7
	v_cmp_gt_f64_e32 vcc, 0, v[6:7]
	v_cndmask_b32_e32 v21, v7, v17, vcc
	v_cndmask_b32_e32 v20, v6, v6, vcc
	v_cmp_ngt_f64_e32 vcc, v[18:19], v[20:21]
	s_and_saveexec_b64 s[12:13], vcc
	s_xor_b64 s[12:13], exec, s[12:13]
	s_cbranch_execz .LBB249_25
; %bb.24:                               ;   in Loop: Header=BB249_21 Depth=1
	v_div_scale_f64 v[18:19], s[16:17], v[6:7], v[6:7], v[4:5]
	v_rcp_f64_e32 v[20:21], v[18:19]
	v_div_scale_f64 v[22:23], vcc, v[4:5], v[6:7], v[4:5]
	v_fma_f64 v[24:25], -v[18:19], v[20:21], 1.0
	v_fmac_f64_e32 v[20:21], v[20:21], v[24:25]
	v_fma_f64 v[24:25], -v[18:19], v[20:21], 1.0
	v_fmac_f64_e32 v[20:21], v[20:21], v[24:25]
	v_mul_f64 v[24:25], v[22:23], v[20:21]
	v_fma_f64 v[18:19], -v[18:19], v[24:25], v[22:23]
	v_div_fmas_f64 v[18:19], v[18:19], v[20:21], v[24:25]
	v_div_fixup_f64 v[18:19], v[18:19], v[6:7], v[4:5]
	v_fmac_f64_e32 v[6:7], v[4:5], v[18:19]
	v_div_scale_f64 v[4:5], s[16:17], v[6:7], v[6:7], 1.0
	v_rcp_f64_e32 v[20:21], v[4:5]
	v_fma_f64 v[22:23], -v[4:5], v[20:21], 1.0
	v_fmac_f64_e32 v[20:21], v[20:21], v[22:23]
	v_fma_f64 v[22:23], -v[4:5], v[20:21], 1.0
	v_fmac_f64_e32 v[20:21], v[20:21], v[22:23]
	v_div_scale_f64 v[22:23], vcc, 1.0, v[6:7], 1.0
	v_mul_f64 v[24:25], v[22:23], v[20:21]
	v_fma_f64 v[4:5], -v[4:5], v[24:25], v[22:23]
	s_nop 1
	v_div_fmas_f64 v[4:5], v[4:5], v[20:21], v[24:25]
	v_div_fixup_f64 v[6:7], v[4:5], v[6:7], 1.0
	v_mul_f64 v[4:5], v[18:19], v[6:7]
	v_xor_b32_e32 v7, 0x80000000, v7
.LBB249_25:                             ;   in Loop: Header=BB249_21 Depth=1
	s_andn2_saveexec_b64 s[12:13], s[12:13]
	s_cbranch_execz .LBB249_27
; %bb.26:                               ;   in Loop: Header=BB249_21 Depth=1
	v_div_scale_f64 v[18:19], s[16:17], v[4:5], v[4:5], v[6:7]
	v_rcp_f64_e32 v[20:21], v[18:19]
	v_div_scale_f64 v[22:23], vcc, v[6:7], v[4:5], v[6:7]
	v_fma_f64 v[24:25], -v[18:19], v[20:21], 1.0
	v_fmac_f64_e32 v[20:21], v[20:21], v[24:25]
	v_fma_f64 v[24:25], -v[18:19], v[20:21], 1.0
	v_fmac_f64_e32 v[20:21], v[20:21], v[24:25]
	v_mul_f64 v[24:25], v[22:23], v[20:21]
	v_fma_f64 v[18:19], -v[18:19], v[24:25], v[22:23]
	v_div_fmas_f64 v[18:19], v[18:19], v[20:21], v[24:25]
	v_div_fixup_f64 v[18:19], v[18:19], v[4:5], v[6:7]
	v_fmac_f64_e32 v[4:5], v[6:7], v[18:19]
	v_div_scale_f64 v[6:7], s[16:17], v[4:5], v[4:5], 1.0
	v_rcp_f64_e32 v[20:21], v[6:7]
	v_fma_f64 v[22:23], -v[6:7], v[20:21], 1.0
	v_fmac_f64_e32 v[20:21], v[20:21], v[22:23]
	v_fma_f64 v[22:23], -v[6:7], v[20:21], 1.0
	v_fmac_f64_e32 v[20:21], v[20:21], v[22:23]
	v_div_scale_f64 v[22:23], vcc, 1.0, v[4:5], 1.0
	v_mul_f64 v[24:25], v[22:23], v[20:21]
	v_fma_f64 v[6:7], -v[6:7], v[24:25], v[22:23]
	s_nop 1
	v_div_fmas_f64 v[6:7], v[6:7], v[20:21], v[24:25]
	v_div_fixup_f64 v[4:5], v[6:7], v[4:5], 1.0
	v_mul_f64 v[6:7], v[18:19], -v[4:5]
.LBB249_27:                             ;   in Loop: Header=BB249_21 Depth=1
	s_or_b64 exec, exec, s[12:13]
.LBB249_28:                             ;   in Loop: Header=BB249_21 Depth=1
	s_waitcnt vmcnt(0) lgkmcnt(0)
	v_mul_f64 v[18:19], v[2:3], v[6:7]
	v_fma_f64 v[18:19], v[0:1], v[4:5], -v[18:19]
	v_mul_f64 v[0:1], v[0:1], v[6:7]
	v_fmac_f64_e32 v[0:1], v[2:3], v[4:5]
	ds_write2_b64 v16, v[18:19], v[0:1] offset1:1
	v_pk_mov_b32 v[2:3], v[0:1], v[0:1] op_sel:[0,1]
	v_pk_mov_b32 v[0:1], v[18:19], v[18:19] op_sel:[0,1]
.LBB249_29:                             ;   in Loop: Header=BB249_21 Depth=1
	s_or_b64 exec, exec, s[8:9]
	v_cmp_lt_u64_e32 vcc, s[4:5], v[8:9]
	s_waitcnt lgkmcnt(0)
	s_barrier
	s_and_saveexec_b64 s[8:9], vcc
	s_cbranch_execz .LBB249_20
; %bb.30:                               ;   in Loop: Header=BB249_21 Depth=1
	flat_load_dwordx4 v[4:7], v[14:15]
	ds_read2_b64 v[18:21], v16 offset1:1
	s_waitcnt vmcnt(0) lgkmcnt(0)
	v_xor_b32_e32 v17, 0x80000000, v7
	v_cndmask_b32_e64 v7, v7, v17, s[0:1]
	v_mul_f64 v[22:23], v[4:5], v[20:21]
	v_mul_f64 v[20:21], v[6:7], v[20:21]
	v_fmac_f64_e32 v[22:23], v[6:7], v[18:19]
	v_fma_f64 v[4:5], v[4:5], v[18:19], -v[20:21]
	v_add_f64 v[0:1], v[0:1], -v[4:5]
	v_add_f64 v[2:3], v[2:3], -v[22:23]
	s_branch .LBB249_20
.LBB249_31:
	v_cmp_eq_u64_e32 vcc, s[6:7], v[8:9]
	s_and_saveexec_b64 s[0:1], vcc
	s_cbranch_execz .LBB249_39
; %bb.32:
	s_add_u32 s4, s22, s10
	v_mad_u64_u32 v[4:5], s[4:5], s4, v8, 0
	s_addc_u32 s6, s23, s11
	v_mov_b32_e32 v6, v5
	v_mad_u64_u32 v[6:7], s[4:5], s6, v8, v[6:7]
	v_mov_b32_e32 v5, v6
	v_lshlrev_b64 v[4:5], 4, v[4:5]
	v_mov_b32_e32 v6, s21
	v_add_co_u32_e32 v4, vcc, s20, v4
	v_addc_co_u32_e32 v5, vcc, v6, v5, vcc
	flat_load_dwordx4 v[4:7], v[4:5]
	s_andn2_b64 vcc, exec, s[2:3]
	s_cbranch_vccnz .LBB249_38
; %bb.33:
	s_waitcnt vmcnt(0) lgkmcnt(0)
	v_xor_b32_e32 v8, 0x80000000, v5
	v_cmp_gt_f64_e32 vcc, 0, v[4:5]
	v_cndmask_b32_e32 v9, v5, v8, vcc
	v_cndmask_b32_e32 v8, v4, v4, vcc
	v_xor_b32_e32 v12, 0x80000000, v7
	v_cmp_gt_f64_e32 vcc, 0, v[6:7]
	v_cndmask_b32_e32 v13, v7, v12, vcc
	v_cndmask_b32_e32 v12, v6, v6, vcc
	v_cmp_ngt_f64_e32 vcc, v[8:9], v[12:13]
	s_and_saveexec_b64 s[2:3], vcc
	s_xor_b64 s[2:3], exec, s[2:3]
	s_cbranch_execz .LBB249_35
; %bb.34:
	v_div_scale_f64 v[8:9], s[4:5], v[6:7], v[6:7], v[4:5]
	v_rcp_f64_e32 v[12:13], v[8:9]
	v_div_scale_f64 v[14:15], vcc, v[4:5], v[6:7], v[4:5]
	v_fma_f64 v[16:17], -v[8:9], v[12:13], 1.0
	v_fmac_f64_e32 v[12:13], v[12:13], v[16:17]
	v_fma_f64 v[16:17], -v[8:9], v[12:13], 1.0
	v_fmac_f64_e32 v[12:13], v[12:13], v[16:17]
	v_mul_f64 v[16:17], v[14:15], v[12:13]
	v_fma_f64 v[8:9], -v[8:9], v[16:17], v[14:15]
	v_div_fmas_f64 v[8:9], v[8:9], v[12:13], v[16:17]
	v_div_fixup_f64 v[8:9], v[8:9], v[6:7], v[4:5]
	v_fmac_f64_e32 v[6:7], v[4:5], v[8:9]
	v_div_scale_f64 v[4:5], s[4:5], v[6:7], v[6:7], 1.0
	v_rcp_f64_e32 v[12:13], v[4:5]
	v_fma_f64 v[14:15], -v[4:5], v[12:13], 1.0
	v_fmac_f64_e32 v[12:13], v[12:13], v[14:15]
	v_fma_f64 v[14:15], -v[4:5], v[12:13], 1.0
	v_fmac_f64_e32 v[12:13], v[12:13], v[14:15]
	v_div_scale_f64 v[14:15], vcc, 1.0, v[6:7], 1.0
	v_mul_f64 v[16:17], v[14:15], v[12:13]
	v_fma_f64 v[4:5], -v[4:5], v[16:17], v[14:15]
	s_nop 1
	v_div_fmas_f64 v[4:5], v[4:5], v[12:13], v[16:17]
	v_div_fixup_f64 v[6:7], v[4:5], v[6:7], 1.0
	v_mul_f64 v[4:5], v[8:9], v[6:7]
	v_xor_b32_e32 v7, 0x80000000, v7
.LBB249_35:
	s_andn2_saveexec_b64 s[2:3], s[2:3]
	s_cbranch_execz .LBB249_37
; %bb.36:
	v_div_scale_f64 v[8:9], s[4:5], v[4:5], v[4:5], v[6:7]
	v_rcp_f64_e32 v[12:13], v[8:9]
	v_div_scale_f64 v[14:15], vcc, v[6:7], v[4:5], v[6:7]
	v_fma_f64 v[16:17], -v[8:9], v[12:13], 1.0
	v_fmac_f64_e32 v[12:13], v[12:13], v[16:17]
	v_fma_f64 v[16:17], -v[8:9], v[12:13], 1.0
	v_fmac_f64_e32 v[12:13], v[12:13], v[16:17]
	v_mul_f64 v[16:17], v[14:15], v[12:13]
	v_fma_f64 v[8:9], -v[8:9], v[16:17], v[14:15]
	v_div_fmas_f64 v[8:9], v[8:9], v[12:13], v[16:17]
	v_div_fixup_f64 v[8:9], v[8:9], v[4:5], v[6:7]
	v_fmac_f64_e32 v[4:5], v[6:7], v[8:9]
	v_div_scale_f64 v[6:7], s[4:5], v[4:5], v[4:5], 1.0
	v_rcp_f64_e32 v[12:13], v[6:7]
	v_fma_f64 v[14:15], -v[6:7], v[12:13], 1.0
	v_fmac_f64_e32 v[12:13], v[12:13], v[14:15]
	v_fma_f64 v[14:15], -v[6:7], v[12:13], 1.0
	v_fmac_f64_e32 v[12:13], v[12:13], v[14:15]
	v_div_scale_f64 v[14:15], vcc, 1.0, v[4:5], 1.0
	v_mul_f64 v[16:17], v[14:15], v[12:13]
	v_fma_f64 v[6:7], -v[6:7], v[16:17], v[14:15]
	s_nop 1
	v_div_fmas_f64 v[6:7], v[6:7], v[12:13], v[16:17]
	v_div_fixup_f64 v[4:5], v[6:7], v[4:5], 1.0
	v_mul_f64 v[6:7], v[8:9], -v[4:5]
.LBB249_37:
	s_or_b64 exec, exec, s[2:3]
.LBB249_38:
	s_waitcnt vmcnt(0) lgkmcnt(0)
	v_mul_f64 v[8:9], v[2:3], v[6:7]
	v_fma_f64 v[8:9], v[0:1], v[4:5], -v[8:9]
	v_mul_f64 v[2:3], v[2:3], v[4:5]
	v_fmac_f64_e32 v[2:3], v[0:1], v[6:7]
	v_pk_mov_b32 v[0:1], v[8:9], v[8:9] op_sel:[0,1]
.LBB249_39:
	s_or_b64 exec, exec, s[0:1]
	global_store_dwordx4 v[10:11], v[0:3], off
.LBB249_40:
	s_endpgm
	.section	.rodata,"a",@progbits
	.p2align	6, 0x0
	.amdhsa_kernel _ZL39rocblas_trsm_block_forward_substitutionI19rocblas_complex_numIdES1_PKS1_PS1_Lb1ELb1ELb0EEv18rocblas_operation_llT0_T1_lllT2_lllib
		.amdhsa_group_segment_fixed_size 0
		.amdhsa_private_segment_fixed_size 0
		.amdhsa_kernarg_size 368
		.amdhsa_user_sgpr_count 6
		.amdhsa_user_sgpr_private_segment_buffer 1
		.amdhsa_user_sgpr_dispatch_ptr 0
		.amdhsa_user_sgpr_queue_ptr 0
		.amdhsa_user_sgpr_kernarg_segment_ptr 1
		.amdhsa_user_sgpr_dispatch_id 0
		.amdhsa_user_sgpr_flat_scratch_init 0
		.amdhsa_user_sgpr_kernarg_preload_length 0
		.amdhsa_user_sgpr_kernarg_preload_offset 0
		.amdhsa_user_sgpr_private_segment_size 0
		.amdhsa_uses_dynamic_stack 0
		.amdhsa_system_sgpr_private_segment_wavefront_offset 0
		.amdhsa_system_sgpr_workgroup_id_x 1
		.amdhsa_system_sgpr_workgroup_id_y 1
		.amdhsa_system_sgpr_workgroup_id_z 1
		.amdhsa_system_sgpr_workgroup_info 0
		.amdhsa_system_vgpr_workitem_id 1
		.amdhsa_next_free_vgpr 26
		.amdhsa_next_free_sgpr 36
		.amdhsa_accum_offset 28
		.amdhsa_reserve_vcc 1
		.amdhsa_reserve_flat_scratch 0
		.amdhsa_float_round_mode_32 0
		.amdhsa_float_round_mode_16_64 0
		.amdhsa_float_denorm_mode_32 3
		.amdhsa_float_denorm_mode_16_64 3
		.amdhsa_dx10_clamp 1
		.amdhsa_ieee_mode 1
		.amdhsa_fp16_overflow 0
		.amdhsa_tg_split 0
		.amdhsa_exception_fp_ieee_invalid_op 0
		.amdhsa_exception_fp_denorm_src 0
		.amdhsa_exception_fp_ieee_div_zero 0
		.amdhsa_exception_fp_ieee_overflow 0
		.amdhsa_exception_fp_ieee_underflow 0
		.amdhsa_exception_fp_ieee_inexact 0
		.amdhsa_exception_int_div_zero 0
	.end_amdhsa_kernel
	.section	.text._ZL39rocblas_trsm_block_forward_substitutionI19rocblas_complex_numIdES1_PKS1_PS1_Lb1ELb1ELb0EEv18rocblas_operation_llT0_T1_lllT2_lllib,"axG",@progbits,_ZL39rocblas_trsm_block_forward_substitutionI19rocblas_complex_numIdES1_PKS1_PS1_Lb1ELb1ELb0EEv18rocblas_operation_llT0_T1_lllT2_lllib,comdat
.Lfunc_end249:
	.size	_ZL39rocblas_trsm_block_forward_substitutionI19rocblas_complex_numIdES1_PKS1_PS1_Lb1ELb1ELb0EEv18rocblas_operation_llT0_T1_lllT2_lllib, .Lfunc_end249-_ZL39rocblas_trsm_block_forward_substitutionI19rocblas_complex_numIdES1_PKS1_PS1_Lb1ELb1ELb0EEv18rocblas_operation_llT0_T1_lllT2_lllib
                                        ; -- End function
	.section	.AMDGPU.csdata,"",@progbits
; Kernel info:
; codeLenInByte = 2472
; NumSgprs: 40
; NumVgprs: 26
; NumAgprs: 0
; TotalNumVgprs: 26
; ScratchSize: 0
; MemoryBound: 1
; FloatMode: 240
; IeeeMode: 1
; LDSByteSize: 0 bytes/workgroup (compile time only)
; SGPRBlocks: 4
; VGPRBlocks: 3
; NumSGPRsForWavesPerEU: 40
; NumVGPRsForWavesPerEU: 26
; AccumOffset: 28
; Occupancy: 8
; WaveLimiterHint : 1
; COMPUTE_PGM_RSRC2:SCRATCH_EN: 0
; COMPUTE_PGM_RSRC2:USER_SGPR: 6
; COMPUTE_PGM_RSRC2:TRAP_HANDLER: 0
; COMPUTE_PGM_RSRC2:TGID_X_EN: 1
; COMPUTE_PGM_RSRC2:TGID_Y_EN: 1
; COMPUTE_PGM_RSRC2:TGID_Z_EN: 1
; COMPUTE_PGM_RSRC2:TIDIG_COMP_CNT: 1
; COMPUTE_PGM_RSRC3_GFX90A:ACCUM_OFFSET: 6
; COMPUTE_PGM_RSRC3_GFX90A:TG_SPLIT: 0
	.section	.text._ZL40rocblas_trsm_block_backward_substitutionI19rocblas_complex_numIdES1_PKS1_PS1_Lb1ELb1ELb0EEv18rocblas_operation_llT0_T1_lllT2_lllib,"axG",@progbits,_ZL40rocblas_trsm_block_backward_substitutionI19rocblas_complex_numIdES1_PKS1_PS1_Lb1ELb1ELb0EEv18rocblas_operation_llT0_T1_lllT2_lllib,comdat
	.globl	_ZL40rocblas_trsm_block_backward_substitutionI19rocblas_complex_numIdES1_PKS1_PS1_Lb1ELb1ELb0EEv18rocblas_operation_llT0_T1_lllT2_lllib ; -- Begin function _ZL40rocblas_trsm_block_backward_substitutionI19rocblas_complex_numIdES1_PKS1_PS1_Lb1ELb1ELb0EEv18rocblas_operation_llT0_T1_lllT2_lllib
	.p2align	8
	.type	_ZL40rocblas_trsm_block_backward_substitutionI19rocblas_complex_numIdES1_PKS1_PS1_Lb1ELb1ELb0EEv18rocblas_operation_llT0_T1_lllT2_lllib,@function
_ZL40rocblas_trsm_block_backward_substitutionI19rocblas_complex_numIdES1_PKS1_PS1_Lb1ELb1ELb0EEv18rocblas_operation_llT0_T1_lllT2_lllib: ; @_ZL40rocblas_trsm_block_backward_substitutionI19rocblas_complex_numIdES1_PKS1_PS1_Lb1ELb1ELb0EEv18rocblas_operation_llT0_T1_lllT2_lllib
; %bb.0:
	s_load_dword s0, s[4:5], 0x6c
	s_load_dwordx16 s[12:27], s[4:5], 0x8
	s_load_dword s6, s[4:5], 0x7c
	v_and_b32_e32 v8, 0x3ff, v0
	v_bfe_u32 v16, v0, 10, 10
	s_waitcnt lgkmcnt(0)
	s_bitcmp1_b32 s0, 0
	s_cselect_b64 s[0:1], -1, 0
	s_xor_b64 s[10:11], s[0:1], -1
	s_mul_i32 s0, s8, s27
	s_mul_hi_u32 s1, s8, s26
	s_add_i32 s1, s1, s0
	s_mul_i32 s0, s8, s26
	s_lshl_b64 s[0:1], s[0:1], 4
	s_add_u32 s2, s20, s0
	s_addc_u32 s3, s21, s1
	s_lshl_b64 s[0:1], s[22:23], 4
	s_add_u32 s2, s2, s0
	s_addc_u32 s3, s3, s1
	s_add_u32 s20, s4, 0x70
	s_addc_u32 s21, s5, 0
	s_lshr_b32 s6, s6, 16
	s_and_b64 vcc, exec, s[10:11]
	s_cbranch_vccnz .LBB250_16
; %bb.1:
	s_lshl_b32 s0, s6, 4
	s_add_i32 s22, s0, 0
	v_cmp_lt_i64_e64 s[0:1], s[12:13], 1
	s_and_b64 vcc, exec, s[0:1]
	s_cbranch_vccnz .LBB250_15
; %bb.2:
	v_lshlrev_b32_e32 v0, 4, v8
	v_mov_b32_e32 v9, 0
	v_cmp_le_u64_e64 s[26:27], s[12:13], v[8:9]
	v_cmp_gt_u64_e64 s[0:1], s[12:13], v[8:9]
	v_mov_b32_e32 v1, s3
	v_add_co_u32_e32 v9, vcc, s2, v0
	v_add_u32_e32 v17, s22, v0
	v_addc_co_u32_e32 v18, vcc, 0, v1, vcc
	v_mad_u64_u32 v[0:1], s[2:3], v8, s24, 0
	v_mov_b32_e32 v2, v1
	v_mad_u64_u32 v[2:3], s[2:3], v8, s25, v[2:3]
	v_mov_b32_e32 v1, v2
	v_lshlrev_b64 v[0:1], 4, v[0:1]
	v_add_co_u32_e32 v10, vcc, v9, v0
	v_addc_co_u32_e32 v11, vcc, v18, v1, vcc
	s_xor_b64 s[28:29], s[26:27], -1
	s_mov_b32 s30, s6
	v_mov_b32_e32 v12, v16
	s_branch .LBB250_5
.LBB250_3:                              ;   in Loop: Header=BB250_5 Depth=1
	s_or_b64 exec, exec, s[34:35]
	s_load_dword s9, s[20:21], 0xc
	s_waitcnt lgkmcnt(0)
	s_and_b32 s9, s9, 0xffff
	v_mul_u32_u24_e32 v0, s9, v8
	v_lshl_add_u32 v0, v0, 4, v17
	ds_write2_b64 v0, v[14:15], v[6:7] offset1:1
.LBB250_4:                              ;   in Loop: Header=BB250_5 Depth=1
	s_or_b64 exec, exec, s[2:3]
	s_ashr_i32 s31, s30, 31
	v_pk_mov_b32 v[0:1], s[12:13], s[12:13] op_sel:[0,1]
	v_cmp_ge_i64_e32 vcc, s[30:31], v[0:1]
	v_add_u32_e32 v12, s6, v12
	s_add_i32 s30, s30, s6
	s_cbranch_vccnz .LBB250_15
.LBB250_5:                              ; =>This Inner Loop Header: Depth=1
	s_mov_b64 s[36:37], s[26:27]
	s_and_saveexec_b64 s[34:35], s[0:1]
	s_cbranch_execz .LBB250_9
; %bb.6:                                ;   in Loop: Header=BB250_5 Depth=1
	v_ashrrev_i32_e32 v13, 31, v12
	v_cmp_gt_i64_e32 vcc, s[12:13], v[12:13]
	v_cmp_lt_i32_e64 s[2:3], v8, v12
	s_and_b64 s[38:39], s[2:3], vcc
	s_mov_b64 s[36:37], -1
	s_and_saveexec_b64 s[2:3], s[38:39]
	s_cbranch_execz .LBB250_8
; %bb.7:                                ;   in Loop: Header=BB250_5 Depth=1
	v_mul_lo_u32 v2, v13, s24
	v_mul_lo_u32 v3, v12, s25
	v_mad_u64_u32 v[0:1], s[36:37], v12, s24, 0
	v_add3_u32 v1, v1, v3, v2
	v_lshlrev_b64 v[0:1], 4, v[0:1]
	v_add_co_u32_e32 v0, vcc, v9, v0
	v_addc_co_u32_e32 v1, vcc, v18, v1, vcc
	global_load_dwordx4 v[0:3], v[0:1], off
	s_load_dword s9, s[20:21], 0xc
	s_xor_b64 s[36:37], exec, -1
	s_waitcnt lgkmcnt(0)
	s_and_b32 s9, s9, 0xffff
	v_mul_lo_u32 v4, v12, s9
	v_lshl_add_u32 v4, v4, 4, v17
	s_waitcnt vmcnt(0)
	ds_write2_b64 v4, v[0:1], v[2:3] offset1:1
.LBB250_8:                              ;   in Loop: Header=BB250_5 Depth=1
	s_or_b64 exec, exec, s[2:3]
	s_andn2_b64 s[2:3], s[26:27], exec
	s_and_b64 s[36:37], s[36:37], exec
	s_or_b64 s[36:37], s[2:3], s[36:37]
.LBB250_9:                              ;   in Loop: Header=BB250_5 Depth=1
	s_or_b64 exec, exec, s[34:35]
	s_and_saveexec_b64 s[2:3], s[36:37]
	s_cbranch_execz .LBB250_4
; %bb.10:                               ;   in Loop: Header=BB250_5 Depth=1
	v_cmp_eq_u32_e32 vcc, v8, v12
	s_and_b64 s[34:35], s[28:29], vcc
	s_and_b64 exec, exec, s[34:35]
	s_cbranch_execz .LBB250_4
; %bb.11:                               ;   in Loop: Header=BB250_5 Depth=1
	global_load_dwordx4 v[0:3], v[10:11], off
                                        ; implicit-def: $vgpr14_vgpr15
	s_waitcnt vmcnt(0)
	v_xor_b32_e32 v5, 0x80000000, v1
	v_cmp_gt_f64_e32 vcc, 0, v[0:1]
	v_xor_b32_e32 v6, 0x80000000, v3
	v_cndmask_b32_e32 v5, v1, v5, vcc
	v_cmp_gt_f64_e32 vcc, 0, v[2:3]
	v_mov_b32_e32 v4, v0
	v_cndmask_b32_e32 v7, v3, v6, vcc
	v_mov_b32_e32 v6, v2
	v_cmp_ngt_f64_e32 vcc, v[4:5], v[6:7]
	s_and_saveexec_b64 s[34:35], vcc
	s_xor_b64 s[34:35], exec, s[34:35]
                                        ; implicit-def: $vgpr4_vgpr5_vgpr6_vgpr7
	s_cbranch_execz .LBB250_13
; %bb.12:                               ;   in Loop: Header=BB250_5 Depth=1
	v_div_scale_f64 v[4:5], s[36:37], v[2:3], v[2:3], v[0:1]
	v_rcp_f64_e32 v[6:7], v[4:5]
	v_div_scale_f64 v[14:15], vcc, v[0:1], v[2:3], v[0:1]
	v_fma_f64 v[20:21], -v[4:5], v[6:7], 1.0
	v_fmac_f64_e32 v[6:7], v[6:7], v[20:21]
	v_fma_f64 v[20:21], -v[4:5], v[6:7], 1.0
	v_fmac_f64_e32 v[6:7], v[6:7], v[20:21]
	v_mul_f64 v[20:21], v[14:15], v[6:7]
	v_fma_f64 v[4:5], -v[4:5], v[20:21], v[14:15]
	v_div_fmas_f64 v[4:5], v[4:5], v[6:7], v[20:21]
	v_div_fixup_f64 v[4:5], v[4:5], v[2:3], v[0:1]
	v_fmac_f64_e32 v[2:3], v[0:1], v[4:5]
	v_div_scale_f64 v[0:1], s[36:37], v[2:3], v[2:3], 1.0
	v_rcp_f64_e32 v[6:7], v[0:1]
	v_fma_f64 v[14:15], -v[0:1], v[6:7], 1.0
	v_fmac_f64_e32 v[6:7], v[6:7], v[14:15]
	v_fma_f64 v[14:15], -v[0:1], v[6:7], 1.0
	v_fmac_f64_e32 v[6:7], v[6:7], v[14:15]
	v_div_scale_f64 v[14:15], vcc, 1.0, v[2:3], 1.0
	v_mul_f64 v[20:21], v[14:15], v[6:7]
	v_fma_f64 v[0:1], -v[0:1], v[20:21], v[14:15]
	s_nop 1
	v_div_fmas_f64 v[0:1], v[0:1], v[6:7], v[20:21]
	v_div_fixup_f64 v[6:7], v[0:1], v[2:3], 1.0
	v_mul_f64 v[14:15], v[4:5], v[6:7]
	v_xor_b32_e32 v7, 0x80000000, v7
                                        ; implicit-def: $vgpr0_vgpr1
.LBB250_13:                             ;   in Loop: Header=BB250_5 Depth=1
	s_andn2_saveexec_b64 s[34:35], s[34:35]
	s_cbranch_execz .LBB250_3
; %bb.14:                               ;   in Loop: Header=BB250_5 Depth=1
	v_div_scale_f64 v[4:5], s[36:37], v[0:1], v[0:1], v[2:3]
	v_rcp_f64_e32 v[6:7], v[4:5]
	v_div_scale_f64 v[14:15], vcc, v[2:3], v[0:1], v[2:3]
	v_fma_f64 v[20:21], -v[4:5], v[6:7], 1.0
	v_fmac_f64_e32 v[6:7], v[6:7], v[20:21]
	v_fma_f64 v[20:21], -v[4:5], v[6:7], 1.0
	v_fmac_f64_e32 v[6:7], v[6:7], v[20:21]
	v_mul_f64 v[20:21], v[14:15], v[6:7]
	v_fma_f64 v[4:5], -v[4:5], v[20:21], v[14:15]
	v_div_fmas_f64 v[4:5], v[4:5], v[6:7], v[20:21]
	v_div_fixup_f64 v[4:5], v[4:5], v[0:1], v[2:3]
	v_fmac_f64_e32 v[0:1], v[2:3], v[4:5]
	v_div_scale_f64 v[2:3], s[36:37], v[0:1], v[0:1], 1.0
	v_rcp_f64_e32 v[6:7], v[2:3]
	v_fma_f64 v[14:15], -v[2:3], v[6:7], 1.0
	v_fmac_f64_e32 v[6:7], v[6:7], v[14:15]
	v_fma_f64 v[14:15], -v[2:3], v[6:7], 1.0
	v_fmac_f64_e32 v[6:7], v[6:7], v[14:15]
	v_div_scale_f64 v[14:15], vcc, 1.0, v[0:1], 1.0
	v_mul_f64 v[20:21], v[14:15], v[6:7]
	v_fma_f64 v[2:3], -v[2:3], v[20:21], v[14:15]
	s_nop 1
	v_div_fmas_f64 v[2:3], v[2:3], v[6:7], v[20:21]
	v_div_fixup_f64 v[14:15], v[2:3], v[0:1], 1.0
	v_mul_f64 v[6:7], v[4:5], -v[14:15]
	s_branch .LBB250_3
.LBB250_15:
	s_load_dword s2, s[20:21], 0xc
	s_mov_b64 s[0:1], src_shared_base
	s_mov_b32 s23, s1
	s_mov_b32 s25, 0
	s_waitcnt lgkmcnt(0)
	s_and_b32 s24, s2, 0xffff
	s_mov_b64 s[2:3], s[22:23]
.LBB250_16:
	s_mul_i32 s7, s7, s6
	v_add_u32_e32 v0, s7, v16
	v_mov_b32_e32 v1, 0
	v_cmp_gt_i64_e32 vcc, s[14:15], v[0:1]
	s_and_saveexec_b64 s[0:1], vcc
	s_cbranch_execz .LBB250_41
; %bb.17:
	v_mov_b32_e32 v9, v1
	v_cmp_gt_i64_e32 vcc, s[12:13], v[8:9]
	s_and_b64 exec, exec, vcc
	s_cbranch_execz .LBB250_41
; %bb.18:
	s_load_dwordx8 s[36:43], s[4:5], 0x48
	s_waitcnt lgkmcnt(0)
	s_mul_i32 s1, s8, s43
	s_mul_hi_u32 s6, s8, s42
	s_mul_i32 s0, s8, s42
	s_add_i32 s1, s6, s1
	s_lshl_b64 s[0:1], s[0:1], 4
	s_add_u32 s6, s36, s0
	s_addc_u32 s7, s37, s1
	s_lshl_b64 s[0:1], s[38:39], 4
	s_add_u32 s6, s6, s0
	s_addc_u32 s7, s7, s1
	v_mad_u64_u32 v[2:3], s[0:1], v0, s40, 0
	v_mov_b32_e32 v4, v3
	v_mad_u64_u32 v[0:1], s[0:1], v0, s41, v[4:5]
	v_mov_b32_e32 v3, v0
	v_lshlrev_b64 v[0:1], 4, v[2:3]
	v_mov_b32_e32 v2, s7
	v_add_co_u32_e32 v0, vcc, s6, v0
	v_addc_co_u32_e32 v1, vcc, v2, v1, vcc
	v_lshlrev_b32_e32 v4, 4, v8
	v_add_co_u32_e32 v10, vcc, v0, v4
	v_addc_co_u32_e32 v11, vcc, 0, v1, vcc
	global_load_dwordx4 v[12:15], v[10:11], off
	v_cmp_lt_u64_e64 s[0:1], s[12:13], 2
	s_and_b64 vcc, exec, s[0:1]
	s_waitcnt vmcnt(0)
	v_mul_f64 v[0:1], s[18:19], v[14:15]
	v_mul_f64 v[2:3], s[16:17], v[14:15]
	v_fma_f64 v[0:1], s[16:17], v[12:13], -v[0:1]
	v_fmac_f64_e32 v[2:3], s[18:19], v[12:13]
	s_cbranch_vccnz .LBB250_32
; %bb.19:
	s_load_dword s4, s[4:5], 0x0
	v_mad_u64_u32 v[6:7], s[0:1], v8, s24, v[8:9]
	v_mov_b32_e32 v12, v7
	v_mov_b32_e32 v5, s3
	s_waitcnt lgkmcnt(0)
	s_cmpk_eq_i32 s4, 0x71
	v_mad_u64_u32 v[12:13], s[4:5], v8, s25, v[12:13]
	s_cselect_b64 s[0:1], -1, 0
	s_add_u32 s4, s12, -1
	s_addc_u32 s5, s13, -1
	s_mul_i32 s6, s24, s5
	s_mul_hi_u32 s7, s24, s4
	s_add_i32 s6, s7, s6
	s_mul_i32 s7, s25, s4
	v_mov_b32_e32 v7, v12
	s_add_i32 s7, s6, s7
	s_mul_i32 s6, s24, s4
	v_lshlrev_b64 v[6:7], 4, v[6:7]
	s_lshl_b64 s[6:7], s[6:7], 4
	v_add_co_u32_e32 v12, vcc, s2, v6
	s_add_u32 s6, s2, s6
	v_addc_co_u32_e32 v13, vcc, v5, v7, vcc
	s_addc_u32 s7, s3, s7
	v_mov_b32_e32 v5, s7
	v_add_co_u32_e32 v14, vcc, s6, v4
	s_lshl_b64 s[6:7], s[24:25], 4
	s_sub_u32 s12, 0, s6
	v_lshl_add_u32 v16, v16, 4, 0
	v_addc_co_u32_e32 v15, vcc, 0, v5, vcc
	s_subb_u32 s13, 0, s7
.LBB250_20:                             ; =>This Inner Loop Header: Depth=1
	v_cmp_eq_u64_e32 vcc, s[4:5], v[8:9]
	s_barrier
	s_and_saveexec_b64 s[6:7], vcc
	s_cbranch_execz .LBB250_28
; %bb.21:                               ;   in Loop: Header=BB250_20 Depth=1
	flat_load_dwordx4 v[4:7], v[12:13]
	s_andn2_b64 vcc, exec, s[10:11]
	s_cbranch_vccnz .LBB250_27
; %bb.22:                               ;   in Loop: Header=BB250_20 Depth=1
	s_waitcnt vmcnt(0) lgkmcnt(0)
	v_xor_b32_e32 v17, 0x80000000, v5
	v_cmp_gt_f64_e32 vcc, 0, v[4:5]
	v_cndmask_b32_e32 v19, v5, v17, vcc
	v_cndmask_b32_e32 v18, v4, v4, vcc
	v_xor_b32_e32 v17, 0x80000000, v7
	v_cmp_gt_f64_e32 vcc, 0, v[6:7]
	v_cndmask_b32_e32 v21, v7, v17, vcc
	v_cndmask_b32_e32 v20, v6, v6, vcc
	v_cmp_ngt_f64_e32 vcc, v[18:19], v[20:21]
	s_and_saveexec_b64 s[8:9], vcc
	s_xor_b64 s[8:9], exec, s[8:9]
	s_cbranch_execz .LBB250_24
; %bb.23:                               ;   in Loop: Header=BB250_20 Depth=1
	v_div_scale_f64 v[18:19], s[14:15], v[6:7], v[6:7], v[4:5]
	v_rcp_f64_e32 v[20:21], v[18:19]
	v_div_scale_f64 v[22:23], vcc, v[4:5], v[6:7], v[4:5]
	v_fma_f64 v[24:25], -v[18:19], v[20:21], 1.0
	v_fmac_f64_e32 v[20:21], v[20:21], v[24:25]
	v_fma_f64 v[24:25], -v[18:19], v[20:21], 1.0
	v_fmac_f64_e32 v[20:21], v[20:21], v[24:25]
	v_mul_f64 v[24:25], v[22:23], v[20:21]
	v_fma_f64 v[18:19], -v[18:19], v[24:25], v[22:23]
	v_div_fmas_f64 v[18:19], v[18:19], v[20:21], v[24:25]
	v_div_fixup_f64 v[18:19], v[18:19], v[6:7], v[4:5]
	v_fmac_f64_e32 v[6:7], v[4:5], v[18:19]
	v_div_scale_f64 v[4:5], s[14:15], v[6:7], v[6:7], 1.0
	v_rcp_f64_e32 v[20:21], v[4:5]
	v_fma_f64 v[22:23], -v[4:5], v[20:21], 1.0
	v_fmac_f64_e32 v[20:21], v[20:21], v[22:23]
	v_fma_f64 v[22:23], -v[4:5], v[20:21], 1.0
	v_fmac_f64_e32 v[20:21], v[20:21], v[22:23]
	v_div_scale_f64 v[22:23], vcc, 1.0, v[6:7], 1.0
	v_mul_f64 v[24:25], v[22:23], v[20:21]
	v_fma_f64 v[4:5], -v[4:5], v[24:25], v[22:23]
	s_nop 1
	v_div_fmas_f64 v[4:5], v[4:5], v[20:21], v[24:25]
	v_div_fixup_f64 v[6:7], v[4:5], v[6:7], 1.0
	v_mul_f64 v[4:5], v[18:19], v[6:7]
	v_xor_b32_e32 v7, 0x80000000, v7
.LBB250_24:                             ;   in Loop: Header=BB250_20 Depth=1
	s_andn2_saveexec_b64 s[8:9], s[8:9]
	s_cbranch_execz .LBB250_26
; %bb.25:                               ;   in Loop: Header=BB250_20 Depth=1
	v_div_scale_f64 v[18:19], s[14:15], v[4:5], v[4:5], v[6:7]
	v_rcp_f64_e32 v[20:21], v[18:19]
	v_div_scale_f64 v[22:23], vcc, v[6:7], v[4:5], v[6:7]
	v_fma_f64 v[24:25], -v[18:19], v[20:21], 1.0
	v_fmac_f64_e32 v[20:21], v[20:21], v[24:25]
	v_fma_f64 v[24:25], -v[18:19], v[20:21], 1.0
	v_fmac_f64_e32 v[20:21], v[20:21], v[24:25]
	v_mul_f64 v[24:25], v[22:23], v[20:21]
	v_fma_f64 v[18:19], -v[18:19], v[24:25], v[22:23]
	v_div_fmas_f64 v[18:19], v[18:19], v[20:21], v[24:25]
	v_div_fixup_f64 v[18:19], v[18:19], v[4:5], v[6:7]
	v_fmac_f64_e32 v[4:5], v[6:7], v[18:19]
	v_div_scale_f64 v[6:7], s[14:15], v[4:5], v[4:5], 1.0
	v_rcp_f64_e32 v[20:21], v[6:7]
	v_fma_f64 v[22:23], -v[6:7], v[20:21], 1.0
	v_fmac_f64_e32 v[20:21], v[20:21], v[22:23]
	v_fma_f64 v[22:23], -v[6:7], v[20:21], 1.0
	v_fmac_f64_e32 v[20:21], v[20:21], v[22:23]
	v_div_scale_f64 v[22:23], vcc, 1.0, v[4:5], 1.0
	v_mul_f64 v[24:25], v[22:23], v[20:21]
	v_fma_f64 v[6:7], -v[6:7], v[24:25], v[22:23]
	s_nop 1
	v_div_fmas_f64 v[6:7], v[6:7], v[20:21], v[24:25]
	v_div_fixup_f64 v[4:5], v[6:7], v[4:5], 1.0
	v_mul_f64 v[6:7], v[18:19], -v[4:5]
.LBB250_26:                             ;   in Loop: Header=BB250_20 Depth=1
	s_or_b64 exec, exec, s[8:9]
.LBB250_27:                             ;   in Loop: Header=BB250_20 Depth=1
	s_waitcnt vmcnt(0) lgkmcnt(0)
	v_mul_f64 v[18:19], v[2:3], v[6:7]
	v_fma_f64 v[18:19], v[0:1], v[4:5], -v[18:19]
	v_mul_f64 v[0:1], v[0:1], v[6:7]
	v_fmac_f64_e32 v[0:1], v[2:3], v[4:5]
	ds_write2_b64 v16, v[18:19], v[0:1] offset1:1
	v_pk_mov_b32 v[2:3], v[0:1], v[0:1] op_sel:[0,1]
	v_pk_mov_b32 v[0:1], v[18:19], v[18:19] op_sel:[0,1]
.LBB250_28:                             ;   in Loop: Header=BB250_20 Depth=1
	s_or_b64 exec, exec, s[6:7]
	v_cmp_gt_i64_e32 vcc, s[4:5], v[8:9]
	s_waitcnt lgkmcnt(0)
	s_barrier
	s_and_saveexec_b64 s[6:7], vcc
	s_cbranch_execz .LBB250_30
; %bb.29:                               ;   in Loop: Header=BB250_20 Depth=1
	flat_load_dwordx4 v[4:7], v[14:15]
	ds_read2_b64 v[18:21], v16 offset1:1
	s_waitcnt vmcnt(0) lgkmcnt(0)
	v_xor_b32_e32 v17, 0x80000000, v7
	v_cndmask_b32_e64 v7, v7, v17, s[0:1]
	v_mul_f64 v[22:23], v[4:5], v[20:21]
	v_mul_f64 v[20:21], v[6:7], v[20:21]
	v_fmac_f64_e32 v[22:23], v[6:7], v[18:19]
	v_fma_f64 v[4:5], v[4:5], v[18:19], -v[20:21]
	v_add_f64 v[0:1], v[0:1], -v[4:5]
	v_add_f64 v[2:3], v[2:3], -v[22:23]
.LBB250_30:                             ;   in Loop: Header=BB250_20 Depth=1
	s_or_b64 exec, exec, s[6:7]
	s_add_u32 s6, s4, -1
	s_addc_u32 s7, s5, -1
	s_add_u32 s4, s4, 1
	s_addc_u32 s5, s5, 0
	v_mov_b32_e32 v4, s13
	v_add_co_u32_e32 v14, vcc, s12, v14
	v_addc_co_u32_e32 v15, vcc, v15, v4, vcc
	v_cmp_lt_u64_e64 s[4:5], s[4:5], 3
	s_and_b64 vcc, exec, s[4:5]
	s_cbranch_vccnz .LBB250_32
; %bb.31:                               ;   in Loop: Header=BB250_20 Depth=1
	s_mov_b64 s[4:5], s[6:7]
	s_branch .LBB250_20
.LBB250_32:
	v_cmp_eq_u32_e32 vcc, 0, v8
	s_and_saveexec_b64 s[0:1], vcc
	s_cbranch_execz .LBB250_40
; %bb.33:
	v_mad_u64_u32 v[4:5], s[4:5], v8, s24, v[8:9]
	v_mov_b32_e32 v6, v5
	v_mad_u64_u32 v[6:7], s[4:5], v8, s25, v[6:7]
	v_mov_b32_e32 v5, v6
	v_lshlrev_b64 v[4:5], 4, v[4:5]
	v_mov_b32_e32 v6, s3
	v_add_co_u32_e32 v4, vcc, s2, v4
	v_addc_co_u32_e32 v5, vcc, v6, v5, vcc
	flat_load_dwordx4 v[4:7], v[4:5]
	s_andn2_b64 vcc, exec, s[10:11]
	s_cbranch_vccnz .LBB250_39
; %bb.34:
	s_waitcnt vmcnt(0) lgkmcnt(0)
	v_xor_b32_e32 v8, 0x80000000, v5
	v_cmp_gt_f64_e32 vcc, 0, v[4:5]
	v_cndmask_b32_e32 v9, v5, v8, vcc
	v_cndmask_b32_e32 v8, v4, v4, vcc
	v_xor_b32_e32 v12, 0x80000000, v7
	v_cmp_gt_f64_e32 vcc, 0, v[6:7]
	v_cndmask_b32_e32 v13, v7, v12, vcc
	v_cndmask_b32_e32 v12, v6, v6, vcc
	v_cmp_ngt_f64_e32 vcc, v[8:9], v[12:13]
	s_and_saveexec_b64 s[2:3], vcc
	s_xor_b64 s[2:3], exec, s[2:3]
	s_cbranch_execz .LBB250_36
; %bb.35:
	v_div_scale_f64 v[8:9], s[4:5], v[6:7], v[6:7], v[4:5]
	v_rcp_f64_e32 v[12:13], v[8:9]
	v_div_scale_f64 v[14:15], vcc, v[4:5], v[6:7], v[4:5]
	v_fma_f64 v[16:17], -v[8:9], v[12:13], 1.0
	v_fmac_f64_e32 v[12:13], v[12:13], v[16:17]
	v_fma_f64 v[16:17], -v[8:9], v[12:13], 1.0
	v_fmac_f64_e32 v[12:13], v[12:13], v[16:17]
	v_mul_f64 v[16:17], v[14:15], v[12:13]
	v_fma_f64 v[8:9], -v[8:9], v[16:17], v[14:15]
	v_div_fmas_f64 v[8:9], v[8:9], v[12:13], v[16:17]
	v_div_fixup_f64 v[8:9], v[8:9], v[6:7], v[4:5]
	v_fmac_f64_e32 v[6:7], v[4:5], v[8:9]
	v_div_scale_f64 v[4:5], s[4:5], v[6:7], v[6:7], 1.0
	v_rcp_f64_e32 v[12:13], v[4:5]
	v_fma_f64 v[14:15], -v[4:5], v[12:13], 1.0
	v_fmac_f64_e32 v[12:13], v[12:13], v[14:15]
	v_fma_f64 v[14:15], -v[4:5], v[12:13], 1.0
	v_fmac_f64_e32 v[12:13], v[12:13], v[14:15]
	v_div_scale_f64 v[14:15], vcc, 1.0, v[6:7], 1.0
	v_mul_f64 v[16:17], v[14:15], v[12:13]
	v_fma_f64 v[4:5], -v[4:5], v[16:17], v[14:15]
	s_nop 1
	v_div_fmas_f64 v[4:5], v[4:5], v[12:13], v[16:17]
	v_div_fixup_f64 v[6:7], v[4:5], v[6:7], 1.0
	v_mul_f64 v[4:5], v[8:9], v[6:7]
	v_xor_b32_e32 v7, 0x80000000, v7
.LBB250_36:
	s_andn2_saveexec_b64 s[2:3], s[2:3]
	s_cbranch_execz .LBB250_38
; %bb.37:
	v_div_scale_f64 v[8:9], s[4:5], v[4:5], v[4:5], v[6:7]
	v_rcp_f64_e32 v[12:13], v[8:9]
	v_div_scale_f64 v[14:15], vcc, v[6:7], v[4:5], v[6:7]
	v_fma_f64 v[16:17], -v[8:9], v[12:13], 1.0
	v_fmac_f64_e32 v[12:13], v[12:13], v[16:17]
	v_fma_f64 v[16:17], -v[8:9], v[12:13], 1.0
	v_fmac_f64_e32 v[12:13], v[12:13], v[16:17]
	v_mul_f64 v[16:17], v[14:15], v[12:13]
	v_fma_f64 v[8:9], -v[8:9], v[16:17], v[14:15]
	v_div_fmas_f64 v[8:9], v[8:9], v[12:13], v[16:17]
	v_div_fixup_f64 v[8:9], v[8:9], v[4:5], v[6:7]
	v_fmac_f64_e32 v[4:5], v[6:7], v[8:9]
	v_div_scale_f64 v[6:7], s[4:5], v[4:5], v[4:5], 1.0
	v_rcp_f64_e32 v[12:13], v[6:7]
	v_fma_f64 v[14:15], -v[6:7], v[12:13], 1.0
	v_fmac_f64_e32 v[12:13], v[12:13], v[14:15]
	v_fma_f64 v[14:15], -v[6:7], v[12:13], 1.0
	v_fmac_f64_e32 v[12:13], v[12:13], v[14:15]
	v_div_scale_f64 v[14:15], vcc, 1.0, v[4:5], 1.0
	v_mul_f64 v[16:17], v[14:15], v[12:13]
	v_fma_f64 v[6:7], -v[6:7], v[16:17], v[14:15]
	s_nop 1
	v_div_fmas_f64 v[6:7], v[6:7], v[12:13], v[16:17]
	v_div_fixup_f64 v[4:5], v[6:7], v[4:5], 1.0
	v_mul_f64 v[6:7], v[8:9], -v[4:5]
.LBB250_38:
	s_or_b64 exec, exec, s[2:3]
.LBB250_39:
	s_waitcnt vmcnt(0) lgkmcnt(0)
	v_mul_f64 v[8:9], v[2:3], v[6:7]
	v_fma_f64 v[8:9], v[0:1], v[4:5], -v[8:9]
	v_mul_f64 v[2:3], v[2:3], v[4:5]
	v_fmac_f64_e32 v[2:3], v[0:1], v[6:7]
	v_pk_mov_b32 v[0:1], v[8:9], v[8:9] op_sel:[0,1]
.LBB250_40:
	s_or_b64 exec, exec, s[0:1]
	global_store_dwordx4 v[10:11], v[0:3], off
.LBB250_41:
	s_endpgm
	.section	.rodata,"a",@progbits
	.p2align	6, 0x0
	.amdhsa_kernel _ZL40rocblas_trsm_block_backward_substitutionI19rocblas_complex_numIdES1_PKS1_PS1_Lb1ELb1ELb0EEv18rocblas_operation_llT0_T1_lllT2_lllib
		.amdhsa_group_segment_fixed_size 0
		.amdhsa_private_segment_fixed_size 0
		.amdhsa_kernarg_size 368
		.amdhsa_user_sgpr_count 6
		.amdhsa_user_sgpr_private_segment_buffer 1
		.amdhsa_user_sgpr_dispatch_ptr 0
		.amdhsa_user_sgpr_queue_ptr 0
		.amdhsa_user_sgpr_kernarg_segment_ptr 1
		.amdhsa_user_sgpr_dispatch_id 0
		.amdhsa_user_sgpr_flat_scratch_init 0
		.amdhsa_user_sgpr_kernarg_preload_length 0
		.amdhsa_user_sgpr_kernarg_preload_offset 0
		.amdhsa_user_sgpr_private_segment_size 0
		.amdhsa_uses_dynamic_stack 0
		.amdhsa_system_sgpr_private_segment_wavefront_offset 0
		.amdhsa_system_sgpr_workgroup_id_x 1
		.amdhsa_system_sgpr_workgroup_id_y 1
		.amdhsa_system_sgpr_workgroup_id_z 1
		.amdhsa_system_sgpr_workgroup_info 0
		.amdhsa_system_vgpr_workitem_id 1
		.amdhsa_next_free_vgpr 26
		.amdhsa_next_free_sgpr 44
		.amdhsa_accum_offset 28
		.amdhsa_reserve_vcc 1
		.amdhsa_reserve_flat_scratch 0
		.amdhsa_float_round_mode_32 0
		.amdhsa_float_round_mode_16_64 0
		.amdhsa_float_denorm_mode_32 3
		.amdhsa_float_denorm_mode_16_64 3
		.amdhsa_dx10_clamp 1
		.amdhsa_ieee_mode 1
		.amdhsa_fp16_overflow 0
		.amdhsa_tg_split 0
		.amdhsa_exception_fp_ieee_invalid_op 0
		.amdhsa_exception_fp_denorm_src 0
		.amdhsa_exception_fp_ieee_div_zero 0
		.amdhsa_exception_fp_ieee_overflow 0
		.amdhsa_exception_fp_ieee_underflow 0
		.amdhsa_exception_fp_ieee_inexact 0
		.amdhsa_exception_int_div_zero 0
	.end_amdhsa_kernel
	.section	.text._ZL40rocblas_trsm_block_backward_substitutionI19rocblas_complex_numIdES1_PKS1_PS1_Lb1ELb1ELb0EEv18rocblas_operation_llT0_T1_lllT2_lllib,"axG",@progbits,_ZL40rocblas_trsm_block_backward_substitutionI19rocblas_complex_numIdES1_PKS1_PS1_Lb1ELb1ELb0EEv18rocblas_operation_llT0_T1_lllT2_lllib,comdat
.Lfunc_end250:
	.size	_ZL40rocblas_trsm_block_backward_substitutionI19rocblas_complex_numIdES1_PKS1_PS1_Lb1ELb1ELb0EEv18rocblas_operation_llT0_T1_lllT2_lllib, .Lfunc_end250-_ZL40rocblas_trsm_block_backward_substitutionI19rocblas_complex_numIdES1_PKS1_PS1_Lb1ELb1ELb0EEv18rocblas_operation_llT0_T1_lllT2_lllib
                                        ; -- End function
	.section	.AMDGPU.csdata,"",@progbits
; Kernel info:
; codeLenInByte = 2524
; NumSgprs: 48
; NumVgprs: 26
; NumAgprs: 0
; TotalNumVgprs: 26
; ScratchSize: 0
; MemoryBound: 1
; FloatMode: 240
; IeeeMode: 1
; LDSByteSize: 0 bytes/workgroup (compile time only)
; SGPRBlocks: 5
; VGPRBlocks: 3
; NumSGPRsForWavesPerEU: 48
; NumVGPRsForWavesPerEU: 26
; AccumOffset: 28
; Occupancy: 8
; WaveLimiterHint : 1
; COMPUTE_PGM_RSRC2:SCRATCH_EN: 0
; COMPUTE_PGM_RSRC2:USER_SGPR: 6
; COMPUTE_PGM_RSRC2:TRAP_HANDLER: 0
; COMPUTE_PGM_RSRC2:TGID_X_EN: 1
; COMPUTE_PGM_RSRC2:TGID_Y_EN: 1
; COMPUTE_PGM_RSRC2:TGID_Z_EN: 1
; COMPUTE_PGM_RSRC2:TIDIG_COMP_CNT: 1
; COMPUTE_PGM_RSRC3_GFX90A:ACCUM_OFFSET: 6
; COMPUTE_PGM_RSRC3_GFX90A:TG_SPLIT: 0
	.section	.text._ZL39rocblas_trsm_block_forward_substitutionI19rocblas_complex_numIdES1_PKS1_PS1_Lb1ELb1ELb1EEv18rocblas_operation_llT0_T1_lllT2_lllib,"axG",@progbits,_ZL39rocblas_trsm_block_forward_substitutionI19rocblas_complex_numIdES1_PKS1_PS1_Lb1ELb1ELb1EEv18rocblas_operation_llT0_T1_lllT2_lllib,comdat
	.globl	_ZL39rocblas_trsm_block_forward_substitutionI19rocblas_complex_numIdES1_PKS1_PS1_Lb1ELb1ELb1EEv18rocblas_operation_llT0_T1_lllT2_lllib ; -- Begin function _ZL39rocblas_trsm_block_forward_substitutionI19rocblas_complex_numIdES1_PKS1_PS1_Lb1ELb1ELb1EEv18rocblas_operation_llT0_T1_lllT2_lllib
	.p2align	8
	.type	_ZL39rocblas_trsm_block_forward_substitutionI19rocblas_complex_numIdES1_PKS1_PS1_Lb1ELb1ELb1EEv18rocblas_operation_llT0_T1_lllT2_lllib,@function
_ZL39rocblas_trsm_block_forward_substitutionI19rocblas_complex_numIdES1_PKS1_PS1_Lb1ELb1ELb1EEv18rocblas_operation_llT0_T1_lllT2_lllib: ; @_ZL39rocblas_trsm_block_forward_substitutionI19rocblas_complex_numIdES1_PKS1_PS1_Lb1ELb1ELb1EEv18rocblas_operation_llT0_T1_lllT2_lllib
; %bb.0:
	s_load_dwordx16 s[12:27], s[4:5], 0x8
	v_and_b32_e32 v4, 0x3ff, v0
	v_bfe_u32 v8, v0, 10, 10
	s_waitcnt lgkmcnt(0)
	s_mul_i32 s0, s8, s27
	s_mul_hi_u32 s1, s8, s26
	s_add_i32 s1, s1, s0
	s_mul_i32 s0, s8, s26
	s_lshl_b64 s[0:1], s[0:1], 4
	s_add_u32 s6, s20, s0
	s_addc_u32 s9, s21, s1
	s_lshl_b64 s[0:1], s[22:23], 4
	s_add_u32 s10, s6, s0
	s_addc_u32 s11, s9, s1
	s_load_dword s0, s[4:5], 0x6c
	s_load_dword s1, s[4:5], 0x7c
	s_add_u32 s22, s4, 0x70
	s_addc_u32 s23, s5, 0
	s_mov_b64 s[20:21], 1
	s_waitcnt lgkmcnt(0)
	s_lshr_b32 s6, s1, 16
	s_bitcmp0_b32 s0, 0
	s_cbranch_scc1 .LBB251_6
; %bb.1:
	s_lshl_b32 s0, s6, 4
	s_add_i32 s26, s0, 0
	v_cmp_lt_i64_e64 s[0:1], s[12:13], 1
	s_mov_b64 s[2:3], 1
	s_and_b64 vcc, exec, s[0:1]
	s_cbranch_vccnz .LBB251_7
; %bb.2:
	v_mad_u64_u32 v[0:1], s[20:21], v4, s24, 0
	v_mov_b32_e32 v2, v1
	v_mad_u64_u32 v[2:3], s[20:21], v4, s25, v[2:3]
	v_mov_b32_e32 v1, v2
	v_mov_b32_e32 v5, 0
	v_lshlrev_b64 v[0:1], 4, v[0:1]
	v_cmp_gt_u64_e64 s[0:1], s[12:13], v[4:5]
	v_mov_b32_e32 v2, s11
	v_add_co_u32_e32 v5, vcc, s10, v0
	v_lshl_add_u32 v6, v4, 4, s26
	v_addc_co_u32_e32 v7, vcc, v2, v1, vcc
	s_mov_b32 s10, 0
	v_pk_mov_b32 v[0:1], s[12:13], s[12:13] op_sel:[0,1]
	s_branch .LBB251_4
.LBB251_3:                              ;   in Loop: Header=BB251_4 Depth=1
	s_or_b64 exec, exec, s[20:21]
	s_add_i32 s10, s10, s6
	s_ashr_i32 s11, s10, 31
	v_cmp_ge_i64_e32 vcc, s[10:11], v[0:1]
	s_cbranch_vccnz .LBB251_7
.LBB251_4:                              ; =>This Inner Loop Header: Depth=1
	v_add_u32_e32 v2, s10, v8
	v_cmp_gt_i32_e32 vcc, v4, v2
	s_and_b64 s[24:25], s[0:1], vcc
	s_and_saveexec_b64 s[20:21], s[24:25]
	s_cbranch_execz .LBB251_3
; %bb.5:                                ;   in Loop: Header=BB251_4 Depth=1
	v_ashrrev_i32_e32 v3, 31, v2
	v_lshlrev_b64 v[10:11], 4, v[2:3]
	v_add_co_u32_e32 v10, vcc, v5, v10
	v_addc_co_u32_e32 v11, vcc, v7, v11, vcc
	global_load_dwordx4 v[10:13], v[10:11], off
	s_load_dword s9, s[22:23], 0xc
	s_waitcnt lgkmcnt(0)
	s_and_b32 s9, s9, 0xffff
	v_mul_lo_u32 v2, v2, s9
	v_lshl_add_u32 v2, v2, 4, v6
	s_waitcnt vmcnt(0)
	ds_write2_b64 v2, v[10:11], v[12:13] offset1:1
	s_branch .LBB251_3
.LBB251_6:
	s_mov_b32 s2, s24
	s_mov_b32 s3, s25
	s_branch .LBB251_8
.LBB251_7:
	s_load_dword s9, s[22:23], 0xc
	s_mov_b64 s[0:1], src_shared_base
	s_mov_b32 s27, s1
	s_mov_b64 s[10:11], s[26:27]
	s_waitcnt lgkmcnt(0)
	s_and_b32 s20, s9, 0xffff
.LBB251_8:
	s_mul_i32 s7, s7, s6
	v_add_u32_e32 v0, s7, v8
	v_mov_b32_e32 v1, 0
	v_cmp_gt_i64_e32 vcc, s[14:15], v[0:1]
	s_and_saveexec_b64 s[0:1], vcc
	s_cbranch_execz .LBB251_18
; %bb.9:
	v_mov_b32_e32 v5, v1
	v_cmp_gt_i64_e32 vcc, s[12:13], v[4:5]
	s_and_b64 exec, exec, vcc
	s_cbranch_execz .LBB251_18
; %bb.10:
	s_load_dwordx8 s[24:31], s[4:5], 0x48
	v_lshlrev_b64 v[0:1], 4, v[0:1]
	s_waitcnt lgkmcnt(0)
	s_mul_i32 s1, s8, s31
	s_mul_hi_u32 s6, s8, s30
	s_mul_i32 s0, s8, s30
	s_add_i32 s1, s6, s1
	s_lshl_b64 s[0:1], s[0:1], 4
	s_add_u32 s6, s24, s0
	s_addc_u32 s7, s25, s1
	s_lshl_b64 s[0:1], s[26:27], 4
	s_add_u32 s6, s6, s0
	s_addc_u32 s7, s7, s1
	v_mad_u64_u32 v[2:3], s[0:1], v4, s28, 0
	v_mov_b32_e32 v6, v3
	v_mad_u64_u32 v[6:7], s[0:1], v4, s29, v[6:7]
	v_mov_b32_e32 v3, v6
	v_lshlrev_b64 v[2:3], 4, v[2:3]
	v_mov_b32_e32 v6, s7
	v_add_co_u32_e32 v2, vcc, s6, v2
	v_addc_co_u32_e32 v3, vcc, v6, v3, vcc
	v_add_co_u32_e32 v6, vcc, v2, v0
	v_addc_co_u32_e32 v7, vcc, v3, v1, vcc
	global_load_dwordx4 v[10:13], v[6:7], off
	v_cmp_lt_u64_e64 s[0:1], s[12:13], 2
	s_and_b64 vcc, exec, s[0:1]
	s_waitcnt vmcnt(0)
	v_mul_f64 v[0:1], s[18:19], v[12:13]
	v_mul_f64 v[2:3], s[16:17], v[12:13]
	v_fma_f64 v[0:1], s[16:17], v[10:11], -v[0:1]
	v_fmac_f64_e32 v[2:3], s[18:19], v[10:11]
	s_cbranch_vccnz .LBB251_17
; %bb.11:
	s_load_dword s0, s[4:5], 0x0
	v_lshl_add_u32 v10, v8, 4, 0
	v_mov_b32_e32 v11, s11
	s_mov_b32 s8, 0
	s_waitcnt lgkmcnt(0)
	s_cmpk_eq_i32 s0, 0x71
	v_mad_u64_u32 v[8:9], s[0:1], s2, v4, 0
	v_mov_b32_e32 v12, v9
	v_mad_u64_u32 v[12:13], s[0:1], s3, v4, v[12:13]
	v_mov_b32_e32 v9, v12
	v_lshlrev_b64 v[8:9], 4, v[8:9]
	s_cselect_b64 vcc, -1, 0
	s_add_u32 s4, s12, -1
	v_add_co_u32_e64 v8, s[0:1], s10, v8
	s_addc_u32 s5, s13, -1
	v_addc_co_u32_e64 v9, s[0:1], v11, v9, s[0:1]
	s_lshl_b32 s9, s20, 4
	s_mov_b64 s[2:3], 0
	s_branch .LBB251_13
.LBB251_12:                             ;   in Loop: Header=BB251_13 Depth=1
	s_or_b64 exec, exec, s[6:7]
	s_add_u32 s2, s2, 1
	s_addc_u32 s3, s3, 0
	v_mov_b32_e32 v11, s8
	v_add_co_u32_e64 v8, s[0:1], s9, v8
	s_cmp_eq_u64 s[4:5], s[2:3]
	v_addc_co_u32_e64 v9, s[0:1], v9, v11, s[0:1]
	s_cbranch_scc1 .LBB251_17
.LBB251_13:                             ; =>This Inner Loop Header: Depth=1
	v_cmp_eq_u64_e64 s[0:1], s[2:3], v[4:5]
	s_barrier
	s_and_saveexec_b64 s[6:7], s[0:1]
	s_cbranch_execz .LBB251_15
; %bb.14:                               ;   in Loop: Header=BB251_13 Depth=1
	ds_write2_b64 v10, v[0:1], v[2:3] offset1:1
.LBB251_15:                             ;   in Loop: Header=BB251_13 Depth=1
	s_or_b64 exec, exec, s[6:7]
	v_cmp_lt_u64_e64 s[0:1], s[2:3], v[4:5]
	s_waitcnt lgkmcnt(0)
	s_barrier
	s_and_saveexec_b64 s[6:7], s[0:1]
	s_cbranch_execz .LBB251_12
; %bb.16:                               ;   in Loop: Header=BB251_13 Depth=1
	flat_load_dwordx4 v[12:15], v[8:9]
	ds_read2_b64 v[16:19], v10 offset1:1
	s_waitcnt vmcnt(0) lgkmcnt(0)
	v_xor_b32_e32 v11, 0x80000000, v15
	v_cndmask_b32_e32 v15, v15, v11, vcc
	v_mul_f64 v[20:21], v[12:13], v[18:19]
	v_mul_f64 v[18:19], v[14:15], v[18:19]
	v_fmac_f64_e32 v[20:21], v[14:15], v[16:17]
	v_fma_f64 v[12:13], v[12:13], v[16:17], -v[18:19]
	v_add_f64 v[0:1], v[0:1], -v[12:13]
	v_add_f64 v[2:3], v[2:3], -v[20:21]
	s_branch .LBB251_12
.LBB251_17:
	global_store_dwordx4 v[6:7], v[0:3], off
.LBB251_18:
	s_endpgm
	.section	.rodata,"a",@progbits
	.p2align	6, 0x0
	.amdhsa_kernel _ZL39rocblas_trsm_block_forward_substitutionI19rocblas_complex_numIdES1_PKS1_PS1_Lb1ELb1ELb1EEv18rocblas_operation_llT0_T1_lllT2_lllib
		.amdhsa_group_segment_fixed_size 0
		.amdhsa_private_segment_fixed_size 0
		.amdhsa_kernarg_size 368
		.amdhsa_user_sgpr_count 6
		.amdhsa_user_sgpr_private_segment_buffer 1
		.amdhsa_user_sgpr_dispatch_ptr 0
		.amdhsa_user_sgpr_queue_ptr 0
		.amdhsa_user_sgpr_kernarg_segment_ptr 1
		.amdhsa_user_sgpr_dispatch_id 0
		.amdhsa_user_sgpr_flat_scratch_init 0
		.amdhsa_user_sgpr_kernarg_preload_length 0
		.amdhsa_user_sgpr_kernarg_preload_offset 0
		.amdhsa_user_sgpr_private_segment_size 0
		.amdhsa_uses_dynamic_stack 0
		.amdhsa_system_sgpr_private_segment_wavefront_offset 0
		.amdhsa_system_sgpr_workgroup_id_x 1
		.amdhsa_system_sgpr_workgroup_id_y 1
		.amdhsa_system_sgpr_workgroup_id_z 1
		.amdhsa_system_sgpr_workgroup_info 0
		.amdhsa_system_vgpr_workitem_id 1
		.amdhsa_next_free_vgpr 22
		.amdhsa_next_free_sgpr 32
		.amdhsa_accum_offset 24
		.amdhsa_reserve_vcc 1
		.amdhsa_reserve_flat_scratch 0
		.amdhsa_float_round_mode_32 0
		.amdhsa_float_round_mode_16_64 0
		.amdhsa_float_denorm_mode_32 3
		.amdhsa_float_denorm_mode_16_64 3
		.amdhsa_dx10_clamp 1
		.amdhsa_ieee_mode 1
		.amdhsa_fp16_overflow 0
		.amdhsa_tg_split 0
		.amdhsa_exception_fp_ieee_invalid_op 0
		.amdhsa_exception_fp_denorm_src 0
		.amdhsa_exception_fp_ieee_div_zero 0
		.amdhsa_exception_fp_ieee_overflow 0
		.amdhsa_exception_fp_ieee_underflow 0
		.amdhsa_exception_fp_ieee_inexact 0
		.amdhsa_exception_int_div_zero 0
	.end_amdhsa_kernel
	.section	.text._ZL39rocblas_trsm_block_forward_substitutionI19rocblas_complex_numIdES1_PKS1_PS1_Lb1ELb1ELb1EEv18rocblas_operation_llT0_T1_lllT2_lllib,"axG",@progbits,_ZL39rocblas_trsm_block_forward_substitutionI19rocblas_complex_numIdES1_PKS1_PS1_Lb1ELb1ELb1EEv18rocblas_operation_llT0_T1_lllT2_lllib,comdat
.Lfunc_end251:
	.size	_ZL39rocblas_trsm_block_forward_substitutionI19rocblas_complex_numIdES1_PKS1_PS1_Lb1ELb1ELb1EEv18rocblas_operation_llT0_T1_lllT2_lllib, .Lfunc_end251-_ZL39rocblas_trsm_block_forward_substitutionI19rocblas_complex_numIdES1_PKS1_PS1_Lb1ELb1ELb1EEv18rocblas_operation_llT0_T1_lllT2_lllib
                                        ; -- End function
	.section	.AMDGPU.csdata,"",@progbits
; Kernel info:
; codeLenInByte = 888
; NumSgprs: 36
; NumVgprs: 22
; NumAgprs: 0
; TotalNumVgprs: 22
; ScratchSize: 0
; MemoryBound: 0
; FloatMode: 240
; IeeeMode: 1
; LDSByteSize: 0 bytes/workgroup (compile time only)
; SGPRBlocks: 4
; VGPRBlocks: 2
; NumSGPRsForWavesPerEU: 36
; NumVGPRsForWavesPerEU: 22
; AccumOffset: 24
; Occupancy: 8
; WaveLimiterHint : 1
; COMPUTE_PGM_RSRC2:SCRATCH_EN: 0
; COMPUTE_PGM_RSRC2:USER_SGPR: 6
; COMPUTE_PGM_RSRC2:TRAP_HANDLER: 0
; COMPUTE_PGM_RSRC2:TGID_X_EN: 1
; COMPUTE_PGM_RSRC2:TGID_Y_EN: 1
; COMPUTE_PGM_RSRC2:TGID_Z_EN: 1
; COMPUTE_PGM_RSRC2:TIDIG_COMP_CNT: 1
; COMPUTE_PGM_RSRC3_GFX90A:ACCUM_OFFSET: 5
; COMPUTE_PGM_RSRC3_GFX90A:TG_SPLIT: 0
	.section	.text._ZL40rocblas_trsm_block_backward_substitutionI19rocblas_complex_numIdES1_PKS1_PS1_Lb1ELb1ELb1EEv18rocblas_operation_llT0_T1_lllT2_lllib,"axG",@progbits,_ZL40rocblas_trsm_block_backward_substitutionI19rocblas_complex_numIdES1_PKS1_PS1_Lb1ELb1ELb1EEv18rocblas_operation_llT0_T1_lllT2_lllib,comdat
	.globl	_ZL40rocblas_trsm_block_backward_substitutionI19rocblas_complex_numIdES1_PKS1_PS1_Lb1ELb1ELb1EEv18rocblas_operation_llT0_T1_lllT2_lllib ; -- Begin function _ZL40rocblas_trsm_block_backward_substitutionI19rocblas_complex_numIdES1_PKS1_PS1_Lb1ELb1ELb1EEv18rocblas_operation_llT0_T1_lllT2_lllib
	.p2align	8
	.type	_ZL40rocblas_trsm_block_backward_substitutionI19rocblas_complex_numIdES1_PKS1_PS1_Lb1ELb1ELb1EEv18rocblas_operation_llT0_T1_lllT2_lllib,@function
_ZL40rocblas_trsm_block_backward_substitutionI19rocblas_complex_numIdES1_PKS1_PS1_Lb1ELb1ELb1EEv18rocblas_operation_llT0_T1_lllT2_lllib: ; @_ZL40rocblas_trsm_block_backward_substitutionI19rocblas_complex_numIdES1_PKS1_PS1_Lb1ELb1ELb1EEv18rocblas_operation_llT0_T1_lllT2_lllib
; %bb.0:
	s_load_dwordx16 s[12:27], s[4:5], 0x8
	v_and_b32_e32 v4, 0x3ff, v0
	v_bfe_u32 v8, v0, 10, 10
	s_waitcnt lgkmcnt(0)
	s_mul_i32 s0, s8, s27
	s_mul_hi_u32 s1, s8, s26
	s_add_i32 s1, s1, s0
	s_mul_i32 s0, s8, s26
	s_lshl_b64 s[0:1], s[0:1], 4
	s_add_u32 s2, s20, s0
	s_addc_u32 s3, s21, s1
	s_lshl_b64 s[0:1], s[22:23], 4
	s_add_u32 s2, s2, s0
	s_load_dword s0, s[4:5], 0x6c
	s_load_dword s6, s[4:5], 0x7c
	s_addc_u32 s3, s3, s1
	s_add_u32 s10, s4, 0x70
	s_addc_u32 s11, s5, 0
	s_waitcnt lgkmcnt(0)
	s_lshr_b32 s6, s6, 16
	s_bitcmp0_b32 s0, 0
	s_cbranch_scc1 .LBB252_7
; %bb.1:
	s_lshl_b32 s0, s6, 4
	s_add_i32 s20, s0, 0
	v_cmp_lt_i64_e64 s[0:1], s[12:13], 1
	s_and_b64 vcc, exec, s[0:1]
	s_cbranch_vccnz .LBB252_6
; %bb.2:
	v_lshlrev_b32_e32 v0, 4, v4
	v_mov_b32_e32 v5, 0
	v_cmp_gt_u64_e64 s[0:1], s[12:13], v[4:5]
	v_mov_b32_e32 v1, s3
	v_add_co_u32_e32 v5, vcc, s2, v0
	v_add_u32_e32 v6, s20, v0
	s_mov_b32 s22, 0
	v_addc_co_u32_e32 v7, vcc, 0, v1, vcc
	v_pk_mov_b32 v[0:1], s[12:13], s[12:13] op_sel:[0,1]
	s_branch .LBB252_4
.LBB252_3:                              ;   in Loop: Header=BB252_4 Depth=1
	s_or_b64 exec, exec, s[2:3]
	s_add_i32 s22, s22, s6
	s_ashr_i32 s23, s22, 31
	v_cmp_ge_i64_e32 vcc, s[22:23], v[0:1]
	s_cbranch_vccnz .LBB252_6
.LBB252_4:                              ; =>This Inner Loop Header: Depth=1
	v_add_u32_e32 v2, s22, v8
	v_ashrrev_i32_e32 v3, 31, v2
	v_cmp_gt_i64_e32 vcc, s[12:13], v[2:3]
	v_cmp_lt_i32_e64 s[2:3], v4, v2
	s_and_b64 s[2:3], s[2:3], vcc
	s_and_b64 s[26:27], s[0:1], s[2:3]
	s_and_saveexec_b64 s[2:3], s[26:27]
	s_cbranch_execz .LBB252_3
; %bb.5:                                ;   in Loop: Header=BB252_4 Depth=1
	v_mul_lo_u32 v3, v3, s24
	v_mul_lo_u32 v9, v2, s25
	v_mad_u64_u32 v[10:11], s[26:27], v2, s24, 0
	v_add3_u32 v11, v11, v9, v3
	v_lshlrev_b64 v[10:11], 4, v[10:11]
	v_add_co_u32_e32 v10, vcc, v5, v10
	v_addc_co_u32_e32 v11, vcc, v7, v11, vcc
	global_load_dwordx4 v[10:13], v[10:11], off
	s_load_dword s9, s[10:11], 0xc
	s_waitcnt lgkmcnt(0)
	s_and_b32 s9, s9, 0xffff
	v_mul_lo_u32 v2, v2, s9
	v_lshl_add_u32 v2, v2, 4, v6
	s_waitcnt vmcnt(0)
	ds_write2_b64 v2, v[10:11], v[12:13] offset1:1
	s_branch .LBB252_3
.LBB252_6:
	s_load_dword s2, s[10:11], 0xc
	s_mov_b64 s[0:1], src_shared_base
	s_mov_b32 s21, s1
	s_mov_b32 s25, 0
	s_waitcnt lgkmcnt(0)
	s_and_b32 s24, s2, 0xffff
	s_mov_b64 s[2:3], s[20:21]
.LBB252_7:
	s_mul_i32 s7, s7, s6
	v_add_u32_e32 v0, s7, v8
	v_mov_b32_e32 v1, 0
	v_cmp_gt_i64_e32 vcc, s[14:15], v[0:1]
	s_and_saveexec_b64 s[0:1], vcc
	s_cbranch_execz .LBB252_18
; %bb.8:
	v_mov_b32_e32 v5, v1
	v_cmp_gt_i64_e32 vcc, s[12:13], v[4:5]
	s_and_b64 exec, exec, vcc
	s_cbranch_execz .LBB252_18
; %bb.9:
	s_load_dwordx8 s[36:43], s[4:5], 0x48
	v_lshlrev_b32_e32 v9, 4, v4
	s_waitcnt lgkmcnt(0)
	s_mul_i32 s1, s8, s43
	s_mul_hi_u32 s6, s8, s42
	s_mul_i32 s0, s8, s42
	s_add_i32 s1, s6, s1
	s_lshl_b64 s[0:1], s[0:1], 4
	s_add_u32 s6, s36, s0
	s_addc_u32 s7, s37, s1
	s_lshl_b64 s[0:1], s[38:39], 4
	s_add_u32 s6, s6, s0
	s_addc_u32 s7, s7, s1
	v_mad_u64_u32 v[2:3], s[0:1], v0, s40, 0
	v_mov_b32_e32 v6, v3
	v_mad_u64_u32 v[0:1], s[0:1], v0, s41, v[6:7]
	v_mov_b32_e32 v3, v0
	v_lshlrev_b64 v[0:1], 4, v[2:3]
	v_mov_b32_e32 v2, s7
	v_add_co_u32_e32 v0, vcc, s6, v0
	v_addc_co_u32_e32 v1, vcc, v2, v1, vcc
	v_add_co_u32_e32 v6, vcc, v0, v9
	v_addc_co_u32_e32 v7, vcc, 0, v1, vcc
	global_load_dwordx4 v[10:13], v[6:7], off
	v_cmp_lt_u64_e64 s[0:1], s[12:13], 2
	s_and_b64 vcc, exec, s[0:1]
	s_waitcnt vmcnt(0)
	v_mul_f64 v[0:1], s[18:19], v[12:13]
	v_mul_f64 v[2:3], s[16:17], v[12:13]
	v_fma_f64 v[0:1], s[16:17], v[10:11], -v[0:1]
	v_fmac_f64_e32 v[2:3], s[18:19], v[10:11]
	s_cbranch_vccnz .LBB252_17
; %bb.10:
	s_load_dword s0, s[4:5], 0x0
	v_lshl_add_u32 v10, v8, 4, 0
	s_waitcnt lgkmcnt(0)
	s_cmpk_eq_i32 s0, 0x71
	s_cselect_b64 s[0:1], -1, 0
	s_add_u32 s4, s12, -1
	s_addc_u32 s5, s13, -1
	s_mul_hi_u32 s6, s24, s4
	s_mul_i32 s8, s24, s5
	s_mul_i32 s7, s25, s4
	s_add_i32 s6, s6, s8
	s_add_i32 s7, s6, s7
	s_mul_i32 s6, s24, s4
	s_lshl_b64 s[6:7], s[6:7], 4
	s_add_u32 s2, s2, s6
	s_addc_u32 s3, s3, s7
	v_mov_b32_e32 v11, s3
	v_add_co_u32_e32 v8, vcc, s2, v9
	s_lshl_b64 s[2:3], s[24:25], 4
	s_sub_u32 s6, 0, s2
	v_addc_co_u32_e32 v9, vcc, 0, v11, vcc
	s_subb_u32 s7, 0, s3
.LBB252_11:                             ; =>This Inner Loop Header: Depth=1
	v_cmp_eq_u64_e32 vcc, s[4:5], v[4:5]
	s_barrier
	s_and_saveexec_b64 s[2:3], vcc
	s_cbranch_execz .LBB252_13
; %bb.12:                               ;   in Loop: Header=BB252_11 Depth=1
	ds_write2_b64 v10, v[0:1], v[2:3] offset1:1
.LBB252_13:                             ;   in Loop: Header=BB252_11 Depth=1
	s_or_b64 exec, exec, s[2:3]
	v_cmp_gt_i64_e32 vcc, s[4:5], v[4:5]
	s_waitcnt lgkmcnt(0)
	s_barrier
	s_and_saveexec_b64 s[2:3], vcc
	s_cbranch_execz .LBB252_15
; %bb.14:                               ;   in Loop: Header=BB252_11 Depth=1
	flat_load_dwordx4 v[12:15], v[8:9]
	ds_read2_b64 v[16:19], v10 offset1:1
	s_waitcnt vmcnt(0) lgkmcnt(0)
	v_xor_b32_e32 v11, 0x80000000, v15
	v_cndmask_b32_e64 v15, v15, v11, s[0:1]
	v_mul_f64 v[20:21], v[12:13], v[18:19]
	v_mul_f64 v[18:19], v[14:15], v[18:19]
	v_fmac_f64_e32 v[20:21], v[14:15], v[16:17]
	v_fma_f64 v[12:13], v[12:13], v[16:17], -v[18:19]
	v_add_f64 v[0:1], v[0:1], -v[12:13]
	v_add_f64 v[2:3], v[2:3], -v[20:21]
.LBB252_15:                             ;   in Loop: Header=BB252_11 Depth=1
	s_or_b64 exec, exec, s[2:3]
	s_add_u32 s2, s4, -1
	s_addc_u32 s3, s5, -1
	s_add_u32 s4, s4, 1
	s_addc_u32 s5, s5, 0
	v_mov_b32_e32 v11, s7
	v_add_co_u32_e32 v8, vcc, s6, v8
	v_addc_co_u32_e32 v9, vcc, v9, v11, vcc
	v_cmp_lt_u64_e64 s[4:5], s[4:5], 3
	s_and_b64 vcc, exec, s[4:5]
	s_cbranch_vccnz .LBB252_17
; %bb.16:                               ;   in Loop: Header=BB252_11 Depth=1
	s_mov_b64 s[4:5], s[2:3]
	s_branch .LBB252_11
.LBB252_17:
	global_store_dwordx4 v[6:7], v[0:3], off
.LBB252_18:
	s_endpgm
	.section	.rodata,"a",@progbits
	.p2align	6, 0x0
	.amdhsa_kernel _ZL40rocblas_trsm_block_backward_substitutionI19rocblas_complex_numIdES1_PKS1_PS1_Lb1ELb1ELb1EEv18rocblas_operation_llT0_T1_lllT2_lllib
		.amdhsa_group_segment_fixed_size 0
		.amdhsa_private_segment_fixed_size 0
		.amdhsa_kernarg_size 368
		.amdhsa_user_sgpr_count 6
		.amdhsa_user_sgpr_private_segment_buffer 1
		.amdhsa_user_sgpr_dispatch_ptr 0
		.amdhsa_user_sgpr_queue_ptr 0
		.amdhsa_user_sgpr_kernarg_segment_ptr 1
		.amdhsa_user_sgpr_dispatch_id 0
		.amdhsa_user_sgpr_flat_scratch_init 0
		.amdhsa_user_sgpr_kernarg_preload_length 0
		.amdhsa_user_sgpr_kernarg_preload_offset 0
		.amdhsa_user_sgpr_private_segment_size 0
		.amdhsa_uses_dynamic_stack 0
		.amdhsa_system_sgpr_private_segment_wavefront_offset 0
		.amdhsa_system_sgpr_workgroup_id_x 1
		.amdhsa_system_sgpr_workgroup_id_y 1
		.amdhsa_system_sgpr_workgroup_id_z 1
		.amdhsa_system_sgpr_workgroup_info 0
		.amdhsa_system_vgpr_workitem_id 1
		.amdhsa_next_free_vgpr 22
		.amdhsa_next_free_sgpr 44
		.amdhsa_accum_offset 24
		.amdhsa_reserve_vcc 1
		.amdhsa_reserve_flat_scratch 0
		.amdhsa_float_round_mode_32 0
		.amdhsa_float_round_mode_16_64 0
		.amdhsa_float_denorm_mode_32 3
		.amdhsa_float_denorm_mode_16_64 3
		.amdhsa_dx10_clamp 1
		.amdhsa_ieee_mode 1
		.amdhsa_fp16_overflow 0
		.amdhsa_tg_split 0
		.amdhsa_exception_fp_ieee_invalid_op 0
		.amdhsa_exception_fp_denorm_src 0
		.amdhsa_exception_fp_ieee_div_zero 0
		.amdhsa_exception_fp_ieee_overflow 0
		.amdhsa_exception_fp_ieee_underflow 0
		.amdhsa_exception_fp_ieee_inexact 0
		.amdhsa_exception_int_div_zero 0
	.end_amdhsa_kernel
	.section	.text._ZL40rocblas_trsm_block_backward_substitutionI19rocblas_complex_numIdES1_PKS1_PS1_Lb1ELb1ELb1EEv18rocblas_operation_llT0_T1_lllT2_lllib,"axG",@progbits,_ZL40rocblas_trsm_block_backward_substitutionI19rocblas_complex_numIdES1_PKS1_PS1_Lb1ELb1ELb1EEv18rocblas_operation_llT0_T1_lllT2_lllib,comdat
.Lfunc_end252:
	.size	_ZL40rocblas_trsm_block_backward_substitutionI19rocblas_complex_numIdES1_PKS1_PS1_Lb1ELb1ELb1EEv18rocblas_operation_llT0_T1_lllT2_lllib, .Lfunc_end252-_ZL40rocblas_trsm_block_backward_substitutionI19rocblas_complex_numIdES1_PKS1_PS1_Lb1ELb1ELb1EEv18rocblas_operation_llT0_T1_lllT2_lllib
                                        ; -- End function
	.section	.AMDGPU.csdata,"",@progbits
; Kernel info:
; codeLenInByte = 880
; NumSgprs: 48
; NumVgprs: 22
; NumAgprs: 0
; TotalNumVgprs: 22
; ScratchSize: 0
; MemoryBound: 0
; FloatMode: 240
; IeeeMode: 1
; LDSByteSize: 0 bytes/workgroup (compile time only)
; SGPRBlocks: 5
; VGPRBlocks: 2
; NumSGPRsForWavesPerEU: 48
; NumVGPRsForWavesPerEU: 22
; AccumOffset: 24
; Occupancy: 8
; WaveLimiterHint : 1
; COMPUTE_PGM_RSRC2:SCRATCH_EN: 0
; COMPUTE_PGM_RSRC2:USER_SGPR: 6
; COMPUTE_PGM_RSRC2:TRAP_HANDLER: 0
; COMPUTE_PGM_RSRC2:TGID_X_EN: 1
; COMPUTE_PGM_RSRC2:TGID_Y_EN: 1
; COMPUTE_PGM_RSRC2:TGID_Z_EN: 1
; COMPUTE_PGM_RSRC2:TIDIG_COMP_CNT: 1
; COMPUTE_PGM_RSRC3_GFX90A:ACCUM_OFFSET: 5
; COMPUTE_PGM_RSRC3_GFX90A:TG_SPLIT: 0
	.section	.text._ZL39rocblas_trsm_block_forward_substitutionI19rocblas_complex_numIdES1_PKS1_PS1_Lb1ELb0ELb0EEv18rocblas_operation_llT0_T1_lllT2_lllib,"axG",@progbits,_ZL39rocblas_trsm_block_forward_substitutionI19rocblas_complex_numIdES1_PKS1_PS1_Lb1ELb0ELb0EEv18rocblas_operation_llT0_T1_lllT2_lllib,comdat
	.globl	_ZL39rocblas_trsm_block_forward_substitutionI19rocblas_complex_numIdES1_PKS1_PS1_Lb1ELb0ELb0EEv18rocblas_operation_llT0_T1_lllT2_lllib ; -- Begin function _ZL39rocblas_trsm_block_forward_substitutionI19rocblas_complex_numIdES1_PKS1_PS1_Lb1ELb0ELb0EEv18rocblas_operation_llT0_T1_lllT2_lllib
	.p2align	8
	.type	_ZL39rocblas_trsm_block_forward_substitutionI19rocblas_complex_numIdES1_PKS1_PS1_Lb1ELb0ELb0EEv18rocblas_operation_llT0_T1_lllT2_lllib,@function
_ZL39rocblas_trsm_block_forward_substitutionI19rocblas_complex_numIdES1_PKS1_PS1_Lb1ELb0ELb0EEv18rocblas_operation_llT0_T1_lllT2_lllib: ; @_ZL39rocblas_trsm_block_forward_substitutionI19rocblas_complex_numIdES1_PKS1_PS1_Lb1ELb0ELb0EEv18rocblas_operation_llT0_T1_lllT2_lllib
; %bb.0:
	s_load_dwordx16 s[12:27], s[4:5], 0x8
	s_load_dword s0, s[4:5], 0x6c
	s_load_dword s6, s[4:5], 0x7c
	v_and_b32_e32 v8, 0x3ff, v0
	v_bfe_u32 v16, v0, 10, 10
	s_waitcnt lgkmcnt(0)
	s_bitcmp1_b32 s0, 0
	s_cselect_b64 s[0:1], -1, 0
	s_xor_b64 s[2:3], s[0:1], -1
	s_mul_i32 s0, s8, s27
	s_mul_hi_u32 s1, s8, s26
	s_add_i32 s1, s1, s0
	s_mul_i32 s0, s8, s26
	s_lshl_b64 s[0:1], s[0:1], 4
	s_add_u32 s9, s20, s0
	s_addc_u32 s21, s21, s1
	s_lshl_b64 s[0:1], s[22:23], 4
	s_add_u32 s20, s9, s0
	s_addc_u32 s21, s21, s1
	s_add_u32 s26, s4, 0x70
	s_addc_u32 s27, s5, 0
	s_lshr_b32 s6, s6, 16
	s_mov_b64 s[22:23], 1
	s_and_b64 vcc, exec, s[2:3]
	s_cbranch_vccnz .LBB253_14
; %bb.1:
	s_lshl_b32 s0, s6, 4
	s_add_i32 s28, s0, 0
	v_cmp_lt_i64_e64 s[0:1], s[12:13], 1
	s_mov_b64 s[10:11], 1
	s_and_b64 vcc, exec, s[0:1]
	s_cbranch_vccnz .LBB253_15
; %bb.2:
	v_mad_u64_u32 v[0:1], s[0:1], v8, s24, 0
	v_mov_b32_e32 v2, v1
	v_mad_u64_u32 v[2:3], s[0:1], v8, s25, v[2:3]
	v_mov_b32_e32 v1, v2
	v_mov_b32_e32 v9, 0
	v_lshlrev_b64 v[0:1], 4, v[0:1]
	v_cmp_le_u64_e32 vcc, s[12:13], v[8:9]
	v_mov_b32_e32 v2, s21
	v_add_co_u32_e64 v9, s[0:1], s20, v0
	v_lshlrev_b32_e32 v4, 4, v8
	v_addc_co_u32_e64 v18, s[0:1], v2, v1, s[0:1]
	v_add_co_u32_e64 v10, s[0:1], v9, v4
	v_addc_co_u32_e64 v11, s[0:1], 0, v18, s[0:1]
	v_add_u32_e32 v17, s28, v4
	s_xor_b64 s[0:1], vcc, -1
	s_mov_b32 s20, s6
	v_mov_b32_e32 v12, v16
	s_branch .LBB253_6
.LBB253_3:                              ;   in Loop: Header=BB253_6 Depth=1
	s_or_b64 exec, exec, s[30:31]
	s_load_dword s9, s[26:27], 0xc
	s_waitcnt lgkmcnt(0)
	s_and_b32 s9, s9, 0xffff
	v_mul_u32_u24_e32 v0, s9, v8
	v_lshl_add_u32 v0, v0, 4, v17
	ds_write2_b64 v0, v[14:15], v[6:7] offset1:1
.LBB253_4:                              ;   in Loop: Header=BB253_6 Depth=1
	s_or_b64 exec, exec, s[24:25]
.LBB253_5:                              ;   in Loop: Header=BB253_6 Depth=1
	s_or_b64 exec, exec, s[22:23]
	s_ashr_i32 s21, s20, 31
	v_pk_mov_b32 v[0:1], s[12:13], s[12:13] op_sel:[0,1]
	v_cmp_ge_i64_e32 vcc, s[20:21], v[0:1]
	v_add_u32_e32 v12, s6, v12
	s_add_i32 s20, s20, s6
	s_cbranch_vccnz .LBB253_15
.LBB253_6:                              ; =>This Inner Loop Header: Depth=1
	v_cmp_gt_i32_e32 vcc, v8, v12
	s_and_b64 s[22:23], s[0:1], vcc
	s_and_saveexec_b64 s[24:25], s[22:23]
	s_xor_b64 s[22:23], exec, s[24:25]
	s_cbranch_execz .LBB253_8
; %bb.7:                                ;   in Loop: Header=BB253_6 Depth=1
	v_ashrrev_i32_e32 v13, 31, v12
	v_lshlrev_b64 v[0:1], 4, v[12:13]
	v_add_co_u32_e32 v0, vcc, v9, v0
	v_addc_co_u32_e32 v1, vcc, v18, v1, vcc
	global_load_dwordx4 v[0:3], v[0:1], off
	s_load_dword s9, s[26:27], 0xc
	s_waitcnt lgkmcnt(0)
	s_and_b32 s9, s9, 0xffff
	v_mul_lo_u32 v4, v12, s9
	v_lshl_add_u32 v4, v4, 4, v17
	s_waitcnt vmcnt(0)
	ds_write2_b64 v4, v[0:1], v[2:3] offset1:1
.LBB253_8:                              ;   in Loop: Header=BB253_6 Depth=1
	s_andn2_saveexec_b64 s[22:23], s[22:23]
	s_cbranch_execz .LBB253_5
; %bb.9:                                ;   in Loop: Header=BB253_6 Depth=1
	v_cmp_eq_u32_e32 vcc, v8, v12
	s_and_b64 s[30:31], s[0:1], vcc
	s_and_saveexec_b64 s[24:25], s[30:31]
	s_cbranch_execz .LBB253_4
; %bb.10:                               ;   in Loop: Header=BB253_6 Depth=1
	global_load_dwordx4 v[0:3], v[10:11], off
                                        ; implicit-def: $vgpr14_vgpr15
	s_waitcnt vmcnt(0)
	v_xor_b32_e32 v5, 0x80000000, v1
	v_cmp_gt_f64_e32 vcc, 0, v[0:1]
	v_xor_b32_e32 v6, 0x80000000, v3
	v_cndmask_b32_e32 v5, v1, v5, vcc
	v_cmp_gt_f64_e32 vcc, 0, v[2:3]
	v_mov_b32_e32 v4, v0
	v_cndmask_b32_e32 v7, v3, v6, vcc
	v_mov_b32_e32 v6, v2
	v_cmp_ngt_f64_e32 vcc, v[4:5], v[6:7]
	s_and_saveexec_b64 s[30:31], vcc
	s_xor_b64 s[30:31], exec, s[30:31]
                                        ; implicit-def: $vgpr4_vgpr5_vgpr6_vgpr7
	s_cbranch_execz .LBB253_12
; %bb.11:                               ;   in Loop: Header=BB253_6 Depth=1
	v_div_scale_f64 v[4:5], s[34:35], v[2:3], v[2:3], v[0:1]
	v_rcp_f64_e32 v[6:7], v[4:5]
	v_div_scale_f64 v[14:15], vcc, v[0:1], v[2:3], v[0:1]
	v_fma_f64 v[20:21], -v[4:5], v[6:7], 1.0
	v_fmac_f64_e32 v[6:7], v[6:7], v[20:21]
	v_fma_f64 v[20:21], -v[4:5], v[6:7], 1.0
	v_fmac_f64_e32 v[6:7], v[6:7], v[20:21]
	v_mul_f64 v[20:21], v[14:15], v[6:7]
	v_fma_f64 v[4:5], -v[4:5], v[20:21], v[14:15]
	v_div_fmas_f64 v[4:5], v[4:5], v[6:7], v[20:21]
	v_div_fixup_f64 v[4:5], v[4:5], v[2:3], v[0:1]
	v_fmac_f64_e32 v[2:3], v[0:1], v[4:5]
	v_div_scale_f64 v[0:1], s[34:35], v[2:3], v[2:3], 1.0
	v_rcp_f64_e32 v[6:7], v[0:1]
	v_fma_f64 v[14:15], -v[0:1], v[6:7], 1.0
	v_fmac_f64_e32 v[6:7], v[6:7], v[14:15]
	v_fma_f64 v[14:15], -v[0:1], v[6:7], 1.0
	v_fmac_f64_e32 v[6:7], v[6:7], v[14:15]
	v_div_scale_f64 v[14:15], vcc, 1.0, v[2:3], 1.0
	v_mul_f64 v[20:21], v[14:15], v[6:7]
	v_fma_f64 v[0:1], -v[0:1], v[20:21], v[14:15]
	s_nop 1
	v_div_fmas_f64 v[0:1], v[0:1], v[6:7], v[20:21]
	v_div_fixup_f64 v[6:7], v[0:1], v[2:3], 1.0
	v_mul_f64 v[14:15], v[4:5], v[6:7]
	v_xor_b32_e32 v7, 0x80000000, v7
                                        ; implicit-def: $vgpr0_vgpr1
.LBB253_12:                             ;   in Loop: Header=BB253_6 Depth=1
	s_andn2_saveexec_b64 s[30:31], s[30:31]
	s_cbranch_execz .LBB253_3
; %bb.13:                               ;   in Loop: Header=BB253_6 Depth=1
	v_div_scale_f64 v[4:5], s[34:35], v[0:1], v[0:1], v[2:3]
	v_rcp_f64_e32 v[6:7], v[4:5]
	v_div_scale_f64 v[14:15], vcc, v[2:3], v[0:1], v[2:3]
	v_fma_f64 v[20:21], -v[4:5], v[6:7], 1.0
	v_fmac_f64_e32 v[6:7], v[6:7], v[20:21]
	v_fma_f64 v[20:21], -v[4:5], v[6:7], 1.0
	v_fmac_f64_e32 v[6:7], v[6:7], v[20:21]
	v_mul_f64 v[20:21], v[14:15], v[6:7]
	v_fma_f64 v[4:5], -v[4:5], v[20:21], v[14:15]
	v_div_fmas_f64 v[4:5], v[4:5], v[6:7], v[20:21]
	v_div_fixup_f64 v[4:5], v[4:5], v[0:1], v[2:3]
	v_fmac_f64_e32 v[0:1], v[2:3], v[4:5]
	v_div_scale_f64 v[2:3], s[34:35], v[0:1], v[0:1], 1.0
	v_rcp_f64_e32 v[6:7], v[2:3]
	v_fma_f64 v[14:15], -v[2:3], v[6:7], 1.0
	v_fmac_f64_e32 v[6:7], v[6:7], v[14:15]
	v_fma_f64 v[14:15], -v[2:3], v[6:7], 1.0
	v_fmac_f64_e32 v[6:7], v[6:7], v[14:15]
	v_div_scale_f64 v[14:15], vcc, 1.0, v[0:1], 1.0
	v_mul_f64 v[20:21], v[14:15], v[6:7]
	v_fma_f64 v[2:3], -v[2:3], v[20:21], v[14:15]
	s_nop 1
	v_div_fmas_f64 v[2:3], v[2:3], v[6:7], v[20:21]
	v_div_fixup_f64 v[14:15], v[2:3], v[0:1], 1.0
	v_mul_f64 v[6:7], v[4:5], -v[14:15]
	s_branch .LBB253_3
.LBB253_14:
	s_mov_b32 s10, s24
	s_mov_b32 s11, s25
	s_branch .LBB253_16
.LBB253_15:
	s_load_dword s9, s[26:27], 0xc
	s_mov_b64 s[0:1], src_shared_base
	s_mov_b32 s29, s1
	s_mov_b32 s23, 0
	s_mov_b64 s[20:21], s[28:29]
	s_waitcnt lgkmcnt(0)
	s_and_b32 s22, s9, 0xffff
.LBB253_16:
	s_mul_i32 s7, s7, s6
	v_add_u32_e32 v0, s7, v16
	v_mov_b32_e32 v1, 0
	v_cmp_gt_i64_e32 vcc, s[14:15], v[0:1]
	s_and_saveexec_b64 s[0:1], vcc
	s_cbranch_execz .LBB253_40
; %bb.17:
	v_mov_b32_e32 v9, v1
	v_cmp_gt_i64_e32 vcc, s[12:13], v[8:9]
	s_and_b64 exec, exec, vcc
	s_cbranch_execz .LBB253_40
; %bb.18:
	s_load_dwordx8 s[24:31], s[4:5], 0x48
	s_waitcnt lgkmcnt(0)
	s_mul_i32 s1, s8, s31
	s_mul_hi_u32 s6, s8, s30
	s_mul_i32 s0, s8, s30
	s_add_i32 s1, s6, s1
	s_lshl_b64 s[0:1], s[0:1], 4
	s_add_u32 s6, s24, s0
	s_addc_u32 s7, s25, s1
	s_lshl_b64 s[0:1], s[26:27], 4
	s_add_u32 s6, s6, s0
	s_addc_u32 s7, s7, s1
	v_mad_u64_u32 v[2:3], s[0:1], v0, s28, 0
	v_mov_b32_e32 v4, v3
	v_mad_u64_u32 v[0:1], s[0:1], v0, s29, v[4:5]
	v_mov_b32_e32 v3, v0
	v_lshlrev_b64 v[0:1], 4, v[2:3]
	v_mov_b32_e32 v2, s7
	v_add_co_u32_e32 v0, vcc, s6, v0
	v_addc_co_u32_e32 v1, vcc, v2, v1, vcc
	v_lshlrev_b32_e32 v2, 4, v8
	v_add_co_u32_e32 v10, vcc, v0, v2
	v_addc_co_u32_e32 v11, vcc, 0, v1, vcc
	global_load_dwordx4 v[4:7], v[10:11], off
	v_cmp_lt_u64_e64 s[0:1], s[12:13], 2
	s_add_u32 s6, s12, -1
	s_addc_u32 s7, s13, -1
	s_and_b64 vcc, exec, s[0:1]
	s_waitcnt vmcnt(0)
	v_mul_f64 v[0:1], s[18:19], v[6:7]
	v_mul_f64 v[2:3], s[16:17], v[6:7]
	v_fma_f64 v[0:1], s[16:17], v[4:5], -v[0:1]
	v_fmac_f64_e32 v[2:3], s[18:19], v[4:5]
	s_cbranch_vccnz .LBB253_31
; %bb.19:
	s_load_dword s0, s[4:5], 0x0
	v_mov_b32_e32 v15, s21
	s_mov_b32 s14, 0
	v_lshl_add_u32 v16, v16, 4, 0
	s_waitcnt lgkmcnt(0)
	s_cmpk_eq_i32 s0, 0x71
	s_cselect_b64 s[0:1], -1, 0
	s_add_u32 s4, s22, s10
	v_mad_u64_u32 v[4:5], s[4:5], s4, v8, 0
	s_addc_u32 s8, s23, s11
	v_mov_b32_e32 v6, v5
	v_mad_u64_u32 v[6:7], s[4:5], s8, v8, v[6:7]
	v_mov_b32_e32 v5, v6
	v_lshlrev_b64 v[4:5], 4, v[4:5]
	v_add_co_u32_e32 v12, vcc, s20, v4
	v_addc_co_u32_e32 v13, vcc, v15, v5, vcc
	v_mad_u64_u32 v[4:5], s[4:5], s10, v8, 0
	v_mov_b32_e32 v6, v5
	v_mad_u64_u32 v[6:7], s[4:5], s11, v8, v[6:7]
	v_mov_b32_e32 v5, v6
	v_lshlrev_b64 v[4:5], 4, v[4:5]
	v_add_co_u32_e32 v14, vcc, s20, v4
	v_addc_co_u32_e32 v15, vcc, v15, v5, vcc
	s_lshl_b32 s15, s22, 4
	s_mov_b64 s[4:5], 0
	s_branch .LBB253_21
.LBB253_20:                             ;   in Loop: Header=BB253_21 Depth=1
	s_or_b64 exec, exec, s[8:9]
	s_add_u32 s4, s4, 1
	s_addc_u32 s5, s5, 0
	v_mov_b32_e32 v4, s14
	v_add_co_u32_e32 v14, vcc, s15, v14
	s_cmp_eq_u64 s[6:7], s[4:5]
	v_addc_co_u32_e32 v15, vcc, v15, v4, vcc
	s_cbranch_scc1 .LBB253_31
.LBB253_21:                             ; =>This Inner Loop Header: Depth=1
	v_cmp_eq_u64_e32 vcc, s[4:5], v[8:9]
	s_barrier
	s_and_saveexec_b64 s[8:9], vcc
	s_cbranch_execz .LBB253_29
; %bb.22:                               ;   in Loop: Header=BB253_21 Depth=1
	flat_load_dwordx4 v[4:7], v[12:13]
	s_andn2_b64 vcc, exec, s[2:3]
	s_cbranch_vccnz .LBB253_28
; %bb.23:                               ;   in Loop: Header=BB253_21 Depth=1
	s_waitcnt vmcnt(0) lgkmcnt(0)
	v_xor_b32_e32 v17, 0x80000000, v5
	v_cmp_gt_f64_e32 vcc, 0, v[4:5]
	v_cndmask_b32_e32 v19, v5, v17, vcc
	v_cndmask_b32_e32 v18, v4, v4, vcc
	v_xor_b32_e32 v17, 0x80000000, v7
	v_cmp_gt_f64_e32 vcc, 0, v[6:7]
	v_cndmask_b32_e32 v21, v7, v17, vcc
	v_cndmask_b32_e32 v20, v6, v6, vcc
	v_cmp_ngt_f64_e32 vcc, v[18:19], v[20:21]
	s_and_saveexec_b64 s[12:13], vcc
	s_xor_b64 s[12:13], exec, s[12:13]
	s_cbranch_execz .LBB253_25
; %bb.24:                               ;   in Loop: Header=BB253_21 Depth=1
	v_div_scale_f64 v[18:19], s[16:17], v[6:7], v[6:7], v[4:5]
	v_rcp_f64_e32 v[20:21], v[18:19]
	v_div_scale_f64 v[22:23], vcc, v[4:5], v[6:7], v[4:5]
	v_fma_f64 v[24:25], -v[18:19], v[20:21], 1.0
	v_fmac_f64_e32 v[20:21], v[20:21], v[24:25]
	v_fma_f64 v[24:25], -v[18:19], v[20:21], 1.0
	v_fmac_f64_e32 v[20:21], v[20:21], v[24:25]
	v_mul_f64 v[24:25], v[22:23], v[20:21]
	v_fma_f64 v[18:19], -v[18:19], v[24:25], v[22:23]
	v_div_fmas_f64 v[18:19], v[18:19], v[20:21], v[24:25]
	v_div_fixup_f64 v[18:19], v[18:19], v[6:7], v[4:5]
	v_fmac_f64_e32 v[6:7], v[4:5], v[18:19]
	v_div_scale_f64 v[4:5], s[16:17], v[6:7], v[6:7], 1.0
	v_rcp_f64_e32 v[20:21], v[4:5]
	v_fma_f64 v[22:23], -v[4:5], v[20:21], 1.0
	v_fmac_f64_e32 v[20:21], v[20:21], v[22:23]
	v_fma_f64 v[22:23], -v[4:5], v[20:21], 1.0
	v_fmac_f64_e32 v[20:21], v[20:21], v[22:23]
	v_div_scale_f64 v[22:23], vcc, 1.0, v[6:7], 1.0
	v_mul_f64 v[24:25], v[22:23], v[20:21]
	v_fma_f64 v[4:5], -v[4:5], v[24:25], v[22:23]
	s_nop 1
	v_div_fmas_f64 v[4:5], v[4:5], v[20:21], v[24:25]
	v_div_fixup_f64 v[6:7], v[4:5], v[6:7], 1.0
	v_mul_f64 v[4:5], v[18:19], v[6:7]
	v_xor_b32_e32 v7, 0x80000000, v7
.LBB253_25:                             ;   in Loop: Header=BB253_21 Depth=1
	s_andn2_saveexec_b64 s[12:13], s[12:13]
	s_cbranch_execz .LBB253_27
; %bb.26:                               ;   in Loop: Header=BB253_21 Depth=1
	v_div_scale_f64 v[18:19], s[16:17], v[4:5], v[4:5], v[6:7]
	v_rcp_f64_e32 v[20:21], v[18:19]
	v_div_scale_f64 v[22:23], vcc, v[6:7], v[4:5], v[6:7]
	v_fma_f64 v[24:25], -v[18:19], v[20:21], 1.0
	v_fmac_f64_e32 v[20:21], v[20:21], v[24:25]
	v_fma_f64 v[24:25], -v[18:19], v[20:21], 1.0
	v_fmac_f64_e32 v[20:21], v[20:21], v[24:25]
	v_mul_f64 v[24:25], v[22:23], v[20:21]
	v_fma_f64 v[18:19], -v[18:19], v[24:25], v[22:23]
	v_div_fmas_f64 v[18:19], v[18:19], v[20:21], v[24:25]
	v_div_fixup_f64 v[18:19], v[18:19], v[4:5], v[6:7]
	v_fmac_f64_e32 v[4:5], v[6:7], v[18:19]
	v_div_scale_f64 v[6:7], s[16:17], v[4:5], v[4:5], 1.0
	v_rcp_f64_e32 v[20:21], v[6:7]
	v_fma_f64 v[22:23], -v[6:7], v[20:21], 1.0
	v_fmac_f64_e32 v[20:21], v[20:21], v[22:23]
	v_fma_f64 v[22:23], -v[6:7], v[20:21], 1.0
	v_fmac_f64_e32 v[20:21], v[20:21], v[22:23]
	v_div_scale_f64 v[22:23], vcc, 1.0, v[4:5], 1.0
	v_mul_f64 v[24:25], v[22:23], v[20:21]
	v_fma_f64 v[6:7], -v[6:7], v[24:25], v[22:23]
	s_nop 1
	v_div_fmas_f64 v[6:7], v[6:7], v[20:21], v[24:25]
	v_div_fixup_f64 v[4:5], v[6:7], v[4:5], 1.0
	v_mul_f64 v[6:7], v[18:19], -v[4:5]
.LBB253_27:                             ;   in Loop: Header=BB253_21 Depth=1
	s_or_b64 exec, exec, s[12:13]
.LBB253_28:                             ;   in Loop: Header=BB253_21 Depth=1
	s_waitcnt vmcnt(0) lgkmcnt(0)
	v_mul_f64 v[18:19], v[2:3], v[6:7]
	v_fma_f64 v[18:19], v[0:1], v[4:5], -v[18:19]
	v_mul_f64 v[0:1], v[0:1], v[6:7]
	v_fmac_f64_e32 v[0:1], v[2:3], v[4:5]
	ds_write2_b64 v16, v[18:19], v[0:1] offset1:1
	v_pk_mov_b32 v[2:3], v[0:1], v[0:1] op_sel:[0,1]
	v_pk_mov_b32 v[0:1], v[18:19], v[18:19] op_sel:[0,1]
.LBB253_29:                             ;   in Loop: Header=BB253_21 Depth=1
	s_or_b64 exec, exec, s[8:9]
	v_cmp_lt_u64_e32 vcc, s[4:5], v[8:9]
	s_waitcnt lgkmcnt(0)
	s_barrier
	s_and_saveexec_b64 s[8:9], vcc
	s_cbranch_execz .LBB253_20
; %bb.30:                               ;   in Loop: Header=BB253_21 Depth=1
	flat_load_dwordx4 v[4:7], v[14:15]
	ds_read2_b64 v[18:21], v16 offset1:1
	s_waitcnt vmcnt(0) lgkmcnt(0)
	v_xor_b32_e32 v17, 0x80000000, v7
	v_cndmask_b32_e64 v7, v7, v17, s[0:1]
	v_mul_f64 v[22:23], v[4:5], v[20:21]
	v_mul_f64 v[20:21], v[6:7], v[20:21]
	v_fmac_f64_e32 v[22:23], v[6:7], v[18:19]
	v_fma_f64 v[4:5], v[4:5], v[18:19], -v[20:21]
	v_add_f64 v[0:1], v[0:1], -v[4:5]
	v_add_f64 v[2:3], v[2:3], -v[22:23]
	s_branch .LBB253_20
.LBB253_31:
	v_cmp_eq_u64_e32 vcc, s[6:7], v[8:9]
	s_and_saveexec_b64 s[0:1], vcc
	s_cbranch_execz .LBB253_39
; %bb.32:
	s_add_u32 s4, s22, s10
	v_mad_u64_u32 v[4:5], s[4:5], s4, v8, 0
	s_addc_u32 s6, s23, s11
	v_mov_b32_e32 v6, v5
	v_mad_u64_u32 v[6:7], s[4:5], s6, v8, v[6:7]
	v_mov_b32_e32 v5, v6
	v_lshlrev_b64 v[4:5], 4, v[4:5]
	v_mov_b32_e32 v6, s21
	v_add_co_u32_e32 v4, vcc, s20, v4
	v_addc_co_u32_e32 v5, vcc, v6, v5, vcc
	flat_load_dwordx4 v[4:7], v[4:5]
	s_andn2_b64 vcc, exec, s[2:3]
	s_cbranch_vccnz .LBB253_38
; %bb.33:
	s_waitcnt vmcnt(0) lgkmcnt(0)
	v_xor_b32_e32 v8, 0x80000000, v5
	v_cmp_gt_f64_e32 vcc, 0, v[4:5]
	v_cndmask_b32_e32 v9, v5, v8, vcc
	v_cndmask_b32_e32 v8, v4, v4, vcc
	v_xor_b32_e32 v12, 0x80000000, v7
	v_cmp_gt_f64_e32 vcc, 0, v[6:7]
	v_cndmask_b32_e32 v13, v7, v12, vcc
	v_cndmask_b32_e32 v12, v6, v6, vcc
	v_cmp_ngt_f64_e32 vcc, v[8:9], v[12:13]
	s_and_saveexec_b64 s[2:3], vcc
	s_xor_b64 s[2:3], exec, s[2:3]
	s_cbranch_execz .LBB253_35
; %bb.34:
	v_div_scale_f64 v[8:9], s[4:5], v[6:7], v[6:7], v[4:5]
	v_rcp_f64_e32 v[12:13], v[8:9]
	v_div_scale_f64 v[14:15], vcc, v[4:5], v[6:7], v[4:5]
	v_fma_f64 v[16:17], -v[8:9], v[12:13], 1.0
	v_fmac_f64_e32 v[12:13], v[12:13], v[16:17]
	v_fma_f64 v[16:17], -v[8:9], v[12:13], 1.0
	v_fmac_f64_e32 v[12:13], v[12:13], v[16:17]
	v_mul_f64 v[16:17], v[14:15], v[12:13]
	v_fma_f64 v[8:9], -v[8:9], v[16:17], v[14:15]
	v_div_fmas_f64 v[8:9], v[8:9], v[12:13], v[16:17]
	v_div_fixup_f64 v[8:9], v[8:9], v[6:7], v[4:5]
	v_fmac_f64_e32 v[6:7], v[4:5], v[8:9]
	v_div_scale_f64 v[4:5], s[4:5], v[6:7], v[6:7], 1.0
	v_rcp_f64_e32 v[12:13], v[4:5]
	v_fma_f64 v[14:15], -v[4:5], v[12:13], 1.0
	v_fmac_f64_e32 v[12:13], v[12:13], v[14:15]
	v_fma_f64 v[14:15], -v[4:5], v[12:13], 1.0
	v_fmac_f64_e32 v[12:13], v[12:13], v[14:15]
	v_div_scale_f64 v[14:15], vcc, 1.0, v[6:7], 1.0
	v_mul_f64 v[16:17], v[14:15], v[12:13]
	v_fma_f64 v[4:5], -v[4:5], v[16:17], v[14:15]
	s_nop 1
	v_div_fmas_f64 v[4:5], v[4:5], v[12:13], v[16:17]
	v_div_fixup_f64 v[6:7], v[4:5], v[6:7], 1.0
	v_mul_f64 v[4:5], v[8:9], v[6:7]
	v_xor_b32_e32 v7, 0x80000000, v7
.LBB253_35:
	s_andn2_saveexec_b64 s[2:3], s[2:3]
	s_cbranch_execz .LBB253_37
; %bb.36:
	v_div_scale_f64 v[8:9], s[4:5], v[4:5], v[4:5], v[6:7]
	v_rcp_f64_e32 v[12:13], v[8:9]
	v_div_scale_f64 v[14:15], vcc, v[6:7], v[4:5], v[6:7]
	v_fma_f64 v[16:17], -v[8:9], v[12:13], 1.0
	v_fmac_f64_e32 v[12:13], v[12:13], v[16:17]
	v_fma_f64 v[16:17], -v[8:9], v[12:13], 1.0
	v_fmac_f64_e32 v[12:13], v[12:13], v[16:17]
	v_mul_f64 v[16:17], v[14:15], v[12:13]
	v_fma_f64 v[8:9], -v[8:9], v[16:17], v[14:15]
	v_div_fmas_f64 v[8:9], v[8:9], v[12:13], v[16:17]
	v_div_fixup_f64 v[8:9], v[8:9], v[4:5], v[6:7]
	v_fmac_f64_e32 v[4:5], v[6:7], v[8:9]
	v_div_scale_f64 v[6:7], s[4:5], v[4:5], v[4:5], 1.0
	v_rcp_f64_e32 v[12:13], v[6:7]
	v_fma_f64 v[14:15], -v[6:7], v[12:13], 1.0
	v_fmac_f64_e32 v[12:13], v[12:13], v[14:15]
	v_fma_f64 v[14:15], -v[6:7], v[12:13], 1.0
	v_fmac_f64_e32 v[12:13], v[12:13], v[14:15]
	v_div_scale_f64 v[14:15], vcc, 1.0, v[4:5], 1.0
	v_mul_f64 v[16:17], v[14:15], v[12:13]
	v_fma_f64 v[6:7], -v[6:7], v[16:17], v[14:15]
	s_nop 1
	v_div_fmas_f64 v[6:7], v[6:7], v[12:13], v[16:17]
	v_div_fixup_f64 v[4:5], v[6:7], v[4:5], 1.0
	v_mul_f64 v[6:7], v[8:9], -v[4:5]
.LBB253_37:
	s_or_b64 exec, exec, s[2:3]
.LBB253_38:
	s_waitcnt vmcnt(0) lgkmcnt(0)
	v_mul_f64 v[8:9], v[2:3], v[6:7]
	v_fma_f64 v[8:9], v[0:1], v[4:5], -v[8:9]
	v_mul_f64 v[2:3], v[2:3], v[4:5]
	v_fmac_f64_e32 v[2:3], v[0:1], v[6:7]
	v_pk_mov_b32 v[0:1], v[8:9], v[8:9] op_sel:[0,1]
.LBB253_39:
	s_or_b64 exec, exec, s[0:1]
	global_store_dwordx4 v[10:11], v[0:3], off
.LBB253_40:
	s_endpgm
	.section	.rodata,"a",@progbits
	.p2align	6, 0x0
	.amdhsa_kernel _ZL39rocblas_trsm_block_forward_substitutionI19rocblas_complex_numIdES1_PKS1_PS1_Lb1ELb0ELb0EEv18rocblas_operation_llT0_T1_lllT2_lllib
		.amdhsa_group_segment_fixed_size 0
		.amdhsa_private_segment_fixed_size 0
		.amdhsa_kernarg_size 368
		.amdhsa_user_sgpr_count 6
		.amdhsa_user_sgpr_private_segment_buffer 1
		.amdhsa_user_sgpr_dispatch_ptr 0
		.amdhsa_user_sgpr_queue_ptr 0
		.amdhsa_user_sgpr_kernarg_segment_ptr 1
		.amdhsa_user_sgpr_dispatch_id 0
		.amdhsa_user_sgpr_flat_scratch_init 0
		.amdhsa_user_sgpr_kernarg_preload_length 0
		.amdhsa_user_sgpr_kernarg_preload_offset 0
		.amdhsa_user_sgpr_private_segment_size 0
		.amdhsa_uses_dynamic_stack 0
		.amdhsa_system_sgpr_private_segment_wavefront_offset 0
		.amdhsa_system_sgpr_workgroup_id_x 1
		.amdhsa_system_sgpr_workgroup_id_y 1
		.amdhsa_system_sgpr_workgroup_id_z 1
		.amdhsa_system_sgpr_workgroup_info 0
		.amdhsa_system_vgpr_workitem_id 1
		.amdhsa_next_free_vgpr 26
		.amdhsa_next_free_sgpr 36
		.amdhsa_accum_offset 28
		.amdhsa_reserve_vcc 1
		.amdhsa_reserve_flat_scratch 0
		.amdhsa_float_round_mode_32 0
		.amdhsa_float_round_mode_16_64 0
		.amdhsa_float_denorm_mode_32 3
		.amdhsa_float_denorm_mode_16_64 3
		.amdhsa_dx10_clamp 1
		.amdhsa_ieee_mode 1
		.amdhsa_fp16_overflow 0
		.amdhsa_tg_split 0
		.amdhsa_exception_fp_ieee_invalid_op 0
		.amdhsa_exception_fp_denorm_src 0
		.amdhsa_exception_fp_ieee_div_zero 0
		.amdhsa_exception_fp_ieee_overflow 0
		.amdhsa_exception_fp_ieee_underflow 0
		.amdhsa_exception_fp_ieee_inexact 0
		.amdhsa_exception_int_div_zero 0
	.end_amdhsa_kernel
	.section	.text._ZL39rocblas_trsm_block_forward_substitutionI19rocblas_complex_numIdES1_PKS1_PS1_Lb1ELb0ELb0EEv18rocblas_operation_llT0_T1_lllT2_lllib,"axG",@progbits,_ZL39rocblas_trsm_block_forward_substitutionI19rocblas_complex_numIdES1_PKS1_PS1_Lb1ELb0ELb0EEv18rocblas_operation_llT0_T1_lllT2_lllib,comdat
.Lfunc_end253:
	.size	_ZL39rocblas_trsm_block_forward_substitutionI19rocblas_complex_numIdES1_PKS1_PS1_Lb1ELb0ELb0EEv18rocblas_operation_llT0_T1_lllT2_lllib, .Lfunc_end253-_ZL39rocblas_trsm_block_forward_substitutionI19rocblas_complex_numIdES1_PKS1_PS1_Lb1ELb0ELb0EEv18rocblas_operation_llT0_T1_lllT2_lllib
                                        ; -- End function
	.section	.AMDGPU.csdata,"",@progbits
; Kernel info:
; codeLenInByte = 2468
; NumSgprs: 40
; NumVgprs: 26
; NumAgprs: 0
; TotalNumVgprs: 26
; ScratchSize: 0
; MemoryBound: 1
; FloatMode: 240
; IeeeMode: 1
; LDSByteSize: 0 bytes/workgroup (compile time only)
; SGPRBlocks: 4
; VGPRBlocks: 3
; NumSGPRsForWavesPerEU: 40
; NumVGPRsForWavesPerEU: 26
; AccumOffset: 28
; Occupancy: 8
; WaveLimiterHint : 1
; COMPUTE_PGM_RSRC2:SCRATCH_EN: 0
; COMPUTE_PGM_RSRC2:USER_SGPR: 6
; COMPUTE_PGM_RSRC2:TRAP_HANDLER: 0
; COMPUTE_PGM_RSRC2:TGID_X_EN: 1
; COMPUTE_PGM_RSRC2:TGID_Y_EN: 1
; COMPUTE_PGM_RSRC2:TGID_Z_EN: 1
; COMPUTE_PGM_RSRC2:TIDIG_COMP_CNT: 1
; COMPUTE_PGM_RSRC3_GFX90A:ACCUM_OFFSET: 6
; COMPUTE_PGM_RSRC3_GFX90A:TG_SPLIT: 0
	.section	.text._ZL40rocblas_trsm_block_backward_substitutionI19rocblas_complex_numIdES1_PKS1_PS1_Lb1ELb0ELb0EEv18rocblas_operation_llT0_T1_lllT2_lllib,"axG",@progbits,_ZL40rocblas_trsm_block_backward_substitutionI19rocblas_complex_numIdES1_PKS1_PS1_Lb1ELb0ELb0EEv18rocblas_operation_llT0_T1_lllT2_lllib,comdat
	.globl	_ZL40rocblas_trsm_block_backward_substitutionI19rocblas_complex_numIdES1_PKS1_PS1_Lb1ELb0ELb0EEv18rocblas_operation_llT0_T1_lllT2_lllib ; -- Begin function _ZL40rocblas_trsm_block_backward_substitutionI19rocblas_complex_numIdES1_PKS1_PS1_Lb1ELb0ELb0EEv18rocblas_operation_llT0_T1_lllT2_lllib
	.p2align	8
	.type	_ZL40rocblas_trsm_block_backward_substitutionI19rocblas_complex_numIdES1_PKS1_PS1_Lb1ELb0ELb0EEv18rocblas_operation_llT0_T1_lllT2_lllib,@function
_ZL40rocblas_trsm_block_backward_substitutionI19rocblas_complex_numIdES1_PKS1_PS1_Lb1ELb0ELb0EEv18rocblas_operation_llT0_T1_lllT2_lllib: ; @_ZL40rocblas_trsm_block_backward_substitutionI19rocblas_complex_numIdES1_PKS1_PS1_Lb1ELb0ELb0EEv18rocblas_operation_llT0_T1_lllT2_lllib
; %bb.0:
	s_load_dword s0, s[4:5], 0x6c
	s_load_dwordx16 s[12:27], s[4:5], 0x8
	s_load_dword s6, s[4:5], 0x7c
	v_and_b32_e32 v8, 0x3ff, v0
	v_bfe_u32 v16, v0, 10, 10
	s_waitcnt lgkmcnt(0)
	s_bitcmp1_b32 s0, 0
	s_cselect_b64 s[0:1], -1, 0
	s_xor_b64 s[10:11], s[0:1], -1
	s_mul_i32 s0, s8, s27
	s_mul_hi_u32 s1, s8, s26
	s_add_i32 s1, s1, s0
	s_mul_i32 s0, s8, s26
	s_lshl_b64 s[0:1], s[0:1], 4
	s_add_u32 s2, s20, s0
	s_addc_u32 s3, s21, s1
	s_lshl_b64 s[0:1], s[22:23], 4
	s_add_u32 s2, s2, s0
	s_addc_u32 s3, s3, s1
	s_add_u32 s20, s4, 0x70
	s_addc_u32 s21, s5, 0
	s_lshr_b32 s6, s6, 16
	s_and_b64 vcc, exec, s[10:11]
	s_cbranch_vccnz .LBB254_16
; %bb.1:
	s_lshl_b32 s0, s6, 4
	s_add_i32 s22, s0, 0
	v_cmp_lt_i64_e64 s[0:1], s[12:13], 1
	s_and_b64 vcc, exec, s[0:1]
	s_cbranch_vccnz .LBB254_15
; %bb.2:
	v_lshlrev_b32_e32 v0, 4, v8
	v_mov_b32_e32 v9, 0
	v_cmp_le_u64_e64 s[26:27], s[12:13], v[8:9]
	v_cmp_gt_u64_e64 s[0:1], s[12:13], v[8:9]
	v_mov_b32_e32 v1, s3
	v_add_co_u32_e32 v9, vcc, s2, v0
	v_add_u32_e32 v17, s22, v0
	v_addc_co_u32_e32 v18, vcc, 0, v1, vcc
	v_mad_u64_u32 v[0:1], s[2:3], v8, s24, 0
	v_mov_b32_e32 v2, v1
	v_mad_u64_u32 v[2:3], s[2:3], v8, s25, v[2:3]
	v_mov_b32_e32 v1, v2
	v_lshlrev_b64 v[0:1], 4, v[0:1]
	v_add_co_u32_e32 v10, vcc, v9, v0
	v_addc_co_u32_e32 v11, vcc, v18, v1, vcc
	s_xor_b64 s[28:29], s[26:27], -1
	s_mov_b32 s30, s6
	v_mov_b32_e32 v12, v16
	s_branch .LBB254_5
.LBB254_3:                              ;   in Loop: Header=BB254_5 Depth=1
	s_or_b64 exec, exec, s[34:35]
	s_load_dword s9, s[20:21], 0xc
	s_waitcnt lgkmcnt(0)
	s_and_b32 s9, s9, 0xffff
	v_mul_u32_u24_e32 v0, s9, v8
	v_lshl_add_u32 v0, v0, 4, v17
	ds_write2_b64 v0, v[14:15], v[6:7] offset1:1
.LBB254_4:                              ;   in Loop: Header=BB254_5 Depth=1
	s_or_b64 exec, exec, s[2:3]
	s_ashr_i32 s31, s30, 31
	v_pk_mov_b32 v[0:1], s[12:13], s[12:13] op_sel:[0,1]
	v_cmp_ge_i64_e32 vcc, s[30:31], v[0:1]
	v_add_u32_e32 v12, s6, v12
	s_add_i32 s30, s30, s6
	s_cbranch_vccnz .LBB254_15
.LBB254_5:                              ; =>This Inner Loop Header: Depth=1
	s_mov_b64 s[36:37], s[26:27]
	s_and_saveexec_b64 s[34:35], s[0:1]
	s_cbranch_execz .LBB254_9
; %bb.6:                                ;   in Loop: Header=BB254_5 Depth=1
	v_ashrrev_i32_e32 v13, 31, v12
	v_cmp_gt_i64_e32 vcc, s[12:13], v[12:13]
	v_cmp_lt_i32_e64 s[2:3], v8, v12
	s_and_b64 s[38:39], s[2:3], vcc
	s_mov_b64 s[36:37], -1
	s_and_saveexec_b64 s[2:3], s[38:39]
	s_cbranch_execz .LBB254_8
; %bb.7:                                ;   in Loop: Header=BB254_5 Depth=1
	v_mul_lo_u32 v2, v13, s24
	v_mul_lo_u32 v3, v12, s25
	v_mad_u64_u32 v[0:1], s[36:37], v12, s24, 0
	v_add3_u32 v1, v1, v3, v2
	v_lshlrev_b64 v[0:1], 4, v[0:1]
	v_add_co_u32_e32 v0, vcc, v9, v0
	v_addc_co_u32_e32 v1, vcc, v18, v1, vcc
	global_load_dwordx4 v[0:3], v[0:1], off
	s_load_dword s9, s[20:21], 0xc
	s_xor_b64 s[36:37], exec, -1
	s_waitcnt lgkmcnt(0)
	s_and_b32 s9, s9, 0xffff
	v_mul_lo_u32 v4, v12, s9
	v_lshl_add_u32 v4, v4, 4, v17
	s_waitcnt vmcnt(0)
	ds_write2_b64 v4, v[0:1], v[2:3] offset1:1
.LBB254_8:                              ;   in Loop: Header=BB254_5 Depth=1
	s_or_b64 exec, exec, s[2:3]
	s_andn2_b64 s[2:3], s[26:27], exec
	s_and_b64 s[36:37], s[36:37], exec
	s_or_b64 s[36:37], s[2:3], s[36:37]
.LBB254_9:                              ;   in Loop: Header=BB254_5 Depth=1
	s_or_b64 exec, exec, s[34:35]
	s_and_saveexec_b64 s[2:3], s[36:37]
	s_cbranch_execz .LBB254_4
; %bb.10:                               ;   in Loop: Header=BB254_5 Depth=1
	v_cmp_eq_u32_e32 vcc, v8, v12
	s_and_b64 s[34:35], s[28:29], vcc
	s_and_b64 exec, exec, s[34:35]
	s_cbranch_execz .LBB254_4
; %bb.11:                               ;   in Loop: Header=BB254_5 Depth=1
	global_load_dwordx4 v[0:3], v[10:11], off
                                        ; implicit-def: $vgpr14_vgpr15
	s_waitcnt vmcnt(0)
	v_xor_b32_e32 v5, 0x80000000, v1
	v_cmp_gt_f64_e32 vcc, 0, v[0:1]
	v_xor_b32_e32 v6, 0x80000000, v3
	v_cndmask_b32_e32 v5, v1, v5, vcc
	v_cmp_gt_f64_e32 vcc, 0, v[2:3]
	v_mov_b32_e32 v4, v0
	v_cndmask_b32_e32 v7, v3, v6, vcc
	v_mov_b32_e32 v6, v2
	v_cmp_ngt_f64_e32 vcc, v[4:5], v[6:7]
	s_and_saveexec_b64 s[34:35], vcc
	s_xor_b64 s[34:35], exec, s[34:35]
                                        ; implicit-def: $vgpr4_vgpr5_vgpr6_vgpr7
	s_cbranch_execz .LBB254_13
; %bb.12:                               ;   in Loop: Header=BB254_5 Depth=1
	v_div_scale_f64 v[4:5], s[36:37], v[2:3], v[2:3], v[0:1]
	v_rcp_f64_e32 v[6:7], v[4:5]
	v_div_scale_f64 v[14:15], vcc, v[0:1], v[2:3], v[0:1]
	v_fma_f64 v[20:21], -v[4:5], v[6:7], 1.0
	v_fmac_f64_e32 v[6:7], v[6:7], v[20:21]
	v_fma_f64 v[20:21], -v[4:5], v[6:7], 1.0
	v_fmac_f64_e32 v[6:7], v[6:7], v[20:21]
	v_mul_f64 v[20:21], v[14:15], v[6:7]
	v_fma_f64 v[4:5], -v[4:5], v[20:21], v[14:15]
	v_div_fmas_f64 v[4:5], v[4:5], v[6:7], v[20:21]
	v_div_fixup_f64 v[4:5], v[4:5], v[2:3], v[0:1]
	v_fmac_f64_e32 v[2:3], v[0:1], v[4:5]
	v_div_scale_f64 v[0:1], s[36:37], v[2:3], v[2:3], 1.0
	v_rcp_f64_e32 v[6:7], v[0:1]
	v_fma_f64 v[14:15], -v[0:1], v[6:7], 1.0
	v_fmac_f64_e32 v[6:7], v[6:7], v[14:15]
	v_fma_f64 v[14:15], -v[0:1], v[6:7], 1.0
	v_fmac_f64_e32 v[6:7], v[6:7], v[14:15]
	v_div_scale_f64 v[14:15], vcc, 1.0, v[2:3], 1.0
	v_mul_f64 v[20:21], v[14:15], v[6:7]
	v_fma_f64 v[0:1], -v[0:1], v[20:21], v[14:15]
	s_nop 1
	v_div_fmas_f64 v[0:1], v[0:1], v[6:7], v[20:21]
	v_div_fixup_f64 v[6:7], v[0:1], v[2:3], 1.0
	v_mul_f64 v[14:15], v[4:5], v[6:7]
	v_xor_b32_e32 v7, 0x80000000, v7
                                        ; implicit-def: $vgpr0_vgpr1
.LBB254_13:                             ;   in Loop: Header=BB254_5 Depth=1
	s_andn2_saveexec_b64 s[34:35], s[34:35]
	s_cbranch_execz .LBB254_3
; %bb.14:                               ;   in Loop: Header=BB254_5 Depth=1
	v_div_scale_f64 v[4:5], s[36:37], v[0:1], v[0:1], v[2:3]
	v_rcp_f64_e32 v[6:7], v[4:5]
	v_div_scale_f64 v[14:15], vcc, v[2:3], v[0:1], v[2:3]
	v_fma_f64 v[20:21], -v[4:5], v[6:7], 1.0
	v_fmac_f64_e32 v[6:7], v[6:7], v[20:21]
	v_fma_f64 v[20:21], -v[4:5], v[6:7], 1.0
	v_fmac_f64_e32 v[6:7], v[6:7], v[20:21]
	v_mul_f64 v[20:21], v[14:15], v[6:7]
	v_fma_f64 v[4:5], -v[4:5], v[20:21], v[14:15]
	v_div_fmas_f64 v[4:5], v[4:5], v[6:7], v[20:21]
	v_div_fixup_f64 v[4:5], v[4:5], v[0:1], v[2:3]
	v_fmac_f64_e32 v[0:1], v[2:3], v[4:5]
	v_div_scale_f64 v[2:3], s[36:37], v[0:1], v[0:1], 1.0
	v_rcp_f64_e32 v[6:7], v[2:3]
	v_fma_f64 v[14:15], -v[2:3], v[6:7], 1.0
	v_fmac_f64_e32 v[6:7], v[6:7], v[14:15]
	v_fma_f64 v[14:15], -v[2:3], v[6:7], 1.0
	v_fmac_f64_e32 v[6:7], v[6:7], v[14:15]
	v_div_scale_f64 v[14:15], vcc, 1.0, v[0:1], 1.0
	v_mul_f64 v[20:21], v[14:15], v[6:7]
	v_fma_f64 v[2:3], -v[2:3], v[20:21], v[14:15]
	s_nop 1
	v_div_fmas_f64 v[2:3], v[2:3], v[6:7], v[20:21]
	v_div_fixup_f64 v[14:15], v[2:3], v[0:1], 1.0
	v_mul_f64 v[6:7], v[4:5], -v[14:15]
	s_branch .LBB254_3
.LBB254_15:
	s_load_dword s2, s[20:21], 0xc
	s_mov_b64 s[0:1], src_shared_base
	s_mov_b32 s23, s1
	s_mov_b32 s25, 0
	s_waitcnt lgkmcnt(0)
	s_and_b32 s24, s2, 0xffff
	s_mov_b64 s[2:3], s[22:23]
.LBB254_16:
	s_mul_i32 s7, s7, s6
	v_add_u32_e32 v0, s7, v16
	v_mov_b32_e32 v1, 0
	v_cmp_gt_i64_e32 vcc, s[14:15], v[0:1]
	s_and_saveexec_b64 s[0:1], vcc
	s_cbranch_execz .LBB254_41
; %bb.17:
	v_mov_b32_e32 v9, v1
	v_cmp_gt_i64_e32 vcc, s[12:13], v[8:9]
	s_and_b64 exec, exec, vcc
	s_cbranch_execz .LBB254_41
; %bb.18:
	s_load_dwordx8 s[36:43], s[4:5], 0x48
	v_lshlrev_b64 v[0:1], 4, v[0:1]
	s_waitcnt lgkmcnt(0)
	s_mul_i32 s1, s8, s43
	s_mul_hi_u32 s6, s8, s42
	s_mul_i32 s0, s8, s42
	s_add_i32 s1, s6, s1
	s_lshl_b64 s[0:1], s[0:1], 4
	s_add_u32 s6, s36, s0
	s_addc_u32 s7, s37, s1
	s_lshl_b64 s[0:1], s[38:39], 4
	s_add_u32 s6, s6, s0
	s_addc_u32 s7, s7, s1
	v_mad_u64_u32 v[2:3], s[0:1], v8, s40, 0
	v_mov_b32_e32 v4, v3
	v_mad_u64_u32 v[4:5], s[0:1], v8, s41, v[4:5]
	v_mov_b32_e32 v3, v4
	v_lshlrev_b64 v[2:3], 4, v[2:3]
	v_mov_b32_e32 v4, s7
	v_add_co_u32_e32 v2, vcc, s6, v2
	v_addc_co_u32_e32 v3, vcc, v4, v3, vcc
	v_add_co_u32_e32 v10, vcc, v2, v0
	v_addc_co_u32_e32 v11, vcc, v3, v1, vcc
	global_load_dwordx4 v[4:7], v[10:11], off
	v_cmp_lt_u64_e64 s[0:1], s[12:13], 2
	s_and_b64 vcc, exec, s[0:1]
	s_waitcnt vmcnt(0)
	v_mul_f64 v[0:1], s[18:19], v[6:7]
	v_mul_f64 v[2:3], s[16:17], v[6:7]
	v_fma_f64 v[0:1], s[16:17], v[4:5], -v[0:1]
	v_fmac_f64_e32 v[2:3], s[18:19], v[4:5]
	s_cbranch_vccnz .LBB254_32
; %bb.19:
	s_load_dword s4, s[4:5], 0x0
	v_mad_u64_u32 v[4:5], s[0:1], v8, s24, v[8:9]
	v_mov_b32_e32 v6, v5
	v_lshl_add_u32 v16, v16, 4, 0
	s_waitcnt lgkmcnt(0)
	s_cmpk_eq_i32 s4, 0x71
	v_mad_u64_u32 v[6:7], s[4:5], v8, s25, v[6:7]
	s_cselect_b64 s[0:1], -1, 0
	s_add_u32 s4, s12, -1
	s_addc_u32 s5, s13, -1
	s_mul_i32 s6, s24, s5
	s_mul_hi_u32 s7, s24, s4
	s_add_i32 s6, s7, s6
	s_mul_i32 s7, s25, s4
	v_mov_b32_e32 v5, v6
	s_add_i32 s7, s6, s7
	s_mul_i32 s6, s24, s4
	v_lshlrev_b64 v[4:5], 4, v[4:5]
	s_lshl_b64 s[6:7], s[6:7], 4
	v_mov_b32_e32 v6, s3
	v_add_co_u32_e32 v12, vcc, s2, v4
	s_add_u32 s6, s2, s6
	v_addc_co_u32_e32 v13, vcc, v6, v5, vcc
	v_lshlrev_b32_e32 v4, 4, v8
	s_addc_u32 s7, s3, s7
	v_mov_b32_e32 v5, s7
	v_add_co_u32_e32 v14, vcc, s6, v4
	s_lshl_b64 s[6:7], s[24:25], 4
	s_sub_u32 s12, 0, s6
	v_addc_co_u32_e32 v15, vcc, 0, v5, vcc
	s_subb_u32 s13, 0, s7
.LBB254_20:                             ; =>This Inner Loop Header: Depth=1
	v_cmp_eq_u64_e32 vcc, s[4:5], v[8:9]
	s_barrier
	s_and_saveexec_b64 s[6:7], vcc
	s_cbranch_execz .LBB254_28
; %bb.21:                               ;   in Loop: Header=BB254_20 Depth=1
	flat_load_dwordx4 v[4:7], v[12:13]
	s_andn2_b64 vcc, exec, s[10:11]
	s_cbranch_vccnz .LBB254_27
; %bb.22:                               ;   in Loop: Header=BB254_20 Depth=1
	s_waitcnt vmcnt(0) lgkmcnt(0)
	v_xor_b32_e32 v17, 0x80000000, v5
	v_cmp_gt_f64_e32 vcc, 0, v[4:5]
	v_cndmask_b32_e32 v19, v5, v17, vcc
	v_cndmask_b32_e32 v18, v4, v4, vcc
	v_xor_b32_e32 v17, 0x80000000, v7
	v_cmp_gt_f64_e32 vcc, 0, v[6:7]
	v_cndmask_b32_e32 v21, v7, v17, vcc
	v_cndmask_b32_e32 v20, v6, v6, vcc
	v_cmp_ngt_f64_e32 vcc, v[18:19], v[20:21]
	s_and_saveexec_b64 s[8:9], vcc
	s_xor_b64 s[8:9], exec, s[8:9]
	s_cbranch_execz .LBB254_24
; %bb.23:                               ;   in Loop: Header=BB254_20 Depth=1
	v_div_scale_f64 v[18:19], s[14:15], v[6:7], v[6:7], v[4:5]
	v_rcp_f64_e32 v[20:21], v[18:19]
	v_div_scale_f64 v[22:23], vcc, v[4:5], v[6:7], v[4:5]
	v_fma_f64 v[24:25], -v[18:19], v[20:21], 1.0
	v_fmac_f64_e32 v[20:21], v[20:21], v[24:25]
	v_fma_f64 v[24:25], -v[18:19], v[20:21], 1.0
	v_fmac_f64_e32 v[20:21], v[20:21], v[24:25]
	v_mul_f64 v[24:25], v[22:23], v[20:21]
	v_fma_f64 v[18:19], -v[18:19], v[24:25], v[22:23]
	v_div_fmas_f64 v[18:19], v[18:19], v[20:21], v[24:25]
	v_div_fixup_f64 v[18:19], v[18:19], v[6:7], v[4:5]
	v_fmac_f64_e32 v[6:7], v[4:5], v[18:19]
	v_div_scale_f64 v[4:5], s[14:15], v[6:7], v[6:7], 1.0
	v_rcp_f64_e32 v[20:21], v[4:5]
	v_fma_f64 v[22:23], -v[4:5], v[20:21], 1.0
	v_fmac_f64_e32 v[20:21], v[20:21], v[22:23]
	v_fma_f64 v[22:23], -v[4:5], v[20:21], 1.0
	v_fmac_f64_e32 v[20:21], v[20:21], v[22:23]
	v_div_scale_f64 v[22:23], vcc, 1.0, v[6:7], 1.0
	v_mul_f64 v[24:25], v[22:23], v[20:21]
	v_fma_f64 v[4:5], -v[4:5], v[24:25], v[22:23]
	s_nop 1
	v_div_fmas_f64 v[4:5], v[4:5], v[20:21], v[24:25]
	v_div_fixup_f64 v[6:7], v[4:5], v[6:7], 1.0
	v_mul_f64 v[4:5], v[18:19], v[6:7]
	v_xor_b32_e32 v7, 0x80000000, v7
.LBB254_24:                             ;   in Loop: Header=BB254_20 Depth=1
	s_andn2_saveexec_b64 s[8:9], s[8:9]
	s_cbranch_execz .LBB254_26
; %bb.25:                               ;   in Loop: Header=BB254_20 Depth=1
	v_div_scale_f64 v[18:19], s[14:15], v[4:5], v[4:5], v[6:7]
	v_rcp_f64_e32 v[20:21], v[18:19]
	v_div_scale_f64 v[22:23], vcc, v[6:7], v[4:5], v[6:7]
	v_fma_f64 v[24:25], -v[18:19], v[20:21], 1.0
	v_fmac_f64_e32 v[20:21], v[20:21], v[24:25]
	v_fma_f64 v[24:25], -v[18:19], v[20:21], 1.0
	v_fmac_f64_e32 v[20:21], v[20:21], v[24:25]
	v_mul_f64 v[24:25], v[22:23], v[20:21]
	v_fma_f64 v[18:19], -v[18:19], v[24:25], v[22:23]
	v_div_fmas_f64 v[18:19], v[18:19], v[20:21], v[24:25]
	v_div_fixup_f64 v[18:19], v[18:19], v[4:5], v[6:7]
	v_fmac_f64_e32 v[4:5], v[6:7], v[18:19]
	v_div_scale_f64 v[6:7], s[14:15], v[4:5], v[4:5], 1.0
	v_rcp_f64_e32 v[20:21], v[6:7]
	v_fma_f64 v[22:23], -v[6:7], v[20:21], 1.0
	v_fmac_f64_e32 v[20:21], v[20:21], v[22:23]
	v_fma_f64 v[22:23], -v[6:7], v[20:21], 1.0
	v_fmac_f64_e32 v[20:21], v[20:21], v[22:23]
	v_div_scale_f64 v[22:23], vcc, 1.0, v[4:5], 1.0
	v_mul_f64 v[24:25], v[22:23], v[20:21]
	v_fma_f64 v[6:7], -v[6:7], v[24:25], v[22:23]
	s_nop 1
	v_div_fmas_f64 v[6:7], v[6:7], v[20:21], v[24:25]
	v_div_fixup_f64 v[4:5], v[6:7], v[4:5], 1.0
	v_mul_f64 v[6:7], v[18:19], -v[4:5]
.LBB254_26:                             ;   in Loop: Header=BB254_20 Depth=1
	s_or_b64 exec, exec, s[8:9]
.LBB254_27:                             ;   in Loop: Header=BB254_20 Depth=1
	s_waitcnt vmcnt(0) lgkmcnt(0)
	v_mul_f64 v[18:19], v[2:3], v[6:7]
	v_fma_f64 v[18:19], v[0:1], v[4:5], -v[18:19]
	v_mul_f64 v[0:1], v[0:1], v[6:7]
	v_fmac_f64_e32 v[0:1], v[2:3], v[4:5]
	ds_write2_b64 v16, v[18:19], v[0:1] offset1:1
	v_pk_mov_b32 v[2:3], v[0:1], v[0:1] op_sel:[0,1]
	v_pk_mov_b32 v[0:1], v[18:19], v[18:19] op_sel:[0,1]
.LBB254_28:                             ;   in Loop: Header=BB254_20 Depth=1
	s_or_b64 exec, exec, s[6:7]
	v_cmp_gt_i64_e32 vcc, s[4:5], v[8:9]
	s_waitcnt lgkmcnt(0)
	s_barrier
	s_and_saveexec_b64 s[6:7], vcc
	s_cbranch_execz .LBB254_30
; %bb.29:                               ;   in Loop: Header=BB254_20 Depth=1
	flat_load_dwordx4 v[4:7], v[14:15]
	ds_read2_b64 v[18:21], v16 offset1:1
	s_waitcnt vmcnt(0) lgkmcnt(0)
	v_xor_b32_e32 v17, 0x80000000, v7
	v_cndmask_b32_e64 v7, v7, v17, s[0:1]
	v_mul_f64 v[22:23], v[4:5], v[20:21]
	v_mul_f64 v[20:21], v[6:7], v[20:21]
	v_fmac_f64_e32 v[22:23], v[6:7], v[18:19]
	v_fma_f64 v[4:5], v[4:5], v[18:19], -v[20:21]
	v_add_f64 v[0:1], v[0:1], -v[4:5]
	v_add_f64 v[2:3], v[2:3], -v[22:23]
.LBB254_30:                             ;   in Loop: Header=BB254_20 Depth=1
	s_or_b64 exec, exec, s[6:7]
	s_add_u32 s6, s4, -1
	s_addc_u32 s7, s5, -1
	s_add_u32 s4, s4, 1
	s_addc_u32 s5, s5, 0
	v_mov_b32_e32 v4, s13
	v_add_co_u32_e32 v14, vcc, s12, v14
	v_addc_co_u32_e32 v15, vcc, v15, v4, vcc
	v_cmp_lt_u64_e64 s[4:5], s[4:5], 3
	s_and_b64 vcc, exec, s[4:5]
	s_cbranch_vccnz .LBB254_32
; %bb.31:                               ;   in Loop: Header=BB254_20 Depth=1
	s_mov_b64 s[4:5], s[6:7]
	s_branch .LBB254_20
.LBB254_32:
	v_cmp_eq_u32_e32 vcc, 0, v8
	s_and_saveexec_b64 s[0:1], vcc
	s_cbranch_execz .LBB254_40
; %bb.33:
	v_mad_u64_u32 v[4:5], s[4:5], v8, s24, v[8:9]
	v_mov_b32_e32 v6, v5
	v_mad_u64_u32 v[6:7], s[4:5], v8, s25, v[6:7]
	v_mov_b32_e32 v5, v6
	v_lshlrev_b64 v[4:5], 4, v[4:5]
	v_mov_b32_e32 v6, s3
	v_add_co_u32_e32 v4, vcc, s2, v4
	v_addc_co_u32_e32 v5, vcc, v6, v5, vcc
	flat_load_dwordx4 v[4:7], v[4:5]
	s_andn2_b64 vcc, exec, s[10:11]
	s_cbranch_vccnz .LBB254_39
; %bb.34:
	s_waitcnt vmcnt(0) lgkmcnt(0)
	v_xor_b32_e32 v8, 0x80000000, v5
	v_cmp_gt_f64_e32 vcc, 0, v[4:5]
	v_cndmask_b32_e32 v9, v5, v8, vcc
	v_cndmask_b32_e32 v8, v4, v4, vcc
	v_xor_b32_e32 v12, 0x80000000, v7
	v_cmp_gt_f64_e32 vcc, 0, v[6:7]
	v_cndmask_b32_e32 v13, v7, v12, vcc
	v_cndmask_b32_e32 v12, v6, v6, vcc
	v_cmp_ngt_f64_e32 vcc, v[8:9], v[12:13]
	s_and_saveexec_b64 s[2:3], vcc
	s_xor_b64 s[2:3], exec, s[2:3]
	s_cbranch_execz .LBB254_36
; %bb.35:
	v_div_scale_f64 v[8:9], s[4:5], v[6:7], v[6:7], v[4:5]
	v_rcp_f64_e32 v[12:13], v[8:9]
	v_div_scale_f64 v[14:15], vcc, v[4:5], v[6:7], v[4:5]
	v_fma_f64 v[16:17], -v[8:9], v[12:13], 1.0
	v_fmac_f64_e32 v[12:13], v[12:13], v[16:17]
	v_fma_f64 v[16:17], -v[8:9], v[12:13], 1.0
	v_fmac_f64_e32 v[12:13], v[12:13], v[16:17]
	v_mul_f64 v[16:17], v[14:15], v[12:13]
	v_fma_f64 v[8:9], -v[8:9], v[16:17], v[14:15]
	v_div_fmas_f64 v[8:9], v[8:9], v[12:13], v[16:17]
	v_div_fixup_f64 v[8:9], v[8:9], v[6:7], v[4:5]
	v_fmac_f64_e32 v[6:7], v[4:5], v[8:9]
	v_div_scale_f64 v[4:5], s[4:5], v[6:7], v[6:7], 1.0
	v_rcp_f64_e32 v[12:13], v[4:5]
	v_fma_f64 v[14:15], -v[4:5], v[12:13], 1.0
	v_fmac_f64_e32 v[12:13], v[12:13], v[14:15]
	v_fma_f64 v[14:15], -v[4:5], v[12:13], 1.0
	v_fmac_f64_e32 v[12:13], v[12:13], v[14:15]
	v_div_scale_f64 v[14:15], vcc, 1.0, v[6:7], 1.0
	v_mul_f64 v[16:17], v[14:15], v[12:13]
	v_fma_f64 v[4:5], -v[4:5], v[16:17], v[14:15]
	s_nop 1
	v_div_fmas_f64 v[4:5], v[4:5], v[12:13], v[16:17]
	v_div_fixup_f64 v[6:7], v[4:5], v[6:7], 1.0
	v_mul_f64 v[4:5], v[8:9], v[6:7]
	v_xor_b32_e32 v7, 0x80000000, v7
.LBB254_36:
	s_andn2_saveexec_b64 s[2:3], s[2:3]
	s_cbranch_execz .LBB254_38
; %bb.37:
	v_div_scale_f64 v[8:9], s[4:5], v[4:5], v[4:5], v[6:7]
	v_rcp_f64_e32 v[12:13], v[8:9]
	v_div_scale_f64 v[14:15], vcc, v[6:7], v[4:5], v[6:7]
	v_fma_f64 v[16:17], -v[8:9], v[12:13], 1.0
	v_fmac_f64_e32 v[12:13], v[12:13], v[16:17]
	v_fma_f64 v[16:17], -v[8:9], v[12:13], 1.0
	v_fmac_f64_e32 v[12:13], v[12:13], v[16:17]
	v_mul_f64 v[16:17], v[14:15], v[12:13]
	v_fma_f64 v[8:9], -v[8:9], v[16:17], v[14:15]
	v_div_fmas_f64 v[8:9], v[8:9], v[12:13], v[16:17]
	v_div_fixup_f64 v[8:9], v[8:9], v[4:5], v[6:7]
	v_fmac_f64_e32 v[4:5], v[6:7], v[8:9]
	v_div_scale_f64 v[6:7], s[4:5], v[4:5], v[4:5], 1.0
	v_rcp_f64_e32 v[12:13], v[6:7]
	v_fma_f64 v[14:15], -v[6:7], v[12:13], 1.0
	v_fmac_f64_e32 v[12:13], v[12:13], v[14:15]
	v_fma_f64 v[14:15], -v[6:7], v[12:13], 1.0
	v_fmac_f64_e32 v[12:13], v[12:13], v[14:15]
	v_div_scale_f64 v[14:15], vcc, 1.0, v[4:5], 1.0
	v_mul_f64 v[16:17], v[14:15], v[12:13]
	v_fma_f64 v[6:7], -v[6:7], v[16:17], v[14:15]
	s_nop 1
	v_div_fmas_f64 v[6:7], v[6:7], v[12:13], v[16:17]
	v_div_fixup_f64 v[4:5], v[6:7], v[4:5], 1.0
	v_mul_f64 v[6:7], v[8:9], -v[4:5]
.LBB254_38:
	s_or_b64 exec, exec, s[2:3]
.LBB254_39:
	s_waitcnt vmcnt(0) lgkmcnt(0)
	v_mul_f64 v[8:9], v[2:3], v[6:7]
	v_fma_f64 v[8:9], v[0:1], v[4:5], -v[8:9]
	v_mul_f64 v[2:3], v[2:3], v[4:5]
	v_fmac_f64_e32 v[2:3], v[0:1], v[6:7]
	v_pk_mov_b32 v[0:1], v[8:9], v[8:9] op_sel:[0,1]
.LBB254_40:
	s_or_b64 exec, exec, s[0:1]
	global_store_dwordx4 v[10:11], v[0:3], off
.LBB254_41:
	s_endpgm
	.section	.rodata,"a",@progbits
	.p2align	6, 0x0
	.amdhsa_kernel _ZL40rocblas_trsm_block_backward_substitutionI19rocblas_complex_numIdES1_PKS1_PS1_Lb1ELb0ELb0EEv18rocblas_operation_llT0_T1_lllT2_lllib
		.amdhsa_group_segment_fixed_size 0
		.amdhsa_private_segment_fixed_size 0
		.amdhsa_kernarg_size 368
		.amdhsa_user_sgpr_count 6
		.amdhsa_user_sgpr_private_segment_buffer 1
		.amdhsa_user_sgpr_dispatch_ptr 0
		.amdhsa_user_sgpr_queue_ptr 0
		.amdhsa_user_sgpr_kernarg_segment_ptr 1
		.amdhsa_user_sgpr_dispatch_id 0
		.amdhsa_user_sgpr_flat_scratch_init 0
		.amdhsa_user_sgpr_kernarg_preload_length 0
		.amdhsa_user_sgpr_kernarg_preload_offset 0
		.amdhsa_user_sgpr_private_segment_size 0
		.amdhsa_uses_dynamic_stack 0
		.amdhsa_system_sgpr_private_segment_wavefront_offset 0
		.amdhsa_system_sgpr_workgroup_id_x 1
		.amdhsa_system_sgpr_workgroup_id_y 1
		.amdhsa_system_sgpr_workgroup_id_z 1
		.amdhsa_system_sgpr_workgroup_info 0
		.amdhsa_system_vgpr_workitem_id 1
		.amdhsa_next_free_vgpr 26
		.amdhsa_next_free_sgpr 44
		.amdhsa_accum_offset 28
		.amdhsa_reserve_vcc 1
		.amdhsa_reserve_flat_scratch 0
		.amdhsa_float_round_mode_32 0
		.amdhsa_float_round_mode_16_64 0
		.amdhsa_float_denorm_mode_32 3
		.amdhsa_float_denorm_mode_16_64 3
		.amdhsa_dx10_clamp 1
		.amdhsa_ieee_mode 1
		.amdhsa_fp16_overflow 0
		.amdhsa_tg_split 0
		.amdhsa_exception_fp_ieee_invalid_op 0
		.amdhsa_exception_fp_denorm_src 0
		.amdhsa_exception_fp_ieee_div_zero 0
		.amdhsa_exception_fp_ieee_overflow 0
		.amdhsa_exception_fp_ieee_underflow 0
		.amdhsa_exception_fp_ieee_inexact 0
		.amdhsa_exception_int_div_zero 0
	.end_amdhsa_kernel
	.section	.text._ZL40rocblas_trsm_block_backward_substitutionI19rocblas_complex_numIdES1_PKS1_PS1_Lb1ELb0ELb0EEv18rocblas_operation_llT0_T1_lllT2_lllib,"axG",@progbits,_ZL40rocblas_trsm_block_backward_substitutionI19rocblas_complex_numIdES1_PKS1_PS1_Lb1ELb0ELb0EEv18rocblas_operation_llT0_T1_lllT2_lllib,comdat
.Lfunc_end254:
	.size	_ZL40rocblas_trsm_block_backward_substitutionI19rocblas_complex_numIdES1_PKS1_PS1_Lb1ELb0ELb0EEv18rocblas_operation_llT0_T1_lllT2_lllib, .Lfunc_end254-_ZL40rocblas_trsm_block_backward_substitutionI19rocblas_complex_numIdES1_PKS1_PS1_Lb1ELb0ELb0EEv18rocblas_operation_llT0_T1_lllT2_lllib
                                        ; -- End function
	.section	.AMDGPU.csdata,"",@progbits
; Kernel info:
; codeLenInByte = 2532
; NumSgprs: 48
; NumVgprs: 26
; NumAgprs: 0
; TotalNumVgprs: 26
; ScratchSize: 0
; MemoryBound: 1
; FloatMode: 240
; IeeeMode: 1
; LDSByteSize: 0 bytes/workgroup (compile time only)
; SGPRBlocks: 5
; VGPRBlocks: 3
; NumSGPRsForWavesPerEU: 48
; NumVGPRsForWavesPerEU: 26
; AccumOffset: 28
; Occupancy: 8
; WaveLimiterHint : 1
; COMPUTE_PGM_RSRC2:SCRATCH_EN: 0
; COMPUTE_PGM_RSRC2:USER_SGPR: 6
; COMPUTE_PGM_RSRC2:TRAP_HANDLER: 0
; COMPUTE_PGM_RSRC2:TGID_X_EN: 1
; COMPUTE_PGM_RSRC2:TGID_Y_EN: 1
; COMPUTE_PGM_RSRC2:TGID_Z_EN: 1
; COMPUTE_PGM_RSRC2:TIDIG_COMP_CNT: 1
; COMPUTE_PGM_RSRC3_GFX90A:ACCUM_OFFSET: 6
; COMPUTE_PGM_RSRC3_GFX90A:TG_SPLIT: 0
	.section	.text._ZL39rocblas_trsm_block_forward_substitutionI19rocblas_complex_numIdES1_PKS1_PS1_Lb1ELb0ELb1EEv18rocblas_operation_llT0_T1_lllT2_lllib,"axG",@progbits,_ZL39rocblas_trsm_block_forward_substitutionI19rocblas_complex_numIdES1_PKS1_PS1_Lb1ELb0ELb1EEv18rocblas_operation_llT0_T1_lllT2_lllib,comdat
	.globl	_ZL39rocblas_trsm_block_forward_substitutionI19rocblas_complex_numIdES1_PKS1_PS1_Lb1ELb0ELb1EEv18rocblas_operation_llT0_T1_lllT2_lllib ; -- Begin function _ZL39rocblas_trsm_block_forward_substitutionI19rocblas_complex_numIdES1_PKS1_PS1_Lb1ELb0ELb1EEv18rocblas_operation_llT0_T1_lllT2_lllib
	.p2align	8
	.type	_ZL39rocblas_trsm_block_forward_substitutionI19rocblas_complex_numIdES1_PKS1_PS1_Lb1ELb0ELb1EEv18rocblas_operation_llT0_T1_lllT2_lllib,@function
_ZL39rocblas_trsm_block_forward_substitutionI19rocblas_complex_numIdES1_PKS1_PS1_Lb1ELb0ELb1EEv18rocblas_operation_llT0_T1_lllT2_lllib: ; @_ZL39rocblas_trsm_block_forward_substitutionI19rocblas_complex_numIdES1_PKS1_PS1_Lb1ELb0ELb1EEv18rocblas_operation_llT0_T1_lllT2_lllib
; %bb.0:
	s_load_dwordx16 s[12:27], s[4:5], 0x8
	v_and_b32_e32 v4, 0x3ff, v0
	v_bfe_u32 v8, v0, 10, 10
	s_waitcnt lgkmcnt(0)
	s_mul_i32 s0, s8, s27
	s_mul_hi_u32 s1, s8, s26
	s_add_i32 s1, s1, s0
	s_mul_i32 s0, s8, s26
	s_lshl_b64 s[0:1], s[0:1], 4
	s_add_u32 s6, s20, s0
	s_addc_u32 s9, s21, s1
	s_lshl_b64 s[0:1], s[22:23], 4
	s_add_u32 s10, s6, s0
	s_addc_u32 s11, s9, s1
	s_load_dword s0, s[4:5], 0x6c
	s_load_dword s1, s[4:5], 0x7c
	s_add_u32 s22, s4, 0x70
	s_addc_u32 s23, s5, 0
	s_mov_b64 s[20:21], 1
	s_waitcnt lgkmcnt(0)
	s_lshr_b32 s6, s1, 16
	s_bitcmp0_b32 s0, 0
	s_cbranch_scc1 .LBB255_6
; %bb.1:
	s_lshl_b32 s0, s6, 4
	s_add_i32 s26, s0, 0
	v_cmp_lt_i64_e64 s[0:1], s[12:13], 1
	s_mov_b64 s[2:3], 1
	s_and_b64 vcc, exec, s[0:1]
	s_cbranch_vccnz .LBB255_7
; %bb.2:
	v_mad_u64_u32 v[0:1], s[20:21], v4, s24, 0
	v_mov_b32_e32 v2, v1
	v_mad_u64_u32 v[2:3], s[20:21], v4, s25, v[2:3]
	v_mov_b32_e32 v1, v2
	v_mov_b32_e32 v5, 0
	v_lshlrev_b64 v[0:1], 4, v[0:1]
	v_cmp_gt_u64_e64 s[0:1], s[12:13], v[4:5]
	v_mov_b32_e32 v2, s11
	v_add_co_u32_e32 v5, vcc, s10, v0
	v_lshl_add_u32 v6, v4, 4, s26
	v_addc_co_u32_e32 v7, vcc, v2, v1, vcc
	s_mov_b32 s10, 0
	v_pk_mov_b32 v[0:1], s[12:13], s[12:13] op_sel:[0,1]
	s_branch .LBB255_4
.LBB255_3:                              ;   in Loop: Header=BB255_4 Depth=1
	s_or_b64 exec, exec, s[20:21]
	s_add_i32 s10, s10, s6
	s_ashr_i32 s11, s10, 31
	v_cmp_ge_i64_e32 vcc, s[10:11], v[0:1]
	s_cbranch_vccnz .LBB255_7
.LBB255_4:                              ; =>This Inner Loop Header: Depth=1
	v_add_u32_e32 v2, s10, v8
	v_cmp_gt_i32_e32 vcc, v4, v2
	s_and_b64 s[24:25], s[0:1], vcc
	s_and_saveexec_b64 s[20:21], s[24:25]
	s_cbranch_execz .LBB255_3
; %bb.5:                                ;   in Loop: Header=BB255_4 Depth=1
	v_ashrrev_i32_e32 v3, 31, v2
	v_lshlrev_b64 v[10:11], 4, v[2:3]
	v_add_co_u32_e32 v10, vcc, v5, v10
	v_addc_co_u32_e32 v11, vcc, v7, v11, vcc
	global_load_dwordx4 v[10:13], v[10:11], off
	s_load_dword s9, s[22:23], 0xc
	s_waitcnt lgkmcnt(0)
	s_and_b32 s9, s9, 0xffff
	v_mul_lo_u32 v2, v2, s9
	v_lshl_add_u32 v2, v2, 4, v6
	s_waitcnt vmcnt(0)
	ds_write2_b64 v2, v[10:11], v[12:13] offset1:1
	s_branch .LBB255_3
.LBB255_6:
	s_mov_b32 s2, s24
	s_mov_b32 s3, s25
	s_branch .LBB255_8
.LBB255_7:
	s_load_dword s9, s[22:23], 0xc
	s_mov_b64 s[0:1], src_shared_base
	s_mov_b32 s27, s1
	s_mov_b64 s[10:11], s[26:27]
	s_waitcnt lgkmcnt(0)
	s_and_b32 s20, s9, 0xffff
.LBB255_8:
	s_mul_i32 s7, s7, s6
	v_add_u32_e32 v0, s7, v8
	v_mov_b32_e32 v1, 0
	v_cmp_gt_i64_e32 vcc, s[14:15], v[0:1]
	s_and_saveexec_b64 s[0:1], vcc
	s_cbranch_execz .LBB255_18
; %bb.9:
	v_mov_b32_e32 v5, v1
	v_cmp_gt_i64_e32 vcc, s[12:13], v[4:5]
	s_and_b64 exec, exec, vcc
	s_cbranch_execz .LBB255_18
; %bb.10:
	s_load_dwordx8 s[24:31], s[4:5], 0x48
	s_waitcnt lgkmcnt(0)
	s_mul_i32 s1, s8, s31
	s_mul_hi_u32 s6, s8, s30
	s_mul_i32 s0, s8, s30
	s_add_i32 s1, s6, s1
	s_lshl_b64 s[0:1], s[0:1], 4
	s_add_u32 s6, s24, s0
	s_addc_u32 s7, s25, s1
	s_lshl_b64 s[0:1], s[26:27], 4
	s_add_u32 s6, s6, s0
	s_addc_u32 s7, s7, s1
	v_mad_u64_u32 v[2:3], s[0:1], v0, s28, 0
	v_mov_b32_e32 v6, v3
	v_mad_u64_u32 v[0:1], s[0:1], v0, s29, v[6:7]
	v_mov_b32_e32 v3, v0
	v_lshlrev_b64 v[0:1], 4, v[2:3]
	v_mov_b32_e32 v2, s7
	v_add_co_u32_e32 v0, vcc, s6, v0
	v_addc_co_u32_e32 v1, vcc, v2, v1, vcc
	v_lshlrev_b32_e32 v2, 4, v4
	v_add_co_u32_e32 v6, vcc, v0, v2
	v_addc_co_u32_e32 v7, vcc, 0, v1, vcc
	global_load_dwordx4 v[10:13], v[6:7], off
	v_cmp_lt_u64_e64 s[0:1], s[12:13], 2
	s_and_b64 vcc, exec, s[0:1]
	s_waitcnt vmcnt(0)
	v_mul_f64 v[0:1], s[18:19], v[12:13]
	v_mul_f64 v[2:3], s[16:17], v[12:13]
	v_fma_f64 v[0:1], s[16:17], v[10:11], -v[0:1]
	v_fmac_f64_e32 v[2:3], s[18:19], v[10:11]
	s_cbranch_vccnz .LBB255_17
; %bb.11:
	s_load_dword s0, s[4:5], 0x0
	v_lshl_add_u32 v10, v8, 4, 0
	v_mov_b32_e32 v11, s11
	s_mov_b32 s8, 0
	s_waitcnt lgkmcnt(0)
	s_cmpk_eq_i32 s0, 0x71
	v_mad_u64_u32 v[8:9], s[0:1], s2, v4, 0
	v_mov_b32_e32 v12, v9
	v_mad_u64_u32 v[12:13], s[0:1], s3, v4, v[12:13]
	v_mov_b32_e32 v9, v12
	v_lshlrev_b64 v[8:9], 4, v[8:9]
	s_cselect_b64 vcc, -1, 0
	s_add_u32 s4, s12, -1
	v_add_co_u32_e64 v8, s[0:1], s10, v8
	s_addc_u32 s5, s13, -1
	v_addc_co_u32_e64 v9, s[0:1], v11, v9, s[0:1]
	s_lshl_b32 s9, s20, 4
	s_mov_b64 s[2:3], 0
	s_branch .LBB255_13
.LBB255_12:                             ;   in Loop: Header=BB255_13 Depth=1
	s_or_b64 exec, exec, s[6:7]
	s_add_u32 s2, s2, 1
	s_addc_u32 s3, s3, 0
	v_mov_b32_e32 v11, s8
	v_add_co_u32_e64 v8, s[0:1], s9, v8
	s_cmp_eq_u64 s[4:5], s[2:3]
	v_addc_co_u32_e64 v9, s[0:1], v9, v11, s[0:1]
	s_cbranch_scc1 .LBB255_17
.LBB255_13:                             ; =>This Inner Loop Header: Depth=1
	v_cmp_eq_u64_e64 s[0:1], s[2:3], v[4:5]
	s_barrier
	s_and_saveexec_b64 s[6:7], s[0:1]
	s_cbranch_execz .LBB255_15
; %bb.14:                               ;   in Loop: Header=BB255_13 Depth=1
	ds_write2_b64 v10, v[0:1], v[2:3] offset1:1
.LBB255_15:                             ;   in Loop: Header=BB255_13 Depth=1
	s_or_b64 exec, exec, s[6:7]
	v_cmp_lt_u64_e64 s[0:1], s[2:3], v[4:5]
	s_waitcnt lgkmcnt(0)
	s_barrier
	s_and_saveexec_b64 s[6:7], s[0:1]
	s_cbranch_execz .LBB255_12
; %bb.16:                               ;   in Loop: Header=BB255_13 Depth=1
	flat_load_dwordx4 v[12:15], v[8:9]
	ds_read2_b64 v[16:19], v10 offset1:1
	s_waitcnt vmcnt(0) lgkmcnt(0)
	v_xor_b32_e32 v11, 0x80000000, v15
	v_cndmask_b32_e32 v15, v15, v11, vcc
	v_mul_f64 v[20:21], v[12:13], v[18:19]
	v_mul_f64 v[18:19], v[14:15], v[18:19]
	v_fmac_f64_e32 v[20:21], v[14:15], v[16:17]
	v_fma_f64 v[12:13], v[12:13], v[16:17], -v[18:19]
	v_add_f64 v[0:1], v[0:1], -v[12:13]
	v_add_f64 v[2:3], v[2:3], -v[20:21]
	s_branch .LBB255_12
.LBB255_17:
	global_store_dwordx4 v[6:7], v[0:3], off
.LBB255_18:
	s_endpgm
	.section	.rodata,"a",@progbits
	.p2align	6, 0x0
	.amdhsa_kernel _ZL39rocblas_trsm_block_forward_substitutionI19rocblas_complex_numIdES1_PKS1_PS1_Lb1ELb0ELb1EEv18rocblas_operation_llT0_T1_lllT2_lllib
		.amdhsa_group_segment_fixed_size 0
		.amdhsa_private_segment_fixed_size 0
		.amdhsa_kernarg_size 368
		.amdhsa_user_sgpr_count 6
		.amdhsa_user_sgpr_private_segment_buffer 1
		.amdhsa_user_sgpr_dispatch_ptr 0
		.amdhsa_user_sgpr_queue_ptr 0
		.amdhsa_user_sgpr_kernarg_segment_ptr 1
		.amdhsa_user_sgpr_dispatch_id 0
		.amdhsa_user_sgpr_flat_scratch_init 0
		.amdhsa_user_sgpr_kernarg_preload_length 0
		.amdhsa_user_sgpr_kernarg_preload_offset 0
		.amdhsa_user_sgpr_private_segment_size 0
		.amdhsa_uses_dynamic_stack 0
		.amdhsa_system_sgpr_private_segment_wavefront_offset 0
		.amdhsa_system_sgpr_workgroup_id_x 1
		.amdhsa_system_sgpr_workgroup_id_y 1
		.amdhsa_system_sgpr_workgroup_id_z 1
		.amdhsa_system_sgpr_workgroup_info 0
		.amdhsa_system_vgpr_workitem_id 1
		.amdhsa_next_free_vgpr 22
		.amdhsa_next_free_sgpr 32
		.amdhsa_accum_offset 24
		.amdhsa_reserve_vcc 1
		.amdhsa_reserve_flat_scratch 0
		.amdhsa_float_round_mode_32 0
		.amdhsa_float_round_mode_16_64 0
		.amdhsa_float_denorm_mode_32 3
		.amdhsa_float_denorm_mode_16_64 3
		.amdhsa_dx10_clamp 1
		.amdhsa_ieee_mode 1
		.amdhsa_fp16_overflow 0
		.amdhsa_tg_split 0
		.amdhsa_exception_fp_ieee_invalid_op 0
		.amdhsa_exception_fp_denorm_src 0
		.amdhsa_exception_fp_ieee_div_zero 0
		.amdhsa_exception_fp_ieee_overflow 0
		.amdhsa_exception_fp_ieee_underflow 0
		.amdhsa_exception_fp_ieee_inexact 0
		.amdhsa_exception_int_div_zero 0
	.end_amdhsa_kernel
	.section	.text._ZL39rocblas_trsm_block_forward_substitutionI19rocblas_complex_numIdES1_PKS1_PS1_Lb1ELb0ELb1EEv18rocblas_operation_llT0_T1_lllT2_lllib,"axG",@progbits,_ZL39rocblas_trsm_block_forward_substitutionI19rocblas_complex_numIdES1_PKS1_PS1_Lb1ELb0ELb1EEv18rocblas_operation_llT0_T1_lllT2_lllib,comdat
.Lfunc_end255:
	.size	_ZL39rocblas_trsm_block_forward_substitutionI19rocblas_complex_numIdES1_PKS1_PS1_Lb1ELb0ELb1EEv18rocblas_operation_llT0_T1_lllT2_lllib, .Lfunc_end255-_ZL39rocblas_trsm_block_forward_substitutionI19rocblas_complex_numIdES1_PKS1_PS1_Lb1ELb0ELb1EEv18rocblas_operation_llT0_T1_lllT2_lllib
                                        ; -- End function
	.section	.AMDGPU.csdata,"",@progbits
; Kernel info:
; codeLenInByte = 884
; NumSgprs: 36
; NumVgprs: 22
; NumAgprs: 0
; TotalNumVgprs: 22
; ScratchSize: 0
; MemoryBound: 0
; FloatMode: 240
; IeeeMode: 1
; LDSByteSize: 0 bytes/workgroup (compile time only)
; SGPRBlocks: 4
; VGPRBlocks: 2
; NumSGPRsForWavesPerEU: 36
; NumVGPRsForWavesPerEU: 22
; AccumOffset: 24
; Occupancy: 8
; WaveLimiterHint : 1
; COMPUTE_PGM_RSRC2:SCRATCH_EN: 0
; COMPUTE_PGM_RSRC2:USER_SGPR: 6
; COMPUTE_PGM_RSRC2:TRAP_HANDLER: 0
; COMPUTE_PGM_RSRC2:TGID_X_EN: 1
; COMPUTE_PGM_RSRC2:TGID_Y_EN: 1
; COMPUTE_PGM_RSRC2:TGID_Z_EN: 1
; COMPUTE_PGM_RSRC2:TIDIG_COMP_CNT: 1
; COMPUTE_PGM_RSRC3_GFX90A:ACCUM_OFFSET: 5
; COMPUTE_PGM_RSRC3_GFX90A:TG_SPLIT: 0
	.section	.text._ZL40rocblas_trsm_block_backward_substitutionI19rocblas_complex_numIdES1_PKS1_PS1_Lb1ELb0ELb1EEv18rocblas_operation_llT0_T1_lllT2_lllib,"axG",@progbits,_ZL40rocblas_trsm_block_backward_substitutionI19rocblas_complex_numIdES1_PKS1_PS1_Lb1ELb0ELb1EEv18rocblas_operation_llT0_T1_lllT2_lllib,comdat
	.globl	_ZL40rocblas_trsm_block_backward_substitutionI19rocblas_complex_numIdES1_PKS1_PS1_Lb1ELb0ELb1EEv18rocblas_operation_llT0_T1_lllT2_lllib ; -- Begin function _ZL40rocblas_trsm_block_backward_substitutionI19rocblas_complex_numIdES1_PKS1_PS1_Lb1ELb0ELb1EEv18rocblas_operation_llT0_T1_lllT2_lllib
	.p2align	8
	.type	_ZL40rocblas_trsm_block_backward_substitutionI19rocblas_complex_numIdES1_PKS1_PS1_Lb1ELb0ELb1EEv18rocblas_operation_llT0_T1_lllT2_lllib,@function
_ZL40rocblas_trsm_block_backward_substitutionI19rocblas_complex_numIdES1_PKS1_PS1_Lb1ELb0ELb1EEv18rocblas_operation_llT0_T1_lllT2_lllib: ; @_ZL40rocblas_trsm_block_backward_substitutionI19rocblas_complex_numIdES1_PKS1_PS1_Lb1ELb0ELb1EEv18rocblas_operation_llT0_T1_lllT2_lllib
; %bb.0:
	s_load_dwordx16 s[12:27], s[4:5], 0x8
	v_and_b32_e32 v4, 0x3ff, v0
	v_bfe_u32 v8, v0, 10, 10
	s_waitcnt lgkmcnt(0)
	s_mul_i32 s0, s8, s27
	s_mul_hi_u32 s1, s8, s26
	s_add_i32 s1, s1, s0
	s_mul_i32 s0, s8, s26
	s_lshl_b64 s[0:1], s[0:1], 4
	s_add_u32 s2, s20, s0
	s_addc_u32 s3, s21, s1
	s_lshl_b64 s[0:1], s[22:23], 4
	s_add_u32 s2, s2, s0
	s_load_dword s0, s[4:5], 0x6c
	s_load_dword s6, s[4:5], 0x7c
	s_addc_u32 s3, s3, s1
	s_add_u32 s10, s4, 0x70
	s_addc_u32 s11, s5, 0
	s_waitcnt lgkmcnt(0)
	s_lshr_b32 s6, s6, 16
	s_bitcmp0_b32 s0, 0
	s_cbranch_scc1 .LBB256_7
; %bb.1:
	s_lshl_b32 s0, s6, 4
	s_add_i32 s20, s0, 0
	v_cmp_lt_i64_e64 s[0:1], s[12:13], 1
	s_and_b64 vcc, exec, s[0:1]
	s_cbranch_vccnz .LBB256_6
; %bb.2:
	v_lshlrev_b32_e32 v0, 4, v4
	v_mov_b32_e32 v5, 0
	v_cmp_gt_u64_e64 s[0:1], s[12:13], v[4:5]
	v_mov_b32_e32 v1, s3
	v_add_co_u32_e32 v5, vcc, s2, v0
	v_add_u32_e32 v6, s20, v0
	s_mov_b32 s22, 0
	v_addc_co_u32_e32 v7, vcc, 0, v1, vcc
	v_pk_mov_b32 v[0:1], s[12:13], s[12:13] op_sel:[0,1]
	s_branch .LBB256_4
.LBB256_3:                              ;   in Loop: Header=BB256_4 Depth=1
	s_or_b64 exec, exec, s[2:3]
	s_add_i32 s22, s22, s6
	s_ashr_i32 s23, s22, 31
	v_cmp_ge_i64_e32 vcc, s[22:23], v[0:1]
	s_cbranch_vccnz .LBB256_6
.LBB256_4:                              ; =>This Inner Loop Header: Depth=1
	v_add_u32_e32 v2, s22, v8
	v_ashrrev_i32_e32 v3, 31, v2
	v_cmp_gt_i64_e32 vcc, s[12:13], v[2:3]
	v_cmp_lt_i32_e64 s[2:3], v4, v2
	s_and_b64 s[2:3], s[2:3], vcc
	s_and_b64 s[26:27], s[0:1], s[2:3]
	s_and_saveexec_b64 s[2:3], s[26:27]
	s_cbranch_execz .LBB256_3
; %bb.5:                                ;   in Loop: Header=BB256_4 Depth=1
	v_mul_lo_u32 v3, v3, s24
	v_mul_lo_u32 v9, v2, s25
	v_mad_u64_u32 v[10:11], s[26:27], v2, s24, 0
	v_add3_u32 v11, v11, v9, v3
	v_lshlrev_b64 v[10:11], 4, v[10:11]
	v_add_co_u32_e32 v10, vcc, v5, v10
	v_addc_co_u32_e32 v11, vcc, v7, v11, vcc
	global_load_dwordx4 v[10:13], v[10:11], off
	s_load_dword s9, s[10:11], 0xc
	s_waitcnt lgkmcnt(0)
	s_and_b32 s9, s9, 0xffff
	v_mul_lo_u32 v2, v2, s9
	v_lshl_add_u32 v2, v2, 4, v6
	s_waitcnt vmcnt(0)
	ds_write2_b64 v2, v[10:11], v[12:13] offset1:1
	s_branch .LBB256_3
.LBB256_6:
	s_load_dword s2, s[10:11], 0xc
	s_mov_b64 s[0:1], src_shared_base
	s_mov_b32 s21, s1
	s_mov_b32 s25, 0
	s_waitcnt lgkmcnt(0)
	s_and_b32 s24, s2, 0xffff
	s_mov_b64 s[2:3], s[20:21]
.LBB256_7:
	s_mul_i32 s7, s7, s6
	v_add_u32_e32 v0, s7, v8
	v_mov_b32_e32 v1, 0
	v_cmp_gt_i64_e32 vcc, s[14:15], v[0:1]
	s_and_saveexec_b64 s[0:1], vcc
	s_cbranch_execz .LBB256_18
; %bb.8:
	v_mov_b32_e32 v5, v1
	v_cmp_gt_i64_e32 vcc, s[12:13], v[4:5]
	s_and_b64 exec, exec, vcc
	s_cbranch_execz .LBB256_18
; %bb.9:
	s_load_dwordx8 s[36:43], s[4:5], 0x48
	v_lshlrev_b64 v[0:1], 4, v[0:1]
	s_waitcnt lgkmcnt(0)
	s_mul_i32 s1, s8, s43
	s_mul_hi_u32 s6, s8, s42
	s_mul_i32 s0, s8, s42
	s_add_i32 s1, s6, s1
	s_lshl_b64 s[0:1], s[0:1], 4
	s_add_u32 s6, s36, s0
	s_addc_u32 s7, s37, s1
	s_lshl_b64 s[0:1], s[38:39], 4
	s_add_u32 s6, s6, s0
	s_addc_u32 s7, s7, s1
	v_mad_u64_u32 v[2:3], s[0:1], v4, s40, 0
	v_mov_b32_e32 v6, v3
	v_mad_u64_u32 v[6:7], s[0:1], v4, s41, v[6:7]
	v_mov_b32_e32 v3, v6
	v_lshlrev_b64 v[2:3], 4, v[2:3]
	v_mov_b32_e32 v6, s7
	v_add_co_u32_e32 v2, vcc, s6, v2
	v_addc_co_u32_e32 v3, vcc, v6, v3, vcc
	v_add_co_u32_e32 v6, vcc, v2, v0
	v_addc_co_u32_e32 v7, vcc, v3, v1, vcc
	global_load_dwordx4 v[10:13], v[6:7], off
	v_cmp_lt_u64_e64 s[0:1], s[12:13], 2
	s_and_b64 vcc, exec, s[0:1]
	s_waitcnt vmcnt(0)
	v_mul_f64 v[0:1], s[18:19], v[12:13]
	v_mul_f64 v[2:3], s[16:17], v[12:13]
	v_fma_f64 v[0:1], s[16:17], v[10:11], -v[0:1]
	v_fmac_f64_e32 v[2:3], s[18:19], v[10:11]
	s_cbranch_vccnz .LBB256_17
; %bb.10:
	s_load_dword s0, s[4:5], 0x0
	v_lshl_add_u32 v10, v8, 4, 0
	v_lshlrev_b32_e32 v8, 4, v4
	s_waitcnt lgkmcnt(0)
	s_cmpk_eq_i32 s0, 0x71
	s_cselect_b64 s[0:1], -1, 0
	s_add_u32 s4, s12, -1
	s_addc_u32 s5, s13, -1
	s_mul_hi_u32 s6, s24, s4
	s_mul_i32 s8, s24, s5
	s_mul_i32 s7, s25, s4
	s_add_i32 s6, s6, s8
	s_add_i32 s7, s6, s7
	s_mul_i32 s6, s24, s4
	s_lshl_b64 s[6:7], s[6:7], 4
	s_add_u32 s2, s2, s6
	s_addc_u32 s3, s3, s7
	v_mov_b32_e32 v9, s3
	v_add_co_u32_e32 v8, vcc, s2, v8
	s_lshl_b64 s[2:3], s[24:25], 4
	s_sub_u32 s6, 0, s2
	v_addc_co_u32_e32 v9, vcc, 0, v9, vcc
	s_subb_u32 s7, 0, s3
.LBB256_11:                             ; =>This Inner Loop Header: Depth=1
	v_cmp_eq_u64_e32 vcc, s[4:5], v[4:5]
	s_barrier
	s_and_saveexec_b64 s[2:3], vcc
	s_cbranch_execz .LBB256_13
; %bb.12:                               ;   in Loop: Header=BB256_11 Depth=1
	ds_write2_b64 v10, v[0:1], v[2:3] offset1:1
.LBB256_13:                             ;   in Loop: Header=BB256_11 Depth=1
	s_or_b64 exec, exec, s[2:3]
	v_cmp_gt_i64_e32 vcc, s[4:5], v[4:5]
	s_waitcnt lgkmcnt(0)
	s_barrier
	s_and_saveexec_b64 s[2:3], vcc
	s_cbranch_execz .LBB256_15
; %bb.14:                               ;   in Loop: Header=BB256_11 Depth=1
	flat_load_dwordx4 v[12:15], v[8:9]
	ds_read2_b64 v[16:19], v10 offset1:1
	s_waitcnt vmcnt(0) lgkmcnt(0)
	v_xor_b32_e32 v11, 0x80000000, v15
	v_cndmask_b32_e64 v15, v15, v11, s[0:1]
	v_mul_f64 v[20:21], v[12:13], v[18:19]
	v_mul_f64 v[18:19], v[14:15], v[18:19]
	v_fmac_f64_e32 v[20:21], v[14:15], v[16:17]
	v_fma_f64 v[12:13], v[12:13], v[16:17], -v[18:19]
	v_add_f64 v[0:1], v[0:1], -v[12:13]
	v_add_f64 v[2:3], v[2:3], -v[20:21]
.LBB256_15:                             ;   in Loop: Header=BB256_11 Depth=1
	s_or_b64 exec, exec, s[2:3]
	s_add_u32 s2, s4, -1
	s_addc_u32 s3, s5, -1
	s_add_u32 s4, s4, 1
	s_addc_u32 s5, s5, 0
	v_mov_b32_e32 v11, s7
	v_add_co_u32_e32 v8, vcc, s6, v8
	v_addc_co_u32_e32 v9, vcc, v9, v11, vcc
	v_cmp_lt_u64_e64 s[4:5], s[4:5], 3
	s_and_b64 vcc, exec, s[4:5]
	s_cbranch_vccnz .LBB256_17
; %bb.16:                               ;   in Loop: Header=BB256_11 Depth=1
	s_mov_b64 s[4:5], s[2:3]
	s_branch .LBB256_11
.LBB256_17:
	global_store_dwordx4 v[6:7], v[0:3], off
.LBB256_18:
	s_endpgm
	.section	.rodata,"a",@progbits
	.p2align	6, 0x0
	.amdhsa_kernel _ZL40rocblas_trsm_block_backward_substitutionI19rocblas_complex_numIdES1_PKS1_PS1_Lb1ELb0ELb1EEv18rocblas_operation_llT0_T1_lllT2_lllib
		.amdhsa_group_segment_fixed_size 0
		.amdhsa_private_segment_fixed_size 0
		.amdhsa_kernarg_size 368
		.amdhsa_user_sgpr_count 6
		.amdhsa_user_sgpr_private_segment_buffer 1
		.amdhsa_user_sgpr_dispatch_ptr 0
		.amdhsa_user_sgpr_queue_ptr 0
		.amdhsa_user_sgpr_kernarg_segment_ptr 1
		.amdhsa_user_sgpr_dispatch_id 0
		.amdhsa_user_sgpr_flat_scratch_init 0
		.amdhsa_user_sgpr_kernarg_preload_length 0
		.amdhsa_user_sgpr_kernarg_preload_offset 0
		.amdhsa_user_sgpr_private_segment_size 0
		.amdhsa_uses_dynamic_stack 0
		.amdhsa_system_sgpr_private_segment_wavefront_offset 0
		.amdhsa_system_sgpr_workgroup_id_x 1
		.amdhsa_system_sgpr_workgroup_id_y 1
		.amdhsa_system_sgpr_workgroup_id_z 1
		.amdhsa_system_sgpr_workgroup_info 0
		.amdhsa_system_vgpr_workitem_id 1
		.amdhsa_next_free_vgpr 22
		.amdhsa_next_free_sgpr 44
		.amdhsa_accum_offset 24
		.amdhsa_reserve_vcc 1
		.amdhsa_reserve_flat_scratch 0
		.amdhsa_float_round_mode_32 0
		.amdhsa_float_round_mode_16_64 0
		.amdhsa_float_denorm_mode_32 3
		.amdhsa_float_denorm_mode_16_64 3
		.amdhsa_dx10_clamp 1
		.amdhsa_ieee_mode 1
		.amdhsa_fp16_overflow 0
		.amdhsa_tg_split 0
		.amdhsa_exception_fp_ieee_invalid_op 0
		.amdhsa_exception_fp_denorm_src 0
		.amdhsa_exception_fp_ieee_div_zero 0
		.amdhsa_exception_fp_ieee_overflow 0
		.amdhsa_exception_fp_ieee_underflow 0
		.amdhsa_exception_fp_ieee_inexact 0
		.amdhsa_exception_int_div_zero 0
	.end_amdhsa_kernel
	.section	.text._ZL40rocblas_trsm_block_backward_substitutionI19rocblas_complex_numIdES1_PKS1_PS1_Lb1ELb0ELb1EEv18rocblas_operation_llT0_T1_lllT2_lllib,"axG",@progbits,_ZL40rocblas_trsm_block_backward_substitutionI19rocblas_complex_numIdES1_PKS1_PS1_Lb1ELb0ELb1EEv18rocblas_operation_llT0_T1_lllT2_lllib,comdat
.Lfunc_end256:
	.size	_ZL40rocblas_trsm_block_backward_substitutionI19rocblas_complex_numIdES1_PKS1_PS1_Lb1ELb0ELb1EEv18rocblas_operation_llT0_T1_lllT2_lllib, .Lfunc_end256-_ZL40rocblas_trsm_block_backward_substitutionI19rocblas_complex_numIdES1_PKS1_PS1_Lb1ELb0ELb1EEv18rocblas_operation_llT0_T1_lllT2_lllib
                                        ; -- End function
	.section	.AMDGPU.csdata,"",@progbits
; Kernel info:
; codeLenInByte = 888
; NumSgprs: 48
; NumVgprs: 22
; NumAgprs: 0
; TotalNumVgprs: 22
; ScratchSize: 0
; MemoryBound: 0
; FloatMode: 240
; IeeeMode: 1
; LDSByteSize: 0 bytes/workgroup (compile time only)
; SGPRBlocks: 5
; VGPRBlocks: 2
; NumSGPRsForWavesPerEU: 48
; NumVGPRsForWavesPerEU: 22
; AccumOffset: 24
; Occupancy: 8
; WaveLimiterHint : 1
; COMPUTE_PGM_RSRC2:SCRATCH_EN: 0
; COMPUTE_PGM_RSRC2:USER_SGPR: 6
; COMPUTE_PGM_RSRC2:TRAP_HANDLER: 0
; COMPUTE_PGM_RSRC2:TGID_X_EN: 1
; COMPUTE_PGM_RSRC2:TGID_Y_EN: 1
; COMPUTE_PGM_RSRC2:TGID_Z_EN: 1
; COMPUTE_PGM_RSRC2:TIDIG_COMP_CNT: 1
; COMPUTE_PGM_RSRC3_GFX90A:ACCUM_OFFSET: 5
; COMPUTE_PGM_RSRC3_GFX90A:TG_SPLIT: 0
	.section	.text._ZL26setup_batched_array_kernelILi128E19rocblas_complex_numIdEEvPT0_lPS3_,"axG",@progbits,_ZL26setup_batched_array_kernelILi128E19rocblas_complex_numIdEEvPT0_lPS3_,comdat
	.globl	_ZL26setup_batched_array_kernelILi128E19rocblas_complex_numIdEEvPT0_lPS3_ ; -- Begin function _ZL26setup_batched_array_kernelILi128E19rocblas_complex_numIdEEvPT0_lPS3_
	.p2align	8
	.type	_ZL26setup_batched_array_kernelILi128E19rocblas_complex_numIdEEvPT0_lPS3_,@function
_ZL26setup_batched_array_kernelILi128E19rocblas_complex_numIdEEvPT0_lPS3_: ; @_ZL26setup_batched_array_kernelILi128E19rocblas_complex_numIdEEvPT0_lPS3_
; %bb.0:
	s_load_dwordx4 s[0:3], s[4:5], 0x0
	s_mov_b32 s7, 0
	s_load_dwordx2 s[4:5], s[4:5], 0x10
	v_mov_b32_e32 v2, 0
	s_waitcnt lgkmcnt(0)
	s_mul_i32 s3, s6, s3
	s_mul_hi_u32 s8, s6, s2
	s_add_i32 s3, s8, s3
	s_mul_i32 s2, s6, s2
	s_lshl_b64 s[2:3], s[2:3], 4
	s_add_u32 s0, s0, s2
	s_addc_u32 s1, s1, s3
	s_lshl_b64 s[2:3], s[6:7], 3
	s_add_u32 s2, s4, s2
	s_addc_u32 s3, s5, s3
	v_pk_mov_b32 v[0:1], s[0:1], s[0:1] op_sel:[0,1]
	global_store_dwordx2 v2, v[0:1], s[2:3]
	s_endpgm
	.section	.rodata,"a",@progbits
	.p2align	6, 0x0
	.amdhsa_kernel _ZL26setup_batched_array_kernelILi128E19rocblas_complex_numIdEEvPT0_lPS3_
		.amdhsa_group_segment_fixed_size 0
		.amdhsa_private_segment_fixed_size 0
		.amdhsa_kernarg_size 24
		.amdhsa_user_sgpr_count 6
		.amdhsa_user_sgpr_private_segment_buffer 1
		.amdhsa_user_sgpr_dispatch_ptr 0
		.amdhsa_user_sgpr_queue_ptr 0
		.amdhsa_user_sgpr_kernarg_segment_ptr 1
		.amdhsa_user_sgpr_dispatch_id 0
		.amdhsa_user_sgpr_flat_scratch_init 0
		.amdhsa_user_sgpr_kernarg_preload_length 0
		.amdhsa_user_sgpr_kernarg_preload_offset 0
		.amdhsa_user_sgpr_private_segment_size 0
		.amdhsa_uses_dynamic_stack 0
		.amdhsa_system_sgpr_private_segment_wavefront_offset 0
		.amdhsa_system_sgpr_workgroup_id_x 1
		.amdhsa_system_sgpr_workgroup_id_y 0
		.amdhsa_system_sgpr_workgroup_id_z 0
		.amdhsa_system_sgpr_workgroup_info 0
		.amdhsa_system_vgpr_workitem_id 0
		.amdhsa_next_free_vgpr 3
		.amdhsa_next_free_sgpr 9
		.amdhsa_accum_offset 4
		.amdhsa_reserve_vcc 0
		.amdhsa_reserve_flat_scratch 0
		.amdhsa_float_round_mode_32 0
		.amdhsa_float_round_mode_16_64 0
		.amdhsa_float_denorm_mode_32 3
		.amdhsa_float_denorm_mode_16_64 3
		.amdhsa_dx10_clamp 1
		.amdhsa_ieee_mode 1
		.amdhsa_fp16_overflow 0
		.amdhsa_tg_split 0
		.amdhsa_exception_fp_ieee_invalid_op 0
		.amdhsa_exception_fp_denorm_src 0
		.amdhsa_exception_fp_ieee_div_zero 0
		.amdhsa_exception_fp_ieee_overflow 0
		.amdhsa_exception_fp_ieee_underflow 0
		.amdhsa_exception_fp_ieee_inexact 0
		.amdhsa_exception_int_div_zero 0
	.end_amdhsa_kernel
	.section	.text._ZL26setup_batched_array_kernelILi128E19rocblas_complex_numIdEEvPT0_lPS3_,"axG",@progbits,_ZL26setup_batched_array_kernelILi128E19rocblas_complex_numIdEEvPT0_lPS3_,comdat
.Lfunc_end257:
	.size	_ZL26setup_batched_array_kernelILi128E19rocblas_complex_numIdEEvPT0_lPS3_, .Lfunc_end257-_ZL26setup_batched_array_kernelILi128E19rocblas_complex_numIdEEvPT0_lPS3_
                                        ; -- End function
	.section	.AMDGPU.csdata,"",@progbits
; Kernel info:
; codeLenInByte = 88
; NumSgprs: 13
; NumVgprs: 3
; NumAgprs: 0
; TotalNumVgprs: 3
; ScratchSize: 0
; MemoryBound: 0
; FloatMode: 240
; IeeeMode: 1
; LDSByteSize: 0 bytes/workgroup (compile time only)
; SGPRBlocks: 1
; VGPRBlocks: 0
; NumSGPRsForWavesPerEU: 13
; NumVGPRsForWavesPerEU: 3
; AccumOffset: 4
; Occupancy: 8
; WaveLimiterHint : 0
; COMPUTE_PGM_RSRC2:SCRATCH_EN: 0
; COMPUTE_PGM_RSRC2:USER_SGPR: 6
; COMPUTE_PGM_RSRC2:TRAP_HANDLER: 0
; COMPUTE_PGM_RSRC2:TGID_X_EN: 1
; COMPUTE_PGM_RSRC2:TGID_Y_EN: 0
; COMPUTE_PGM_RSRC2:TGID_Z_EN: 0
; COMPUTE_PGM_RSRC2:TIDIG_COMP_CNT: 0
; COMPUTE_PGM_RSRC3_GFX90A:ACCUM_OFFSET: 0
; COMPUTE_PGM_RSRC3_GFX90A:TG_SPLIT: 0
	.section	.text._ZL25rocblas_trtri_trsm_kernelILi128ELi16ELi8E19rocblas_complex_numIdEPKS1_PS1_Ev13rocblas_fill_17rocblas_diagonal_T3_lilT4_lli,"axG",@progbits,_ZL25rocblas_trtri_trsm_kernelILi128ELi16ELi8E19rocblas_complex_numIdEPKS1_PS1_Ev13rocblas_fill_17rocblas_diagonal_T3_lilT4_lli,comdat
	.globl	_ZL25rocblas_trtri_trsm_kernelILi128ELi16ELi8E19rocblas_complex_numIdEPKS1_PS1_Ev13rocblas_fill_17rocblas_diagonal_T3_lilT4_lli ; -- Begin function _ZL25rocblas_trtri_trsm_kernelILi128ELi16ELi8E19rocblas_complex_numIdEPKS1_PS1_Ev13rocblas_fill_17rocblas_diagonal_T3_lilT4_lli
	.p2align	8
	.type	_ZL25rocblas_trtri_trsm_kernelILi128ELi16ELi8E19rocblas_complex_numIdEPKS1_PS1_Ev13rocblas_fill_17rocblas_diagonal_T3_lilT4_lli,@function
_ZL25rocblas_trtri_trsm_kernelILi128ELi16ELi8E19rocblas_complex_numIdEPKS1_PS1_Ev13rocblas_fill_17rocblas_diagonal_T3_lilT4_lli: ; @_ZL25rocblas_trtri_trsm_kernelILi128ELi16ELi8E19rocblas_complex_numIdEPKS1_PS1_Ev13rocblas_fill_17rocblas_diagonal_T3_lilT4_lli
; %bb.0:
	v_cmp_gt_u32_e64 s[0:1], 16, v0
	v_cmp_lt_u32_e64 s[8:9], 15, v0
	v_cmp_gt_u32_e64 s[2:3], 32, v0
	v_cmp_lt_u32_e32 vcc, 31, v0
	v_mov_b32_e32 v10, v0
	s_and_saveexec_b64 s[10:11], s[8:9]
	s_cbranch_execz .LBB258_6
; %bb.1:
                                        ; implicit-def: $vgpr10
	s_and_saveexec_b64 s[8:9], vcc
	s_xor_b64 s[8:9], exec, s[8:9]
; %bb.2:
	v_subrev_u32_e32 v10, 32, v0
; %bb.3:
	s_andn2_saveexec_b64 s[8:9], s[8:9]
; %bb.4:
	v_add_u32_e32 v10, -16, v0
; %bb.5:
	s_or_b64 exec, exec, s[8:9]
.LBB258_6:
	s_or_b64 exec, exec, s[10:11]
	s_load_dword s18, s[4:5], 0x18
	s_load_dwordx2 s[16:17], s[4:5], 0x0
	s_load_dwordx4 s[36:39], s[4:5], 0x8
	s_load_dwordx8 s[8:15], s[4:5], 0x20
	s_lshl_b32 s24, s6, 1
	s_waitcnt lgkmcnt(0)
	s_ashr_i32 s19, s18, 31
	s_lshl_b64 s[20:21], s[18:19], 4
	s_add_u32 s27, s20, 16
	s_addc_u32 s28, s21, 0
	s_mul_i32 s9, s7, s9
	s_mul_hi_u32 s22, s7, s8
	s_mul_i32 s4, s28, s24
	s_mul_hi_u32 s5, s27, s24
	s_add_i32 s9, s22, s9
	s_mul_i32 s8, s7, s8
	s_add_i32 s5, s5, s4
	s_lshl_b64 s[8:9], s[8:9], 4
	s_mul_i32 s4, s27, s24
	s_add_u32 s8, s36, s8
	s_addc_u32 s9, s37, s9
	s_lshl_b64 s[4:5], s[4:5], 4
	s_add_u32 s8, s8, s4
	s_addc_u32 s9, s9, s5
	s_lshl_b64 s[4:5], s[38:39], 4
	s_add_u32 s25, s8, s4
	v_mov_b32_e32 v1, 0x3000
	s_addc_u32 s26, s9, s5
	v_cndmask_b32_e64 v1, 0, v1, s[2:3]
	v_mov_b32_e32 v4, 0x2000
	s_and_saveexec_b64 s[4:5], vcc
	s_xor_b64 s[4:5], exec, s[4:5]
	s_cbranch_execz .LBB258_13
; %bb.7:
	v_cmp_gt_u32_e32 vcc, 48, v0
	s_and_saveexec_b64 s[8:9], vcc
	s_cbranch_execz .LBB258_12
; %bb.8:
	v_mov_b32_e32 v11, 0
	s_cmpk_eq_i32 s16, 0x7a
	s_mov_b64 s[22:23], -1
	v_lshlrev_b64 v[2:3], 4, v[10:11]
	s_cbranch_scc1 .LBB258_10
; %bb.9:
	s_lshl_b64 s[22:23], s[18:19], 8
	s_add_u32 s22, s25, s22
	s_addc_u32 s23, s26, s23
	v_mov_b32_e32 v5, s23
	v_add_co_u32_e32 v72, vcc, s22, v2
	v_addc_co_u32_e32 v73, vcc, v5, v3, vcc
	v_mov_b32_e32 v5, 0xf0
	v_mad_i64_i32 v[12:13], s[22:23], s18, v5, v[72:73]
	v_mov_b32_e32 v5, s21
	v_subrev_co_u32_e32 v16, vcc, s20, v12
	v_subb_co_u32_e32 v17, vcc, v13, v5, vcc
	v_subrev_co_u32_e32 v20, vcc, s20, v16
	v_subb_co_u32_e32 v21, vcc, v17, v5, vcc
	;; [unrolled: 2-line block ×10, first 2 shown]
	v_subrev_co_u32_e32 v56, vcc, s20, v52
	global_load_dwordx4 v[6:9], v[12:13], off
	v_subb_co_u32_e32 v57, vcc, v53, v5, vcc
	global_load_dwordx4 v[12:15], v[16:17], off
	v_subrev_co_u32_e32 v60, vcc, s20, v56
	global_load_dwordx4 v[16:19], v[20:21], off
	v_subb_co_u32_e32 v61, vcc, v57, v5, vcc
	global_load_dwordx4 v[20:23], v[24:25], off
	;; [unrolled: 4-line block ×4, first 2 shown]
	v_lshlrev_b32_e32 v5, 4, v10
	global_load_dwordx4 v[40:43], v[44:45], off
	v_add_u32_e32 v11, 0xf00, v5
	global_load_dwordx4 v[44:47], v[48:49], off
	s_mov_b64 s[22:23], 0
	global_load_dwordx4 v[48:51], v[52:53], off
	s_nop 0
	global_load_dwordx4 v[52:55], v[56:57], off
	s_nop 0
	;; [unrolled: 2-line block ×4, first 2 shown]
	global_load_dwordx4 v[64:67], v[74:75], off
	global_load_dwordx4 v[68:71], v[72:73], off
	s_waitcnt vmcnt(15)
	ds_write2_b64 v11, v[6:7], v[8:9] offset1:1
	v_add_u32_e32 v6, 0xe00, v5
	s_waitcnt vmcnt(14)
	ds_write2_b64 v6, v[12:13], v[14:15] offset1:1
	v_add_u32_e32 v6, 0xd00, v5
	;; [unrolled: 3-line block ×7, first 2 shown]
	s_waitcnt vmcnt(8)
	ds_write2_b64 v6, v[36:37], v[38:39] offset1:1
	s_waitcnt vmcnt(7)
	ds_write2_b64 v5, v[40:41], v[42:43] offset0:224 offset1:225
	s_waitcnt vmcnt(6)
	ds_write2_b64 v5, v[44:45], v[46:47] offset0:192 offset1:193
	;; [unrolled: 2-line block ×7, first 2 shown]
	s_waitcnt vmcnt(0)
	ds_write2_b64 v5, v[68:69], v[70:71] offset1:1
.LBB258_10:
	s_andn2_b64 vcc, exec, s[22:23]
	s_cbranch_vccnz .LBB258_12
; %bb.11:
	v_mov_b32_e32 v5, s26
	v_add_co_u32_e32 v2, vcc, s25, v2
	v_addc_co_u32_e32 v3, vcc, v5, v3, vcc
	v_mov_b32_e32 v5, s21
	v_add_co_u32_e32 v16, vcc, s20, v2
	v_addc_co_u32_e32 v17, vcc, v3, v5, vcc
	global_load_dwordx4 v[6:9], v[2:3], off offset:256
	global_load_dwordx4 v[12:15], v[16:17], off offset:256
	v_add_co_u32_e32 v2, vcc, s20, v16
	v_addc_co_u32_e32 v3, vcc, v17, v5, vcc
	global_load_dwordx4 v[16:19], v[2:3], off offset:256
	v_add_co_u32_e32 v2, vcc, s20, v2
	v_addc_co_u32_e32 v3, vcc, v3, v5, vcc
	;; [unrolled: 3-line block ×14, first 2 shown]
	global_load_dwordx4 v[68:71], v[2:3], off offset:256
	v_lshlrev_b32_e32 v2, 4, v10
	v_add_u32_e32 v3, 0x800, v2
	s_waitcnt vmcnt(15)
	ds_write2_b64 v2, v[6:7], v[8:9] offset1:1
	s_waitcnt vmcnt(14)
	ds_write2_b64 v2, v[12:13], v[14:15] offset0:32 offset1:33
	s_waitcnt vmcnt(13)
	ds_write2_b64 v2, v[16:17], v[18:19] offset0:64 offset1:65
	;; [unrolled: 2-line block ×7, first 2 shown]
	s_waitcnt vmcnt(7)
	ds_write2_b64 v3, v[40:41], v[42:43] offset1:1
	v_add_u32_e32 v3, 0x900, v2
	s_waitcnt vmcnt(6)
	ds_write2_b64 v3, v[44:45], v[46:47] offset1:1
	v_add_u32_e32 v3, 0xa00, v2
	;; [unrolled: 3-line block ×6, first 2 shown]
	v_add_u32_e32 v2, 0xf00, v2
	s_waitcnt vmcnt(1)
	ds_write2_b64 v3, v[64:65], v[66:67] offset1:1
	s_waitcnt vmcnt(0)
	ds_write2_b64 v2, v[68:69], v[70:71] offset1:1
.LBB258_12:
	s_or_b64 exec, exec, s[8:9]
.LBB258_13:
	s_or_saveexec_b64 s[4:5], s[4:5]
	v_cndmask_b32_e64 v1, v1, v4, s[0:1]
	s_xor_b64 exec, exec, s[4:5]
	s_cbranch_execz .LBB258_80
; %bb.14:
	v_mov_b32_e32 v2, s28
	v_cndmask_b32_e64 v3, v2, 0, s[0:1]
	v_mov_b32_e32 v2, s27
	v_cndmask_b32_e64 v2, v2, 0, s[0:1]
	s_mov_b64 s[8:9], -1
	s_cmpk_eq_i32 s16, 0x7a
	v_lshlrev_b64 v[8:9], 4, v[2:3]
	s_cbranch_scc1 .LBB258_48
; %bb.15:
	v_mov_b32_e32 v11, 0
	v_mov_b32_e32 v2, s26
	v_add_co_u32_e32 v4, vcc, s25, v8
	v_addc_co_u32_e32 v5, vcc, v2, v9, vcc
	v_lshlrev_b64 v[2:3], 4, v[10:11]
	v_add_co_u32_e32 v12, vcc, v4, v2
	v_addc_co_u32_e32 v13, vcc, v5, v3, vcc
	v_pk_mov_b32 v[2:3], 0, 0
	v_cmp_gt_u32_e32 vcc, 16, v10
	v_pk_mov_b32 v[4:5], v[2:3], v[2:3] op_sel:[0,1]
	v_pk_mov_b32 v[6:7], v[2:3], v[2:3] op_sel:[0,1]
	s_and_saveexec_b64 s[8:9], vcc
	s_cbranch_execz .LBB258_17
; %bb.16:
	v_mov_b32_e32 v4, 0xf0
	v_mad_i64_i32 v[4:5], s[22:23], s18, v4, v[12:13]
	global_load_dwordx4 v[4:7], v[4:5], off
.LBB258_17:
	s_or_b64 exec, exec, s[8:9]
	v_sub_u32_e32 v11, 0xffffff10, v10
	v_lshl_add_u32 v11, v11, 4, v1
	s_waitcnt vmcnt(0)
	ds_write_b128 v11, v[4:7] offset:4080
	v_cmp_gt_u32_e32 vcc, 15, v10
	v_pk_mov_b32 v[4:5], v[2:3], v[2:3] op_sel:[0,1]
	s_and_saveexec_b64 s[8:9], vcc
	s_cbranch_execz .LBB258_19
; %bb.18:
	v_mov_b32_e32 v2, 0xe0
	v_mad_i64_i32 v[2:3], s[22:23], s18, v2, v[12:13]
	global_load_dwordx4 v[2:5], v[2:3], off
.LBB258_19:
	s_or_b64 exec, exec, s[8:9]
	v_sub_u32_e32 v6, 0xffffff20, v10
	v_lshl_add_u32 v6, v6, 4, v1
	s_waitcnt vmcnt(0)
	ds_write_b128 v6, v[2:5] offset:4080
	v_pk_mov_b32 v[2:3], 0, 0
	v_cmp_gt_u32_e32 vcc, 14, v10
	v_pk_mov_b32 v[4:5], v[2:3], v[2:3] op_sel:[0,1]
	v_pk_mov_b32 v[6:7], v[2:3], v[2:3] op_sel:[0,1]
	s_and_saveexec_b64 s[8:9], vcc
	s_cbranch_execz .LBB258_21
; %bb.20:
	v_mov_b32_e32 v4, 0xd0
	v_mad_i64_i32 v[4:5], s[22:23], s18, v4, v[12:13]
	global_load_dwordx4 v[4:7], v[4:5], off
.LBB258_21:
	s_or_b64 exec, exec, s[8:9]
	v_sub_u32_e32 v11, 0xffffff30, v10
	v_lshl_add_u32 v11, v11, 4, v1
	s_waitcnt vmcnt(0)
	ds_write_b128 v11, v[4:7] offset:4080
	v_cmp_gt_u32_e32 vcc, 13, v10
	v_pk_mov_b32 v[4:5], v[2:3], v[2:3] op_sel:[0,1]
	s_and_saveexec_b64 s[8:9], vcc
	s_cbranch_execz .LBB258_23
; %bb.22:
	v_mov_b32_e32 v2, 0xc0
	v_mad_i64_i32 v[2:3], s[22:23], s18, v2, v[12:13]
	global_load_dwordx4 v[2:5], v[2:3], off
.LBB258_23:
	s_or_b64 exec, exec, s[8:9]
	v_sub_u32_e32 v6, 0xffffff40, v10
	v_lshl_add_u32 v6, v6, 4, v1
	s_waitcnt vmcnt(0)
	ds_write_b128 v6, v[2:5] offset:4080
	;; [unrolled: 30-line block ×3, first 2 shown]
	v_pk_mov_b32 v[2:3], 0, 0
	v_cmp_gt_u32_e32 vcc, 10, v10
	v_pk_mov_b32 v[4:5], v[2:3], v[2:3] op_sel:[0,1]
	v_pk_mov_b32 v[6:7], v[2:3], v[2:3] op_sel:[0,1]
	s_and_saveexec_b64 s[8:9], vcc
	s_cbranch_execz .LBB258_29
; %bb.28:
	v_mov_b32_e32 v4, 0x90
	v_mad_i64_i32 v[4:5], s[22:23], s18, v4, v[12:13]
	global_load_dwordx4 v[4:7], v[4:5], off
.LBB258_29:
	s_or_b64 exec, exec, s[8:9]
	v_sub_u32_e32 v11, 0xffffff70, v10
	v_lshl_add_u32 v11, v11, 4, v1
	s_waitcnt vmcnt(0)
	ds_write_b128 v11, v[4:7] offset:4080
	v_cmp_gt_u32_e32 vcc, 9, v10
	v_pk_mov_b32 v[4:5], v[2:3], v[2:3] op_sel:[0,1]
	s_and_saveexec_b64 s[8:9], vcc
	s_cbranch_execz .LBB258_31
; %bb.30:
	s_lshl_b64 s[22:23], s[18:19], 7
	v_mov_b32_e32 v3, s23
	v_add_co_u32_e32 v2, vcc, s22, v12
	v_addc_co_u32_e32 v3, vcc, v13, v3, vcc
	global_load_dwordx4 v[2:5], v[2:3], off
.LBB258_31:
	s_or_b64 exec, exec, s[8:9]
	v_sub_u32_e32 v6, 0xffffff80, v10
	v_lshl_add_u32 v6, v6, 4, v1
	s_waitcnt vmcnt(0)
	ds_write_b128 v6, v[2:5] offset:4080
	v_pk_mov_b32 v[2:3], 0, 0
	v_cmp_gt_u32_e32 vcc, 8, v10
	v_pk_mov_b32 v[4:5], v[2:3], v[2:3] op_sel:[0,1]
	v_pk_mov_b32 v[6:7], v[2:3], v[2:3] op_sel:[0,1]
	s_and_saveexec_b64 s[8:9], vcc
	s_cbranch_execz .LBB258_33
; %bb.32:
	v_mov_b32_e32 v4, 0x70
	v_mad_i64_i32 v[4:5], s[22:23], s18, v4, v[12:13]
	global_load_dwordx4 v[4:7], v[4:5], off
.LBB258_33:
	s_or_b64 exec, exec, s[8:9]
	v_sub_u32_e32 v11, 0xffffff90, v10
	v_lshl_add_u32 v11, v11, 4, v1
	s_waitcnt vmcnt(0)
	ds_write_b128 v11, v[4:7] offset:4080
	v_cmp_gt_u32_e32 vcc, 7, v10
	v_pk_mov_b32 v[4:5], v[2:3], v[2:3] op_sel:[0,1]
	s_and_saveexec_b64 s[8:9], vcc
	s_cbranch_execz .LBB258_35
; %bb.34:
	v_mov_b32_e32 v2, 0x60
	v_mad_i64_i32 v[2:3], s[22:23], s18, v2, v[12:13]
	global_load_dwordx4 v[2:5], v[2:3], off
.LBB258_35:
	s_or_b64 exec, exec, s[8:9]
	v_sub_u32_e32 v6, 0xffffffa0, v10
	v_lshl_add_u32 v6, v6, 4, v1
	s_waitcnt vmcnt(0)
	ds_write_b128 v6, v[2:5] offset:4080
	v_pk_mov_b32 v[2:3], 0, 0
	v_cmp_gt_u32_e32 vcc, 6, v10
	v_pk_mov_b32 v[4:5], v[2:3], v[2:3] op_sel:[0,1]
	v_pk_mov_b32 v[6:7], v[2:3], v[2:3] op_sel:[0,1]
	s_and_saveexec_b64 s[8:9], vcc
	s_cbranch_execz .LBB258_37
; %bb.36:
	v_mov_b32_e32 v4, 0x50
	v_mad_i64_i32 v[4:5], s[22:23], s18, v4, v[12:13]
	global_load_dwordx4 v[4:7], v[4:5], off
.LBB258_37:
	s_or_b64 exec, exec, s[8:9]
	v_sub_u32_e32 v11, 0xffffffb0, v10
	v_lshl_add_u32 v11, v11, 4, v1
	s_waitcnt vmcnt(0)
	ds_write_b128 v11, v[4:7] offset:4080
	v_cmp_gt_u32_e32 vcc, 5, v10
	v_pk_mov_b32 v[4:5], v[2:3], v[2:3] op_sel:[0,1]
	s_and_saveexec_b64 s[8:9], vcc
	s_cbranch_execz .LBB258_39
; %bb.38:
	s_lshl_b64 s[22:23], s[18:19], 6
	v_mov_b32_e32 v3, s23
	v_add_co_u32_e32 v2, vcc, s22, v12
	v_addc_co_u32_e32 v3, vcc, v13, v3, vcc
	global_load_dwordx4 v[2:5], v[2:3], off
.LBB258_39:
	s_or_b64 exec, exec, s[8:9]
	v_sub_u32_e32 v6, 0xffffffc0, v10
	v_lshl_add_u32 v6, v6, 4, v1
	s_waitcnt vmcnt(0)
	ds_write_b128 v6, v[2:5] offset:4080
	v_pk_mov_b32 v[2:3], 0, 0
	v_cmp_gt_u32_e32 vcc, 4, v10
	v_pk_mov_b32 v[4:5], v[2:3], v[2:3] op_sel:[0,1]
	v_pk_mov_b32 v[6:7], v[2:3], v[2:3] op_sel:[0,1]
	s_and_saveexec_b64 s[8:9], vcc
	s_cbranch_execz .LBB258_41
; %bb.40:
	v_mad_i64_i32 v[4:5], s[22:23], s18, 48, v[12:13]
	global_load_dwordx4 v[4:7], v[4:5], off
.LBB258_41:
	s_or_b64 exec, exec, s[8:9]
	v_sub_u32_e32 v11, 0xffffffd0, v10
	v_lshl_add_u32 v11, v11, 4, v1
	s_waitcnt vmcnt(0)
	ds_write_b128 v11, v[4:7] offset:4080
	v_cmp_gt_u32_e32 vcc, 3, v10
	v_pk_mov_b32 v[4:5], v[2:3], v[2:3] op_sel:[0,1]
	s_and_saveexec_b64 s[8:9], vcc
	s_cbranch_execz .LBB258_43
; %bb.42:
	s_lshl_b64 s[22:23], s[18:19], 5
	v_mov_b32_e32 v3, s23
	v_add_co_u32_e32 v2, vcc, s22, v12
	v_addc_co_u32_e32 v3, vcc, v13, v3, vcc
	global_load_dwordx4 v[2:5], v[2:3], off
.LBB258_43:
	s_or_b64 exec, exec, s[8:9]
	v_sub_u32_e32 v6, 0xffffffe0, v10
	v_lshl_add_u32 v6, v6, 4, v1
	s_waitcnt vmcnt(0)
	ds_write_b128 v6, v[2:5] offset:4080
	v_pk_mov_b32 v[2:3], 0, 0
	v_cmp_gt_u32_e32 vcc, 2, v10
	v_pk_mov_b32 v[4:5], v[2:3], v[2:3] op_sel:[0,1]
	v_pk_mov_b32 v[6:7], v[2:3], v[2:3] op_sel:[0,1]
	s_and_saveexec_b64 s[8:9], vcc
	s_cbranch_execz .LBB258_45
; %bb.44:
	v_mov_b32_e32 v5, s21
	v_add_co_u32_e32 v4, vcc, s20, v12
	v_addc_co_u32_e32 v5, vcc, v13, v5, vcc
	global_load_dwordx4 v[4:7], v[4:5], off
.LBB258_45:
	s_or_b64 exec, exec, s[8:9]
	v_sub_u32_e32 v11, -16, v10
	v_lshl_add_u32 v11, v11, 4, v1
	s_waitcnt vmcnt(0)
	ds_write_b128 v11, v[4:7] offset:4080
	v_cmp_eq_u32_e32 vcc, 0, v10
	s_mov_b64 s[8:9], 0
	v_pk_mov_b32 v[4:5], v[2:3], v[2:3] op_sel:[0,1]
	s_and_saveexec_b64 s[22:23], vcc
	s_cbranch_execz .LBB258_47
; %bb.46:
	global_load_dwordx4 v[2:5], v[12:13], off
.LBB258_47:
	s_or_b64 exec, exec, s[22:23]
	v_lshlrev_b32_e32 v6, 4, v10
	v_sub_u32_e32 v6, v1, v6
	s_waitcnt vmcnt(0)
	ds_write_b128 v6, v[2:5] offset:4080
.LBB258_48:
	s_and_b64 vcc, exec, s[8:9]
	s_cbranch_vccz .LBB258_80
; %bb.49:
	v_mov_b32_e32 v11, 0
	v_mov_b32_e32 v2, s26
	v_add_co_u32_e32 v4, vcc, s25, v8
	v_addc_co_u32_e32 v5, vcc, v2, v9, vcc
	v_lshlrev_b64 v[2:3], 4, v[10:11]
	v_add_co_u32_e32 v8, vcc, v4, v2
	v_addc_co_u32_e32 v9, vcc, v5, v3, vcc
	global_load_dwordx4 v[12:15], v[8:9], off
	v_pk_mov_b32 v[2:3], 0, 0
	v_lshl_add_u32 v11, v10, 4, v1
	v_cmp_ne_u32_e32 vcc, 0, v10
	v_pk_mov_b32 v[4:5], v[2:3], v[2:3] op_sel:[0,1]
	v_pk_mov_b32 v[6:7], v[2:3], v[2:3] op_sel:[0,1]
	s_waitcnt vmcnt(0)
	ds_write_b128 v11, v[12:15]
	s_and_saveexec_b64 s[8:9], vcc
	s_cbranch_execz .LBB258_51
; %bb.50:
	v_mov_b32_e32 v5, s21
	v_add_co_u32_e32 v4, vcc, s20, v8
	v_addc_co_u32_e32 v5, vcc, v9, v5, vcc
	global_load_dwordx4 v[4:7], v[4:5], off
.LBB258_51:
	s_or_b64 exec, exec, s[8:9]
	s_waitcnt vmcnt(0)
	ds_write_b128 v11, v[4:7] offset:256
	v_cmp_lt_u32_e32 vcc, 1, v10
	v_pk_mov_b32 v[4:5], v[2:3], v[2:3] op_sel:[0,1]
	s_and_saveexec_b64 s[8:9], vcc
	s_cbranch_execz .LBB258_53
; %bb.52:
	s_lshl_b64 s[20:21], s[18:19], 5
	v_mov_b32_e32 v3, s21
	v_add_co_u32_e32 v2, vcc, s20, v8
	v_addc_co_u32_e32 v3, vcc, v9, v3, vcc
	global_load_dwordx4 v[2:5], v[2:3], off
.LBB258_53:
	s_or_b64 exec, exec, s[8:9]
	s_waitcnt vmcnt(0)
	ds_write_b128 v11, v[2:5] offset:512
	v_pk_mov_b32 v[2:3], 0, 0
	v_cmp_lt_u32_e32 vcc, 2, v10
	v_pk_mov_b32 v[4:5], v[2:3], v[2:3] op_sel:[0,1]
	v_pk_mov_b32 v[6:7], v[2:3], v[2:3] op_sel:[0,1]
	s_and_saveexec_b64 s[8:9], vcc
	s_cbranch_execz .LBB258_55
; %bb.54:
	v_mad_i64_i32 v[4:5], s[20:21], s18, 48, v[8:9]
	global_load_dwordx4 v[4:7], v[4:5], off
.LBB258_55:
	s_or_b64 exec, exec, s[8:9]
	s_waitcnt vmcnt(0)
	ds_write_b128 v11, v[4:7] offset:768
	v_cmp_lt_u32_e32 vcc, 3, v10
	v_pk_mov_b32 v[4:5], v[2:3], v[2:3] op_sel:[0,1]
	s_and_saveexec_b64 s[8:9], vcc
	s_cbranch_execz .LBB258_57
; %bb.56:
	s_lshl_b64 s[20:21], s[18:19], 6
	v_mov_b32_e32 v3, s21
	v_add_co_u32_e32 v2, vcc, s20, v8
	v_addc_co_u32_e32 v3, vcc, v9, v3, vcc
	global_load_dwordx4 v[2:5], v[2:3], off
.LBB258_57:
	s_or_b64 exec, exec, s[8:9]
	s_waitcnt vmcnt(0)
	ds_write_b128 v11, v[2:5] offset:1024
	v_pk_mov_b32 v[2:3], 0, 0
	v_cmp_lt_u32_e32 vcc, 4, v10
	v_pk_mov_b32 v[4:5], v[2:3], v[2:3] op_sel:[0,1]
	v_pk_mov_b32 v[6:7], v[2:3], v[2:3] op_sel:[0,1]
	s_and_saveexec_b64 s[8:9], vcc
	s_cbranch_execz .LBB258_59
; %bb.58:
	v_mov_b32_e32 v4, 0x50
	v_mad_i64_i32 v[4:5], s[20:21], s18, v4, v[8:9]
	global_load_dwordx4 v[4:7], v[4:5], off
.LBB258_59:
	s_or_b64 exec, exec, s[8:9]
	s_waitcnt vmcnt(0)
	ds_write_b128 v11, v[4:7] offset:1280
	v_cmp_lt_u32_e32 vcc, 5, v10
	v_pk_mov_b32 v[4:5], v[2:3], v[2:3] op_sel:[0,1]
	s_and_saveexec_b64 s[8:9], vcc
	s_cbranch_execz .LBB258_61
; %bb.60:
	v_mov_b32_e32 v2, 0x60
	v_mad_i64_i32 v[2:3], s[20:21], s18, v2, v[8:9]
	global_load_dwordx4 v[2:5], v[2:3], off
.LBB258_61:
	s_or_b64 exec, exec, s[8:9]
	s_waitcnt vmcnt(0)
	ds_write_b128 v11, v[2:5] offset:1536
	v_pk_mov_b32 v[2:3], 0, 0
	v_cmp_lt_u32_e32 vcc, 6, v10
	v_pk_mov_b32 v[4:5], v[2:3], v[2:3] op_sel:[0,1]
	v_pk_mov_b32 v[6:7], v[2:3], v[2:3] op_sel:[0,1]
	s_and_saveexec_b64 s[8:9], vcc
	s_cbranch_execz .LBB258_63
; %bb.62:
	v_mov_b32_e32 v4, 0x70
	v_mad_i64_i32 v[4:5], s[20:21], s18, v4, v[8:9]
	global_load_dwordx4 v[4:7], v[4:5], off
.LBB258_63:
	s_or_b64 exec, exec, s[8:9]
	s_waitcnt vmcnt(0)
	ds_write_b128 v11, v[4:7] offset:1792
	v_cmp_lt_u32_e32 vcc, 7, v10
	v_pk_mov_b32 v[4:5], v[2:3], v[2:3] op_sel:[0,1]
	s_and_saveexec_b64 s[8:9], vcc
	s_cbranch_execz .LBB258_65
; %bb.64:
	s_lshl_b64 s[20:21], s[18:19], 7
	v_mov_b32_e32 v3, s21
	v_add_co_u32_e32 v2, vcc, s20, v8
	v_addc_co_u32_e32 v3, vcc, v9, v3, vcc
	global_load_dwordx4 v[2:5], v[2:3], off
.LBB258_65:
	s_or_b64 exec, exec, s[8:9]
	s_waitcnt vmcnt(0)
	ds_write_b128 v11, v[2:5] offset:2048
	v_pk_mov_b32 v[2:3], 0, 0
	v_cmp_lt_u32_e32 vcc, 8, v10
	v_pk_mov_b32 v[4:5], v[2:3], v[2:3] op_sel:[0,1]
	v_pk_mov_b32 v[6:7], v[2:3], v[2:3] op_sel:[0,1]
	s_and_saveexec_b64 s[8:9], vcc
	s_cbranch_execz .LBB258_67
; %bb.66:
	v_mov_b32_e32 v4, 0x90
	v_mad_i64_i32 v[4:5], s[20:21], s18, v4, v[8:9]
	global_load_dwordx4 v[4:7], v[4:5], off
.LBB258_67:
	s_or_b64 exec, exec, s[8:9]
	s_waitcnt vmcnt(0)
	ds_write_b128 v11, v[4:7] offset:2304
	v_cmp_lt_u32_e32 vcc, 9, v10
	v_pk_mov_b32 v[4:5], v[2:3], v[2:3] op_sel:[0,1]
	s_and_saveexec_b64 s[8:9], vcc
	s_cbranch_execz .LBB258_69
; %bb.68:
	v_mov_b32_e32 v2, 0xa0
	v_mad_i64_i32 v[2:3], s[20:21], s18, v2, v[8:9]
	global_load_dwordx4 v[2:5], v[2:3], off
.LBB258_69:
	s_or_b64 exec, exec, s[8:9]
	s_waitcnt vmcnt(0)
	ds_write_b128 v11, v[2:5] offset:2560
	v_pk_mov_b32 v[2:3], 0, 0
	v_cmp_lt_u32_e32 vcc, 10, v10
	v_pk_mov_b32 v[4:5], v[2:3], v[2:3] op_sel:[0,1]
	v_pk_mov_b32 v[6:7], v[2:3], v[2:3] op_sel:[0,1]
	s_and_saveexec_b64 s[8:9], vcc
	s_cbranch_execz .LBB258_71
; %bb.70:
	v_mov_b32_e32 v4, 0xb0
	v_mad_i64_i32 v[4:5], s[20:21], s18, v4, v[8:9]
	global_load_dwordx4 v[4:7], v[4:5], off
.LBB258_71:
	s_or_b64 exec, exec, s[8:9]
	s_waitcnt vmcnt(0)
	ds_write_b128 v11, v[4:7] offset:2816
	v_cmp_lt_u32_e32 vcc, 11, v10
	v_pk_mov_b32 v[4:5], v[2:3], v[2:3] op_sel:[0,1]
	s_and_saveexec_b64 s[8:9], vcc
	s_cbranch_execz .LBB258_73
; %bb.72:
	v_mov_b32_e32 v2, 0xc0
	v_mad_i64_i32 v[2:3], s[20:21], s18, v2, v[8:9]
	global_load_dwordx4 v[2:5], v[2:3], off
.LBB258_73:
	;; [unrolled: 26-line block ×3, first 2 shown]
	s_or_b64 exec, exec, s[8:9]
	s_waitcnt vmcnt(0)
	ds_write_b128 v11, v[2:5] offset:3584
	v_pk_mov_b32 v[2:3], 0, 0
	v_cmp_lt_u32_e32 vcc, 14, v10
	v_pk_mov_b32 v[4:5], v[2:3], v[2:3] op_sel:[0,1]
	s_and_saveexec_b64 s[8:9], vcc
	s_cbranch_execz .LBB258_79
; %bb.78:
	v_mov_b32_e32 v2, 0xf0
	v_mad_i64_i32 v[2:3], s[18:19], s18, v2, v[8:9]
	global_load_dwordx4 v[2:5], v[2:3], off
.LBB258_79:
	s_or_b64 exec, exec, s[8:9]
	s_waitcnt vmcnt(0)
	ds_write_b128 v11, v[2:5] offset:3840
.LBB258_80:
	s_or_b64 exec, exec, s[4:5]
	s_waitcnt lgkmcnt(0)
	s_barrier
	s_and_saveexec_b64 s[8:9], s[2:3]
	s_cbranch_execz .LBB258_91
; %bb.81:
	v_mul_i32_i24_e32 v2, 0x110, v10
	s_cmpk_eq_i32 s17, 0x84
	v_add_u32_e32 v11, v1, v2
	s_cbranch_scc1 .LBB258_89
; %bb.82:
	ds_read_b128 v[2:5], v11
	v_mov_b32_e32 v6, 0
	v_pk_mov_b32 v[8:9], 0, 0
	v_mov_b32_e32 v7, 0x3ff00000
	s_waitcnt lgkmcnt(0)
	v_cmp_neq_f64_e32 vcc, 0, v[2:3]
	v_cmp_neq_f64_e64 s[4:5], 0, v[4:5]
	s_or_b64 s[18:19], vcc, s[4:5]
	s_and_saveexec_b64 s[4:5], s[18:19]
	s_cbranch_execz .LBB258_88
; %bb.83:
	v_xor_b32_e32 v6, 0x80000000, v3
	v_cmp_gt_f64_e32 vcc, 0, v[2:3]
	v_cndmask_b32_e32 v7, v3, v6, vcc
	v_cndmask_b32_e32 v6, v2, v2, vcc
	v_xor_b32_e32 v8, 0x80000000, v5
	v_cmp_gt_f64_e32 vcc, 0, v[4:5]
	v_cndmask_b32_e32 v9, v5, v8, vcc
	v_cndmask_b32_e32 v8, v4, v4, vcc
	v_cmp_ngt_f64_e32 vcc, v[6:7], v[8:9]
                                        ; implicit-def: $vgpr8_vgpr9
	s_and_saveexec_b64 s[18:19], vcc
	s_xor_b64 s[18:19], exec, s[18:19]
	s_cbranch_execz .LBB258_85
; %bb.84:
	v_div_scale_f64 v[6:7], s[20:21], v[4:5], v[4:5], v[2:3]
	v_rcp_f64_e32 v[8:9], v[6:7]
	v_div_scale_f64 v[12:13], vcc, v[2:3], v[4:5], v[2:3]
	v_fma_f64 v[14:15], -v[6:7], v[8:9], 1.0
	v_fmac_f64_e32 v[8:9], v[8:9], v[14:15]
	v_fma_f64 v[14:15], -v[6:7], v[8:9], 1.0
	v_fmac_f64_e32 v[8:9], v[8:9], v[14:15]
	v_mul_f64 v[14:15], v[12:13], v[8:9]
	v_fma_f64 v[6:7], -v[6:7], v[14:15], v[12:13]
	v_div_fmas_f64 v[6:7], v[6:7], v[8:9], v[14:15]
	v_div_fixup_f64 v[6:7], v[6:7], v[4:5], v[2:3]
	v_fmac_f64_e32 v[4:5], v[2:3], v[6:7]
	v_div_scale_f64 v[2:3], s[20:21], v[4:5], v[4:5], 1.0
	v_rcp_f64_e32 v[8:9], v[2:3]
	v_fma_f64 v[12:13], -v[2:3], v[8:9], 1.0
	v_fmac_f64_e32 v[8:9], v[8:9], v[12:13]
	v_fma_f64 v[12:13], -v[2:3], v[8:9], 1.0
	v_fmac_f64_e32 v[8:9], v[8:9], v[12:13]
	v_div_scale_f64 v[12:13], vcc, 1.0, v[4:5], 1.0
	v_mul_f64 v[14:15], v[12:13], v[8:9]
	v_fma_f64 v[2:3], -v[2:3], v[14:15], v[12:13]
	s_nop 1
	v_div_fmas_f64 v[2:3], v[2:3], v[8:9], v[14:15]
	v_div_fixup_f64 v[8:9], v[2:3], v[4:5], 1.0
	v_mul_f64 v[6:7], v[6:7], v[8:9]
	v_xor_b32_e32 v9, 0x80000000, v9
                                        ; implicit-def: $vgpr2_vgpr3
.LBB258_85:
	s_andn2_saveexec_b64 s[18:19], s[18:19]
	s_cbranch_execz .LBB258_87
; %bb.86:
	v_div_scale_f64 v[6:7], s[20:21], v[2:3], v[2:3], v[4:5]
	v_rcp_f64_e32 v[8:9], v[6:7]
	v_div_scale_f64 v[12:13], vcc, v[4:5], v[2:3], v[4:5]
	v_fma_f64 v[14:15], -v[6:7], v[8:9], 1.0
	v_fmac_f64_e32 v[8:9], v[8:9], v[14:15]
	v_fma_f64 v[14:15], -v[6:7], v[8:9], 1.0
	v_fmac_f64_e32 v[8:9], v[8:9], v[14:15]
	v_mul_f64 v[14:15], v[12:13], v[8:9]
	v_fma_f64 v[6:7], -v[6:7], v[14:15], v[12:13]
	v_div_fmas_f64 v[6:7], v[6:7], v[8:9], v[14:15]
	v_div_fixup_f64 v[8:9], v[6:7], v[2:3], v[4:5]
	v_fmac_f64_e32 v[2:3], v[4:5], v[8:9]
	v_div_scale_f64 v[4:5], s[20:21], v[2:3], v[2:3], 1.0
	v_rcp_f64_e32 v[6:7], v[4:5]
	v_fma_f64 v[12:13], -v[4:5], v[6:7], 1.0
	v_fmac_f64_e32 v[6:7], v[6:7], v[12:13]
	v_fma_f64 v[12:13], -v[4:5], v[6:7], 1.0
	v_fmac_f64_e32 v[6:7], v[6:7], v[12:13]
	v_div_scale_f64 v[12:13], vcc, 1.0, v[2:3], 1.0
	v_mul_f64 v[14:15], v[12:13], v[6:7]
	v_fma_f64 v[4:5], -v[4:5], v[14:15], v[12:13]
	s_nop 1
	v_div_fmas_f64 v[4:5], v[4:5], v[6:7], v[14:15]
	v_div_fixup_f64 v[6:7], v[4:5], v[2:3], 1.0
	v_mul_f64 v[8:9], v[8:9], -v[6:7]
.LBB258_87:
	s_or_b64 exec, exec, s[18:19]
.LBB258_88:
	s_or_b64 exec, exec, s[4:5]
	s_branch .LBB258_90
.LBB258_89:
	v_mov_b32_e32 v6, 0
	v_mov_b32_e32 v7, 0x3ff00000
	v_pk_mov_b32 v[8:9], 0, 0
.LBB258_90:
	ds_write_b128 v11, v[6:9]
.LBB258_91:
	s_or_b64 exec, exec, s[8:9]
	s_waitcnt lgkmcnt(0)
	s_barrier
	s_and_saveexec_b64 s[4:5], s[2:3]
	s_cbranch_execz .LBB258_113
; %bb.92:
	v_lshl_add_u32 v6, v10, 4, v1
	v_mul_i32_i24_e32 v2, 0x110, v10
	v_add_u32_e32 v7, 16, v1
	v_add_u32_e32 v8, 0x100, v6
	;; [unrolled: 1-line block ×4, first 2 shown]
	s_mov_b32 s17, 0
	v_add_u32_e32 v12, v1, v2
	s_branch .LBB258_94
.LBB258_93:                             ;   in Loop: Header=BB258_94 Depth=1
	v_add_u32_e32 v7, 32, v7
	v_add_u32_e32 v8, 0x200, v8
	;; [unrolled: 1-line block ×3, first 2 shown]
	s_cmp_eq_u32 s17, 16
	v_add_u32_e32 v11, 0x200, v11
	s_cbranch_scc1 .LBB258_113
.LBB258_94:                             ; =>This Loop Header: Depth=1
                                        ;     Child Loop BB258_100 Depth 2
                                        ;     Child Loop BB258_109 Depth 2
	v_cmp_ge_i32_e32 vcc, s17, v10
                                        ; implicit-def: $sgpr18_sgpr19
                                        ; implicit-def: $sgpr20
	s_and_saveexec_b64 s[8:9], vcc
	s_xor_b64 s[8:9], exec, s[8:9]
; %bb.95:                               ;   in Loop: Header=BB258_94 Depth=1
	s_lshl_b32 s20, s17, 8
	s_mov_b64 s[18:19], 0
; %bb.96:                               ;   in Loop: Header=BB258_94 Depth=1
	s_or_saveexec_b64 s[8:9], s[8:9]
	v_mov_b32_e32 v14, s20
	v_pk_mov_b32 v[2:3], s[18:19], s[18:19] op_sel:[0,1]
	v_pk_mov_b32 v[4:5], s[18:19], s[18:19] op_sel:[0,1]
	s_xor_b64 exec, exec, s[8:9]
	s_cbranch_execz .LBB258_98
; %bb.97:                               ;   in Loop: Header=BB258_94 Depth=1
	s_mul_i32 s19, s17, 0x110
	s_lshl_b32 s18, s17, 8
	v_add_u32_e32 v2, s19, v1
	v_add_u32_e32 v13, s18, v6
	ds_read_b128 v[2:5], v2
	ds_read_b128 v[14:17], v13
	s_waitcnt lgkmcnt(0)
	v_mul_f64 v[18:19], v[4:5], v[16:17]
	v_mul_f64 v[16:17], v[2:3], v[16:17]
	v_fma_f64 v[2:3], v[2:3], v[14:15], -v[18:19]
	v_fmac_f64_e32 v[16:17], v[4:5], v[14:15]
	v_add_f64 v[2:3], v[2:3], 0
	v_add_f64 v[4:5], v[16:17], 0
	v_mov_b32_e32 v14, s18
.LBB258_98:                             ;   in Loop: Header=BB258_94 Depth=1
	s_or_b64 exec, exec, s[8:9]
	s_or_b32 s18, s17, 1
	v_add_u32_e32 v13, v7, v14
	v_add_u32_e32 v14, v6, v14
	v_mov_b32_e32 v15, v8
	s_mov_b32 s19, s18
	s_branch .LBB258_100
.LBB258_99:                             ;   in Loop: Header=BB258_100 Depth=2
	s_or_b64 exec, exec, s[8:9]
	s_add_i32 s8, s19, 1
	v_add_u32_e32 v13, 16, v13
	v_add_u32_e32 v15, 0x100, v15
	s_cmp_gt_u32 s19, 14
	s_mov_b32 s19, s8
	s_cbranch_scc1 .LBB258_104
.LBB258_100:                            ;   Parent Loop BB258_94 Depth=1
                                        ; =>  This Inner Loop Header: Depth=2
	v_cmp_eq_u32_e32 vcc, s19, v10
	s_and_saveexec_b64 s[8:9], vcc
	s_cbranch_execz .LBB258_102
; %bb.101:                              ;   in Loop: Header=BB258_100 Depth=2
	ds_read_b128 v[16:19], v12
	v_add_f64 v[22:23], -v[2:3], 0
	s_waitcnt lgkmcnt(0)
	v_mul_f64 v[20:21], v[4:5], v[18:19]
	v_mul_f64 v[24:25], v[4:5], v[16:17]
	v_fmac_f64_e32 v[20:21], v[22:23], v[16:17]
	v_fma_f64 v[22:23], v[22:23], v[18:19], -v[24:25]
	ds_write_b128 v14, v[20:23]
.LBB258_102:                            ;   in Loop: Header=BB258_100 Depth=2
	s_or_b64 exec, exec, s[8:9]
	v_cmp_lt_i32_e32 vcc, s19, v10
	s_and_saveexec_b64 s[8:9], vcc
	s_cbranch_execz .LBB258_99
; %bb.103:                              ;   in Loop: Header=BB258_100 Depth=2
	ds_read_b128 v[16:19], v13
	ds_read_b128 v[20:23], v15
	s_waitcnt lgkmcnt(0)
	v_mul_f64 v[24:25], v[18:19], v[22:23]
	v_mul_f64 v[22:23], v[16:17], v[22:23]
	v_fma_f64 v[16:17], v[16:17], v[20:21], -v[24:25]
	v_fmac_f64_e32 v[22:23], v[18:19], v[20:21]
	v_add_f64 v[2:3], v[2:3], v[16:17]
	v_add_f64 v[4:5], v[4:5], v[22:23]
	s_branch .LBB258_99
.LBB258_104:                            ;   in Loop: Header=BB258_94 Depth=1
	v_pk_mov_b32 v[2:3], 0, 0
	v_cmp_lt_i32_e32 vcc, s18, v10
	v_pk_mov_b32 v[4:5], v[2:3], v[2:3] op_sel:[0,1]
	s_and_saveexec_b64 s[8:9], vcc
	s_cbranch_execz .LBB258_106
; %bb.105:                              ;   in Loop: Header=BB258_94 Depth=1
	s_mul_i32 s19, s18, 0x110
	v_add_u32_e32 v2, s19, v1
	v_lshl_add_u32 v13, s18, 8, v6
	ds_read_b128 v[2:5], v2
	ds_read_b128 v[14:17], v13
	s_waitcnt lgkmcnt(0)
	v_mul_f64 v[18:19], v[4:5], v[16:17]
	v_mul_f64 v[16:17], v[2:3], v[16:17]
	v_fma_f64 v[2:3], v[2:3], v[14:15], -v[18:19]
	v_fmac_f64_e32 v[16:17], v[4:5], v[14:15]
	v_add_f64 v[2:3], v[2:3], 0
	v_add_f64 v[4:5], v[16:17], 0
.LBB258_106:                            ;   in Loop: Header=BB258_94 Depth=1
	s_or_b64 exec, exec, s[8:9]
	s_add_i32 s17, s17, 2
	s_cmp_gt_u32 s18, 14
	s_cbranch_scc1 .LBB258_93
; %bb.107:                              ;   in Loop: Header=BB258_94 Depth=1
	s_lshl_b32 s18, s18, 8
	v_mov_b32_e32 v13, v11
	v_mov_b32_e32 v14, v9
	s_mov_b32 s19, s17
	s_branch .LBB258_109
.LBB258_108:                            ;   in Loop: Header=BB258_109 Depth=2
	s_or_b64 exec, exec, s[8:9]
	s_add_i32 s8, s19, 1
	v_add_u32_e32 v14, 16, v14
	v_add_u32_e32 v13, 0x100, v13
	s_cmp_lt_u32 s19, 15
	s_mov_b32 s19, s8
	s_cbranch_scc0 .LBB258_93
.LBB258_109:                            ;   Parent Loop BB258_94 Depth=1
                                        ; =>  This Inner Loop Header: Depth=2
	v_cmp_eq_u32_e32 vcc, s19, v10
	s_and_saveexec_b64 s[8:9], vcc
	s_cbranch_execz .LBB258_111
; %bb.110:                              ;   in Loop: Header=BB258_109 Depth=2
	ds_read_b128 v[16:19], v12
	v_add_f64 v[22:23], -v[2:3], 0
	v_add_u32_e32 v15, s18, v6
	s_waitcnt lgkmcnt(0)
	v_mul_f64 v[20:21], v[4:5], v[18:19]
	v_mul_f64 v[24:25], v[4:5], v[16:17]
	v_fmac_f64_e32 v[20:21], v[22:23], v[16:17]
	v_fma_f64 v[22:23], v[22:23], v[18:19], -v[24:25]
	ds_write_b128 v15, v[20:23]
.LBB258_111:                            ;   in Loop: Header=BB258_109 Depth=2
	s_or_b64 exec, exec, s[8:9]
	v_cmp_lt_i32_e32 vcc, s19, v10
	s_and_saveexec_b64 s[8:9], vcc
	s_cbranch_execz .LBB258_108
; %bb.112:                              ;   in Loop: Header=BB258_109 Depth=2
	ds_read_b128 v[16:19], v14
	ds_read_b128 v[20:23], v13
	s_waitcnt lgkmcnt(0)
	v_mul_f64 v[24:25], v[18:19], v[22:23]
	v_mul_f64 v[22:23], v[16:17], v[22:23]
	v_fma_f64 v[16:17], v[16:17], v[20:21], -v[24:25]
	v_fmac_f64_e32 v[22:23], v[18:19], v[20:21]
	v_add_f64 v[2:3], v[2:3], v[16:17]
	v_add_f64 v[4:5], v[4:5], v[22:23]
	s_branch .LBB258_108
.LBB258_113:
	s_or_b64 exec, exec, s[4:5]
	s_cmpk_lg_i32 s16, 0x7a
	s_cselect_b64 s[8:9], -1, 0
	s_movk_i32 s4, 0x100
	v_and_b32_e32 v6, 15, v0
	v_lshrrev_b32_e32 v7, 4, v0
	v_cmp_gt_u32_e64 s[4:5], s4, v0
	s_and_b64 vcc, exec, s[8:9]
	s_waitcnt lgkmcnt(0)
	s_barrier
	s_cbranch_vccz .LBB258_124
; %bb.114:
	s_mov_b64 s[16:17], 0
	s_mov_b64 s[20:21], 0
                                        ; implicit-def: $vgpr4_vgpr5
	s_and_saveexec_b64 s[18:19], s[4:5]
	s_cbranch_execz .LBB258_125
; %bb.115:
	v_and_b32_e32 v2, 0xf0, v0
	v_xor_b32_e32 v8, 0xff, v2
	s_movk_i32 s20, 0x6f
	v_pk_mov_b32 v[2:3], 0, 0
	v_add_u32_e32 v11, 1, v7
	v_cmp_lt_u32_e32 vcc, s20, v0
	v_mov_b32_e32 v9, 0
	v_pk_mov_b32 v[4:5], v[2:3], v[2:3] op_sel:[0,1]
	s_and_saveexec_b64 s[20:21], vcc
	s_cbranch_execz .LBB258_119
; %bb.116:
	v_mov_b32_e32 v2, 0x2f90
	v_pk_mov_b32 v[4:5], 0, 0
	v_and_b32_e32 v9, 24, v11
	v_lshlrev_b32_e32 v12, 4, v6
	v_lshl_add_u32 v13, v8, 4, v2
	s_mov_b64 s[22:23], 0
	s_mov_b32 s25, 0
	v_pk_mov_b32 v[2:3], v[4:5], v[4:5] op_sel:[0,1]
.LBB258_117:                            ; =>This Inner Loop Header: Depth=1
	ds_read_b128 v[14:17], v13 offset:112
	ds_read_b128 v[18:21], v13 offset:96
	ds_read_b128 v[22:25], v12
	ds_read_b128 v[26:29], v12 offset:256
	ds_read_b128 v[30:33], v13 offset:80
	;; [unrolled: 1-line block ×5, first 2 shown]
	ds_read_b128 v[46:49], v13
	ds_read_b128 v[50:53], v13 offset:16
	ds_read_b128 v[54:57], v13 offset:32
	;; [unrolled: 1-line block ×7, first 2 shown]
	s_waitcnt lgkmcnt(13)
	v_mul_f64 v[78:79], v[16:17], v[24:25]
	v_mul_f64 v[24:25], v[14:15], v[24:25]
	s_waitcnt lgkmcnt(12)
	v_mul_f64 v[80:81], v[20:21], v[28:29]
	v_mul_f64 v[28:29], v[18:19], v[28:29]
	v_fma_f64 v[14:15], v[14:15], v[22:23], -v[78:79]
	v_fmac_f64_e32 v[24:25], v[16:17], v[22:23]
	s_waitcnt lgkmcnt(9)
	v_mul_f64 v[82:83], v[32:33], v[40:41]
	v_mul_f64 v[40:41], v[30:31], v[40:41]
	v_fma_f64 v[16:17], v[18:19], v[26:27], -v[80:81]
	v_fmac_f64_e32 v[28:29], v[20:21], v[26:27]
	v_add_f64 v[2:3], v[2:3], v[14:15]
	v_add_f64 v[4:5], v[4:5], v[24:25]
	s_waitcnt lgkmcnt(8)
	v_mul_f64 v[84:85], v[36:37], v[44:45]
	v_mul_f64 v[44:45], v[34:35], v[44:45]
	v_fma_f64 v[18:19], v[30:31], v[38:39], -v[82:83]
	v_fmac_f64_e32 v[40:41], v[32:33], v[38:39]
	v_add_f64 v[2:3], v[2:3], v[16:17]
	v_add_f64 v[4:5], v[4:5], v[28:29]
	;; [unrolled: 7-line block ×5, first 2 shown]
	s_add_i32 s25, s25, 8
	s_waitcnt lgkmcnt(0)
	v_mul_f64 v[92:93], v[48:49], v[76:77]
	v_mul_f64 v[76:77], v[46:47], v[76:77]
	v_fma_f64 v[30:31], v[50:51], v[70:71], -v[90:91]
	v_fmac_f64_e32 v[72:73], v[52:53], v[70:71]
	v_add_f64 v[2:3], v[2:3], v[26:27]
	v_add_f64 v[4:5], v[4:5], v[68:69]
	v_cmp_eq_u32_e32 vcc, s25, v9
	v_fma_f64 v[32:33], v[46:47], v[74:75], -v[92:93]
	v_fmac_f64_e32 v[76:77], v[48:49], v[74:75]
	v_add_f64 v[2:3], v[2:3], v[30:31]
	v_add_f64 v[4:5], v[4:5], v[72:73]
	v_add_u32_e32 v12, 0x800, v12
	v_add_u32_e32 v13, 0xffffff80, v13
	s_or_b64 s[22:23], vcc, s[22:23]
	v_add_f64 v[2:3], v[2:3], v[32:33]
	v_add_f64 v[4:5], v[4:5], v[76:77]
	s_andn2_b64 exec, exec, s[22:23]
	s_cbranch_execnz .LBB258_117
; %bb.118:
	s_or_b64 exec, exec, s[22:23]
.LBB258_119:
	s_or_b64 exec, exec, s[20:21]
	v_and_b32_e32 v11, 7, v11
	v_cmp_ne_u32_e32 vcc, 0, v11
	s_and_saveexec_b64 s[20:21], vcc
	s_cbranch_execz .LBB258_123
; %bb.120:
	v_lshlrev_b32_e32 v8, 4, v8
	v_lshlrev_b32_e32 v12, 4, v9
	v_sub_u32_e32 v8, v8, v12
	v_lshlrev_b32_e32 v12, 4, v6
	v_add_u32_e32 v8, 0x3000, v8
	v_lshl_or_b32 v9, v9, 8, v12
	s_mov_b64 s[22:23], 0
.LBB258_121:                            ; =>This Inner Loop Header: Depth=1
	ds_read_b128 v[12:15], v8
	ds_read_b128 v[16:19], v9
	v_add_u32_e32 v11, -1, v11
	v_cmp_eq_u32_e32 vcc, 0, v11
	v_add_u32_e32 v8, -16, v8
	v_add_u32_e32 v9, 0x100, v9
	s_waitcnt lgkmcnt(0)
	v_mul_f64 v[20:21], v[14:15], v[18:19]
	v_mul_f64 v[18:19], v[12:13], v[18:19]
	v_fma_f64 v[12:13], v[12:13], v[16:17], -v[20:21]
	v_fmac_f64_e32 v[18:19], v[14:15], v[16:17]
	s_or_b64 s[22:23], vcc, s[22:23]
	v_add_f64 v[2:3], v[2:3], v[12:13]
	v_add_f64 v[4:5], v[4:5], v[18:19]
	s_andn2_b64 exec, exec, s[22:23]
	s_cbranch_execnz .LBB258_121
; %bb.122:
	s_or_b64 exec, exec, s[22:23]
.LBB258_123:
	s_or_b64 exec, exec, s[20:21]
	s_mov_b64 s[20:21], exec
	s_or_b64 exec, exec, s[18:19]
	s_and_b64 vcc, exec, s[16:17]
	s_cbranch_vccnz .LBB258_126
	s_branch .LBB258_131
.LBB258_124:
	s_mov_b64 s[20:21], 0
                                        ; implicit-def: $vgpr4_vgpr5
	s_cbranch_execnz .LBB258_126
	s_branch .LBB258_131
.LBB258_125:
	s_or_b64 exec, exec, s[18:19]
	s_and_b64 vcc, exec, s[16:17]
	s_cbranch_vccz .LBB258_131
.LBB258_126:
                                        ; implicit-def: $vgpr4_vgpr5
	s_and_saveexec_b64 s[16:17], s[4:5]
	s_cbranch_execz .LBB258_130
; %bb.127:
	v_lshlrev_b32_e32 v2, 4, v0
	v_and_b32_e32 v2, 0xf00, v2
	v_lshlrev_b32_e32 v3, 4, v7
	s_movk_i32 s18, 0x2000
	v_or3_b32 v9, v2, v3, s18
	v_lshlrev_b32_e32 v2, 4, v6
	v_pk_mov_b32 v[4:5], 0, 0
	v_add_u32_e32 v8, -1, v7
	v_lshl_or_b32 v11, v7, 8, v2
	s_mov_b64 s[18:19], 0
	v_pk_mov_b32 v[2:3], v[4:5], v[4:5] op_sel:[0,1]
.LBB258_128:                            ; =>This Inner Loop Header: Depth=1
	ds_read_b128 v[12:15], v9
	ds_read_b128 v[16:19], v11
	v_add_u32_e32 v8, 1, v8
	v_cmp_lt_u32_e32 vcc, 14, v8
	v_add_u32_e32 v9, 16, v9
	v_add_u32_e32 v11, 0x100, v11
	s_waitcnt lgkmcnt(0)
	v_mul_f64 v[20:21], v[14:15], v[18:19]
	v_mul_f64 v[18:19], v[12:13], v[18:19]
	v_fma_f64 v[12:13], v[12:13], v[16:17], -v[20:21]
	v_fmac_f64_e32 v[18:19], v[14:15], v[16:17]
	s_or_b64 s[18:19], vcc, s[18:19]
	v_add_f64 v[2:3], v[2:3], v[12:13]
	v_add_f64 v[4:5], v[4:5], v[18:19]
	s_andn2_b64 exec, exec, s[18:19]
	s_cbranch_execnz .LBB258_128
; %bb.129:
	s_or_b64 exec, exec, s[18:19]
	s_or_b64 s[20:21], s[20:21], exec
.LBB258_130:
	s_or_b64 exec, exec, s[16:17]
.LBB258_131:
	s_and_saveexec_b64 s[16:17], s[20:21]
	s_cbranch_execz .LBB258_133
; %bb.132:
	v_lshlrev_b32_e32 v8, 4, v0
	ds_write_b128 v8, v[2:5] offset:4096
.LBB258_133:
	s_or_b64 exec, exec, s[16:17]
	s_bfe_u32 s16, s6, 0x1d0002
	s_mul_i32 s6, s7, s15
	s_mul_hi_u32 s15, s7, s14
	s_add_i32 s15, s15, s6
	s_mul_i32 s14, s7, s14
	s_and_b32 s18, s24, 6
	s_lshl_b64 s[6:7], s[14:15], 4
	s_mov_b32 s17, 0
	s_add_u32 s10, s10, s6
	s_addc_u32 s11, s11, s7
	s_mul_i32 s18, s18, 0x8100
	s_lshl_b64 s[6:7], s[16:17], 18
	s_or_b32 s6, s6, s18
	s_add_u32 s10, s10, s6
	s_addc_u32 s11, s11, s7
	s_lshl_b64 s[6:7], s[12:13], 4
	s_add_u32 s14, s10, s6
	s_addc_u32 s15, s11, s7
	s_and_b64 vcc, exec, s[8:9]
	s_waitcnt lgkmcnt(0)
	s_barrier
	s_cbranch_vccz .LBB258_138
; %bb.134:
	s_mov_b64 s[10:11], 0
	s_mov_b64 s[6:7], 0
                                        ; implicit-def: $vgpr4_vgpr5
                                        ; implicit-def: $sgpr16
	s_and_saveexec_b64 s[12:13], s[4:5]
	s_cbranch_execz .LBB258_139
; %bb.135:
	v_lshlrev_b32_e32 v3, 4, v0
	v_xor_b32_e32 v2, 0xff, v6
	v_and_b32_e32 v3, 0xf00, v3
	v_lshlrev_b32_e32 v4, 4, v6
	s_movk_i32 s6, 0x1000
	v_or3_b32 v9, v3, v4, s6
	v_lshlrev_b32_e32 v2, 4, v2
	v_lshlrev_b32_e32 v3, 8, v6
	v_sub_u32_e32 v2, v2, v3
	v_or_b32_e32 v11, 0x2000, v2
	v_pk_mov_b32 v[2:3], 0, 0
	v_add_u32_e32 v8, -1, v6
	s_mov_b64 s[6:7], 0
	v_pk_mov_b32 v[4:5], v[2:3], v[2:3] op_sel:[0,1]
.LBB258_136:                            ; =>This Inner Loop Header: Depth=1
	ds_read_b128 v[12:15], v11
	ds_read_b128 v[16:19], v9
	v_add_u32_e32 v8, 1, v8
	v_cmp_lt_u32_e32 vcc, 14, v8
	v_add_u32_e32 v9, 16, v9
	v_add_u32_e32 v11, 0xffffff00, v11
	s_waitcnt lgkmcnt(0)
	v_mul_f64 v[20:21], v[12:13], v[16:17]
	v_mul_f64 v[12:13], v[12:13], v[18:19]
	v_fma_f64 v[18:19], v[14:15], v[18:19], -v[20:21]
	v_fma_f64 v[12:13], v[16:17], -v[14:15], -v[12:13]
	s_or_b64 s[6:7], vcc, s[6:7]
	v_add_f64 v[2:3], v[2:3], v[18:19]
	v_add_f64 v[4:5], v[4:5], v[12:13]
	s_andn2_b64 exec, exec, s[6:7]
	s_cbranch_execnz .LBB258_136
; %bb.137:
	s_or_b64 exec, exec, s[6:7]
	s_mov_b64 s[6:7], exec
	s_movk_i32 s16, 0x800
	s_or_b64 exec, exec, s[12:13]
	s_and_b64 vcc, exec, s[10:11]
	s_cbranch_vccnz .LBB258_140
	s_branch .LBB258_151
.LBB258_138:
	s_mov_b64 s[6:7], 0
                                        ; implicit-def: $vgpr4_vgpr5
                                        ; implicit-def: $sgpr16
	s_cbranch_execnz .LBB258_140
	s_branch .LBB258_151
.LBB258_139:
	s_or_b64 exec, exec, s[12:13]
	s_and_b64 vcc, exec, s[10:11]
	s_cbranch_vccz .LBB258_151
.LBB258_140:
                                        ; implicit-def: $vgpr4_vgpr5
                                        ; implicit-def: $sgpr16
	s_and_saveexec_b64 s[10:11], s[4:5]
	s_cbranch_execz .LBB258_150
; %bb.141:
	v_pk_mov_b32 v[4:5], 0, 0
	v_add_u32_e32 v9, 1, v6
	v_cmp_lt_u32_e32 vcc, 6, v6
	v_mov_b32_e32 v8, 0
	v_lshlrev_b32_e32 v0, 4, v0
	v_pk_mov_b32 v[2:3], v[4:5], v[4:5] op_sel:[0,1]
	s_and_saveexec_b64 s[4:5], vcc
	s_cbranch_execz .LBB258_145
; %bb.142:
	v_mov_b32_e32 v2, 0x3000
	v_lshl_or_b32 v11, v6, 4, v2
	v_and_b32_e32 v2, 0xf00, v0
	v_or_b32_e32 v12, 0x1000, v2
	v_pk_mov_b32 v[2:3], 0, 0
	v_and_b32_e32 v8, 24, v9
	s_mov_b64 s[12:13], 0
	s_mov_b32 s16, 0
	v_pk_mov_b32 v[4:5], v[2:3], v[2:3] op_sel:[0,1]
.LBB258_143:                            ; =>This Inner Loop Header: Depth=1
	ds_read_b128 v[14:17], v12
	ds_read_b128 v[18:21], v12 offset:16
	ds_read_b128 v[22:25], v12 offset:32
	;; [unrolled: 1-line block ×3, first 2 shown]
	ds_read_b128 v[30:33], v11
	ds_read_b128 v[34:37], v11 offset:256
	ds_read_b128 v[38:41], v11 offset:512
	;; [unrolled: 1-line block ×11, first 2 shown]
	s_waitcnt lgkmcnt(11)
	v_mul_f64 v[78:79], v[30:31], v[14:15]
	v_mul_f64 v[30:31], v[30:31], v[16:17]
	s_waitcnt lgkmcnt(10)
	v_mul_f64 v[80:81], v[34:35], v[18:19]
	v_mul_f64 v[34:35], v[34:35], v[20:21]
	v_fma_f64 v[16:17], v[32:33], v[16:17], -v[78:79]
	v_fma_f64 v[14:15], v[14:15], -v[32:33], -v[30:31]
	s_waitcnt lgkmcnt(9)
	v_mul_f64 v[82:83], v[38:39], v[22:23]
	v_mul_f64 v[38:39], v[38:39], v[24:25]
	v_fma_f64 v[20:21], v[36:37], v[20:21], -v[80:81]
	v_fma_f64 v[18:19], v[18:19], -v[36:37], -v[34:35]
	v_add_f64 v[2:3], v[2:3], v[16:17]
	v_add_f64 v[4:5], v[4:5], v[14:15]
	s_waitcnt lgkmcnt(8)
	v_mul_f64 v[84:85], v[42:43], v[26:27]
	v_mul_f64 v[42:43], v[42:43], v[28:29]
	v_fma_f64 v[24:25], v[40:41], v[24:25], -v[82:83]
	v_fma_f64 v[22:23], v[22:23], -v[40:41], -v[38:39]
	v_add_f64 v[2:3], v[2:3], v[20:21]
	v_add_f64 v[4:5], v[4:5], v[18:19]
	;; [unrolled: 7-line block ×5, first 2 shown]
	s_add_i32 s16, s16, 8
	s_waitcnt lgkmcnt(0)
	v_mul_f64 v[92:93], v[66:67], v[74:75]
	v_mul_f64 v[66:67], v[66:67], v[76:77]
	v_fma_f64 v[38:39], v[64:65], v[72:73], -v[90:91]
	v_fma_f64 v[40:41], v[70:71], -v[64:65], -v[62:63]
	v_add_f64 v[2:3], v[2:3], v[34:35]
	v_add_f64 v[4:5], v[4:5], v[36:37]
	v_cmp_eq_u32_e32 vcc, s16, v8
	v_fma_f64 v[42:43], v[68:69], v[76:77], -v[92:93]
	v_fma_f64 v[44:45], v[74:75], -v[68:69], -v[66:67]
	v_add_f64 v[2:3], v[2:3], v[38:39]
	v_add_f64 v[4:5], v[4:5], v[40:41]
	v_add_u32_e32 v11, 0x800, v11
	v_add_u32_e32 v12, 0x80, v12
	s_or_b64 s[12:13], vcc, s[12:13]
	v_add_f64 v[2:3], v[2:3], v[42:43]
	v_add_f64 v[4:5], v[4:5], v[44:45]
	s_andn2_b64 exec, exec, s[12:13]
	s_cbranch_execnz .LBB258_143
; %bb.144:
	s_or_b64 exec, exec, s[12:13]
.LBB258_145:
	s_or_b64 exec, exec, s[4:5]
	v_and_b32_e32 v9, 7, v9
	v_cmp_ne_u32_e32 vcc, 0, v9
	s_and_saveexec_b64 s[4:5], vcc
	s_cbranch_execz .LBB258_149
; %bb.146:
	v_and_b32_e32 v0, 0xf00, v0
	v_lshlrev_b32_e32 v11, 4, v8
	s_movk_i32 s12, 0x1000
	v_add3_u32 v0, v0, v11, s12
	v_lshlrev_b32_e32 v11, 4, v6
	v_lshl_or_b32 v8, v8, 8, v11
	v_add_u32_e32 v8, 0x3000, v8
	s_mov_b64 s[12:13], 0
.LBB258_147:                            ; =>This Inner Loop Header: Depth=1
	ds_read_b128 v[12:15], v8
	ds_read_b128 v[16:19], v0
	v_add_u32_e32 v9, -1, v9
	v_cmp_eq_u32_e32 vcc, 0, v9
	v_add_u32_e32 v0, 16, v0
	v_add_u32_e32 v8, 0x100, v8
	s_waitcnt lgkmcnt(0)
	v_mul_f64 v[20:21], v[12:13], v[16:17]
	v_mul_f64 v[12:13], v[12:13], v[18:19]
	v_fma_f64 v[18:19], v[14:15], v[18:19], -v[20:21]
	v_fma_f64 v[12:13], v[16:17], -v[14:15], -v[12:13]
	s_or_b64 s[12:13], vcc, s[12:13]
	v_add_f64 v[2:3], v[2:3], v[18:19]
	v_add_f64 v[4:5], v[4:5], v[12:13]
	s_andn2_b64 exec, exec, s[12:13]
	s_cbranch_execnz .LBB258_147
; %bb.148:
	s_or_b64 exec, exec, s[12:13]
.LBB258_149:
	s_or_b64 exec, exec, s[4:5]
	s_mov_b32 s16, 16
	s_or_b64 s[6:7], s[6:7], exec
.LBB258_150:
	s_or_b64 exec, exec, s[10:11]
.LBB258_151:
	s_and_saveexec_b64 s[4:5], s[6:7]
	s_cbranch_execnz .LBB258_153
; %bb.152:
	s_or_b64 exec, exec, s[4:5]
	s_and_saveexec_b64 s[4:5], s[2:3]
	s_cbranch_execnz .LBB258_154
	s_branch .LBB258_163
.LBB258_153:
	v_lshlrev_b32_e32 v0, 7, v7
	v_or3_b32 v6, v0, s16, v6
	v_mov_b32_e32 v7, 0
	v_lshlrev_b64 v[6:7], 4, v[6:7]
	v_mov_b32_e32 v0, s15
	v_add_co_u32_e32 v6, vcc, s14, v6
	v_addc_co_u32_e32 v7, vcc, v0, v7, vcc
	global_store_dwordx4 v[6:7], v[2:5], off
	s_or_b64 exec, exec, s[4:5]
	s_and_saveexec_b64 s[4:5], s[2:3]
	s_cbranch_execz .LBB258_163
.LBB258_154:
	v_mov_b32_e32 v0, 0x810
	v_cndmask_b32_e64 v0, v0, 0, s[0:1]
	s_andn2_b64 vcc, exec, s[8:9]
	s_mov_b64 s[0:1], -1
	s_cbranch_vccnz .LBB258_159
; %bb.155:
	s_mov_b32 s0, 16
	v_cmp_gt_i32_e32 vcc, 16, v10
	s_and_saveexec_b64 s[2:3], vcc
	s_cbranch_execz .LBB258_158
; %bb.156:
	v_lshlrev_b32_e32 v2, 4, v0
	v_mov_b32_e32 v11, 0
	v_mov_b32_e32 v3, s15
	v_add_co_u32_e32 v4, vcc, s14, v2
	v_addc_co_u32_e32 v5, vcc, 0, v3, vcc
	v_lshlrev_b64 v[2:3], 4, v[10:11]
	v_add_co_u32_e32 v2, vcc, v4, v2
	v_lshlrev_b32_e32 v4, 4, v10
	v_sub_u32_e32 v4, v1, v4
	s_mov_b32 s1, 0
	v_addc_co_u32_e32 v3, vcc, v5, v3, vcc
	v_add_u32_e32 v4, 0xf0, v4
	s_mov_b64 s[4:5], 0
.LBB258_157:                            ; =>This Inner Loop Header: Depth=1
	ds_read2_b64 v[6:9], v4 offset1:1
	s_add_i32 s0, s0, -1
	s_lshl_b64 s[6:7], s[0:1], 11
	v_cmp_le_i32_e32 vcc, s0, v10
	v_mov_b32_e32 v5, s7
	s_or_b64 s[4:5], vcc, s[4:5]
	v_add_co_u32_e32 v12, vcc, s6, v2
	v_add_u32_e32 v4, 0x100, v4
	v_addc_co_u32_e32 v13, vcc, v3, v5, vcc
	s_waitcnt lgkmcnt(0)
	global_store_dwordx4 v[12:13], v[6:9], off
	s_andn2_b64 exec, exec, s[4:5]
	s_cbranch_execnz .LBB258_157
.LBB258_158:
	s_or_b64 exec, exec, s[2:3]
	s_mov_b64 s[0:1], 0
.LBB258_159:
	s_andn2_b64 vcc, exec, s[0:1]
	s_cbranch_vccnz .LBB258_163
; %bb.160:
	v_cmp_lt_i32_e32 vcc, -1, v10
	s_and_b64 exec, exec, vcc
	s_cbranch_execz .LBB258_163
; %bb.161:
	v_lshlrev_b32_e32 v0, 4, v0
	v_lshl_add_u32 v2, v10, 4, v1
	v_mov_b32_e32 v11, 0
	v_mov_b32_e32 v1, s15
	v_add_co_u32_e32 v3, vcc, s14, v0
	v_addc_co_u32_e32 v4, vcc, 0, v1, vcc
	v_lshlrev_b64 v[0:1], 4, v[10:11]
	v_add_co_u32_e32 v0, vcc, v3, v0
	v_addc_co_u32_e32 v1, vcc, v4, v1, vcc
	v_add_u32_e32 v3, 1, v10
	s_mov_b64 s[0:1], 0
.LBB258_162:                            ; =>This Inner Loop Header: Depth=1
	ds_read2_b64 v[4:7], v2 offset1:1
	v_add_u32_e32 v3, -1, v3
	v_cmp_eq_u32_e32 vcc, 0, v3
	s_or_b64 s[0:1], vcc, s[0:1]
	v_add_u32_e32 v2, 0x100, v2
	s_waitcnt lgkmcnt(0)
	global_store_dwordx4 v[0:1], v[4:7], off
	v_add_co_u32_e32 v0, vcc, 0x800, v0
	v_addc_co_u32_e32 v1, vcc, 0, v1, vcc
	s_andn2_b64 exec, exec, s[0:1]
	s_cbranch_execnz .LBB258_162
.LBB258_163:
	s_endpgm
	.section	.rodata,"a",@progbits
	.p2align	6, 0x0
	.amdhsa_kernel _ZL25rocblas_trtri_trsm_kernelILi128ELi16ELi8E19rocblas_complex_numIdEPKS1_PS1_Ev13rocblas_fill_17rocblas_diagonal_T3_lilT4_lli
		.amdhsa_group_segment_fixed_size 16384
		.amdhsa_private_segment_fixed_size 0
		.amdhsa_kernarg_size 68
		.amdhsa_user_sgpr_count 6
		.amdhsa_user_sgpr_private_segment_buffer 1
		.amdhsa_user_sgpr_dispatch_ptr 0
		.amdhsa_user_sgpr_queue_ptr 0
		.amdhsa_user_sgpr_kernarg_segment_ptr 1
		.amdhsa_user_sgpr_dispatch_id 0
		.amdhsa_user_sgpr_flat_scratch_init 0
		.amdhsa_user_sgpr_kernarg_preload_length 0
		.amdhsa_user_sgpr_kernarg_preload_offset 0
		.amdhsa_user_sgpr_private_segment_size 0
		.amdhsa_uses_dynamic_stack 0
		.amdhsa_system_sgpr_private_segment_wavefront_offset 0
		.amdhsa_system_sgpr_workgroup_id_x 1
		.amdhsa_system_sgpr_workgroup_id_y 0
		.amdhsa_system_sgpr_workgroup_id_z 1
		.amdhsa_system_sgpr_workgroup_info 0
		.amdhsa_system_vgpr_workitem_id 0
		.amdhsa_next_free_vgpr 94
		.amdhsa_next_free_sgpr 40
		.amdhsa_accum_offset 96
		.amdhsa_reserve_vcc 1
		.amdhsa_reserve_flat_scratch 0
		.amdhsa_float_round_mode_32 0
		.amdhsa_float_round_mode_16_64 0
		.amdhsa_float_denorm_mode_32 3
		.amdhsa_float_denorm_mode_16_64 3
		.amdhsa_dx10_clamp 1
		.amdhsa_ieee_mode 1
		.amdhsa_fp16_overflow 0
		.amdhsa_tg_split 0
		.amdhsa_exception_fp_ieee_invalid_op 0
		.amdhsa_exception_fp_denorm_src 0
		.amdhsa_exception_fp_ieee_div_zero 0
		.amdhsa_exception_fp_ieee_overflow 0
		.amdhsa_exception_fp_ieee_underflow 0
		.amdhsa_exception_fp_ieee_inexact 0
		.amdhsa_exception_int_div_zero 0
	.end_amdhsa_kernel
	.section	.text._ZL25rocblas_trtri_trsm_kernelILi128ELi16ELi8E19rocblas_complex_numIdEPKS1_PS1_Ev13rocblas_fill_17rocblas_diagonal_T3_lilT4_lli,"axG",@progbits,_ZL25rocblas_trtri_trsm_kernelILi128ELi16ELi8E19rocblas_complex_numIdEPKS1_PS1_Ev13rocblas_fill_17rocblas_diagonal_T3_lilT4_lli,comdat
.Lfunc_end258:
	.size	_ZL25rocblas_trtri_trsm_kernelILi128ELi16ELi8E19rocblas_complex_numIdEPKS1_PS1_Ev13rocblas_fill_17rocblas_diagonal_T3_lilT4_lli, .Lfunc_end258-_ZL25rocblas_trtri_trsm_kernelILi128ELi16ELi8E19rocblas_complex_numIdEPKS1_PS1_Ev13rocblas_fill_17rocblas_diagonal_T3_lilT4_lli
                                        ; -- End function
	.section	.AMDGPU.csdata,"",@progbits
; Kernel info:
; codeLenInByte = 7932
; NumSgprs: 44
; NumVgprs: 94
; NumAgprs: 0
; TotalNumVgprs: 94
; ScratchSize: 0
; MemoryBound: 1
; FloatMode: 240
; IeeeMode: 1
; LDSByteSize: 16384 bytes/workgroup (compile time only)
; SGPRBlocks: 5
; VGPRBlocks: 11
; NumSGPRsForWavesPerEU: 44
; NumVGPRsForWavesPerEU: 94
; AccumOffset: 96
; Occupancy: 4
; WaveLimiterHint : 0
; COMPUTE_PGM_RSRC2:SCRATCH_EN: 0
; COMPUTE_PGM_RSRC2:USER_SGPR: 6
; COMPUTE_PGM_RSRC2:TRAP_HANDLER: 0
; COMPUTE_PGM_RSRC2:TGID_X_EN: 1
; COMPUTE_PGM_RSRC2:TGID_Y_EN: 0
; COMPUTE_PGM_RSRC2:TGID_Z_EN: 1
; COMPUTE_PGM_RSRC2:TIDIG_COMP_CNT: 0
; COMPUTE_PGM_RSRC3_GFX90A:ACCUM_OFFSET: 23
; COMPUTE_PGM_RSRC3_GFX90A:TG_SPLIT: 0
	.section	.text._ZL18rocblas_trtri_fillILi128E19rocblas_complex_numIdEPS1_EvP15_rocblas_handle13rocblas_fill_ililT1_llii,"axG",@progbits,_ZL18rocblas_trtri_fillILi128E19rocblas_complex_numIdEPS1_EvP15_rocblas_handle13rocblas_fill_ililT1_llii,comdat
	.globl	_ZL18rocblas_trtri_fillILi128E19rocblas_complex_numIdEPS1_EvP15_rocblas_handle13rocblas_fill_ililT1_llii ; -- Begin function _ZL18rocblas_trtri_fillILi128E19rocblas_complex_numIdEPS1_EvP15_rocblas_handle13rocblas_fill_ililT1_llii
	.p2align	8
	.type	_ZL18rocblas_trtri_fillILi128E19rocblas_complex_numIdEPS1_EvP15_rocblas_handle13rocblas_fill_ililT1_llii,@function
_ZL18rocblas_trtri_fillILi128E19rocblas_complex_numIdEPS1_EvP15_rocblas_handle13rocblas_fill_ililT1_llii: ; @_ZL18rocblas_trtri_fillILi128E19rocblas_complex_numIdEPS1_EvP15_rocblas_handle13rocblas_fill_ililT1_llii
; %bb.0:
	s_load_dword s1, s[4:5], 0x40
	s_load_dwordx2 s[2:3], s[4:5], 0x10
	s_mov_b32 s0, s6
	s_waitcnt lgkmcnt(0)
	s_ashr_i32 s6, s1, 31
	s_mul_i32 s8, s1, s3
	s_mul_hi_u32 s9, s1, s2
	s_mul_i32 s16, s1, s2
	s_mov_b32 s1, 0
	s_add_i32 s8, s9, s8
	s_mul_i32 s6, s6, s2
	s_lshl_b64 s[0:1], s[0:1], 7
	s_add_i32 s17, s8, s6
	v_or_b32_e32 v4, s0, v0
	v_mov_b32_e32 v5, s1
	v_cmp_gt_u64_e32 vcc, s[16:17], v[4:5]
	s_and_saveexec_b64 s[0:1], vcc
	s_cbranch_execz .LBB259_16
; %bb.1:
	v_cvt_f32_u32_e32 v1, s2
	v_cvt_f32_u32_e32 v2, s3
	s_load_dword s18, s[4:5], 0x18
	s_load_dwordx8 s[8:15], s[4:5], 0x20
	s_load_dwordx2 s[20:21], s[4:5], 0x8
	v_mov_b32_e32 v0, 0
	v_mov_b32_e32 v15, 0x260
	v_mac_f32_e32 v1, 0x4f800000, v2
	s_waitcnt lgkmcnt(0)
	s_mul_i32 s0, s7, s15
	s_mul_hi_u32 s1, s7, s14
	v_rcp_f32_e32 v1, v1
	v_cvt_f32_u32_e32 v2, s2
	s_add_i32 s1, s1, s0
	s_mul_i32 s0, s7, s14
	s_ashr_i32 s19, s18, 31
	s_lshl_b64 s[0:1], s[0:1], 4
	s_add_u32 s6, s10, s0
	s_addc_u32 s7, s11, s1
	s_lshl_b64 s[0:1], s[12:13], 4
	v_mul_f32_e32 v1, 0x5f7ffffc, v1
	v_rcp_iflag_f32_e32 v2, v2
	s_add_u32 s14, s6, s0
	v_mul_f32_e32 v3, 0x2f800000, v1
	s_addc_u32 s15, s7, s1
	s_add_i32 s0, s21, -2
	s_load_dword s6, s[4:5], 0x48
	s_load_dword s7, s[4:5], 0x54
	v_trunc_f32_e32 v3, v3
	v_cvt_f64_i32_e32 v[6:7], s0
	s_add_i32 s0, s21, -1
	v_mac_f32_e32 v1, 0xcf800000, v3
	s_mul_hi_i32 s1, s0, s21
	s_mul_i32 s0, s0, s21
	v_cvt_u32_f32_e32 v12, v1
	v_mul_f32_e32 v1, 0x4f7ffffe, v2
	s_ashr_i32 s22, s21, 31
	s_lshl_b64 s[4:5], s[0:1], 2
	v_cvt_u32_f32_e32 v13, v3
	v_cvt_u32_f32_e32 v14, v1
	s_mov_b32 s23, s21
	s_add_u32 s21, s4, -7
	s_addc_u32 s24, s5, -1
	s_lshr_b64 s[4:5], s[0:1], 1
	s_waitcnt lgkmcnt(0)
	s_and_b32 s0, s7, 0xffff
	s_mov_b32 s10, 0
	s_mul_hi_u32 s25, s0, s6
	s_mul_i32 s26, s0, s6
	s_mov_b64 s[6:7], 0
	s_brev_b32 s11, 8
	s_movk_i32 s27, 0xffe0
	v_mov_b32_e32 v16, 0xffffff80
	s_branch .LBB259_3
.LBB259_2:                              ;   in Loop: Header=BB259_3 Depth=1
	v_mov_b32_e32 v1, s25
	v_add_co_u32_e32 v4, vcc, s26, v4
	v_addc_co_u32_e32 v5, vcc, v5, v1, vcc
	v_cmp_le_u64_e32 vcc, s[16:17], v[4:5]
	s_or_b64 s[6:7], vcc, s[6:7]
	s_andn2_b64 exec, exec, s[6:7]
	s_cbranch_execz .LBB259_16
.LBB259_3:                              ; =>This Inner Loop Header: Depth=1
	v_or_b32_e32 v1, s3, v5
	v_cmp_ne_u64_e32 vcc, 0, v[0:1]
                                        ; implicit-def: $vgpr2_vgpr3
	s_and_saveexec_b64 s[0:1], vcc
	s_xor_b64 s[12:13], exec, s[0:1]
	s_cbranch_execz .LBB259_5
; %bb.4:                                ;   in Loop: Header=BB259_3 Depth=1
	s_sub_u32 s0, 0, s2
	s_subb_u32 s1, 0, s3
	v_mul_hi_u32 v2, s0, v12
	v_mul_lo_u32 v3, s0, v13
	v_mul_lo_u32 v1, s1, v12
	v_add_u32_e32 v2, v2, v3
	v_add_u32_e32 v1, v2, v1
	v_mul_lo_u32 v8, s0, v12
	v_mul_lo_u32 v3, v12, v1
	v_mul_hi_u32 v9, v12, v8
	v_mul_hi_u32 v2, v12, v1
	v_add_co_u32_e32 v3, vcc, v9, v3
	v_addc_co_u32_e32 v2, vcc, 0, v2, vcc
	v_mul_hi_u32 v10, v13, v8
	v_mul_lo_u32 v8, v13, v8
	v_add_co_u32_e32 v3, vcc, v3, v8
	v_mul_hi_u32 v9, v13, v1
	v_addc_co_u32_e32 v2, vcc, v2, v10, vcc
	v_addc_co_u32_e32 v3, vcc, 0, v9, vcc
	v_mul_lo_u32 v1, v13, v1
	v_add_co_u32_e32 v1, vcc, v2, v1
	v_addc_co_u32_e32 v2, vcc, 0, v3, vcc
	v_add_co_u32_e32 v1, vcc, v12, v1
	v_addc_co_u32_e32 v2, vcc, v13, v2, vcc
	v_mul_lo_u32 v3, s0, v2
	v_mul_hi_u32 v8, s0, v1
	v_add_u32_e32 v3, v8, v3
	v_mul_lo_u32 v8, s1, v1
	v_add_u32_e32 v3, v3, v8
	v_mul_lo_u32 v9, s0, v1
	v_mul_hi_u32 v10, v2, v9
	v_mul_lo_u32 v11, v2, v9
	v_mul_lo_u32 v18, v1, v3
	v_mul_hi_u32 v9, v1, v9
	v_mul_hi_u32 v17, v1, v3
	v_add_co_u32_e32 v9, vcc, v9, v18
	v_addc_co_u32_e32 v17, vcc, 0, v17, vcc
	v_add_co_u32_e32 v9, vcc, v9, v11
	v_mul_hi_u32 v8, v2, v3
	v_addc_co_u32_e32 v9, vcc, v17, v10, vcc
	v_addc_co_u32_e32 v8, vcc, 0, v8, vcc
	v_mul_lo_u32 v3, v2, v3
	v_add_co_u32_e32 v3, vcc, v9, v3
	v_addc_co_u32_e32 v8, vcc, 0, v8, vcc
	v_add_co_u32_e32 v1, vcc, v1, v3
	v_addc_co_u32_e32 v8, vcc, v2, v8, vcc
	v_mad_u64_u32 v[2:3], s[0:1], v4, v8, 0
	v_mul_hi_u32 v9, v4, v1
	v_add_co_u32_e32 v10, vcc, v9, v2
	v_addc_co_u32_e32 v11, vcc, 0, v3, vcc
	v_mad_u64_u32 v[2:3], s[0:1], v5, v8, 0
	v_mad_u64_u32 v[8:9], s[0:1], v5, v1, 0
	v_add_co_u32_e32 v1, vcc, v10, v8
	v_addc_co_u32_e32 v1, vcc, v11, v9, vcc
	v_addc_co_u32_e32 v3, vcc, 0, v3, vcc
	v_add_co_u32_e32 v1, vcc, v1, v2
	v_addc_co_u32_e32 v8, vcc, 0, v3, vcc
	v_mul_lo_u32 v9, s3, v1
	v_mul_lo_u32 v10, s2, v8
	v_mad_u64_u32 v[2:3], s[0:1], s2, v1, 0
	v_add3_u32 v3, v3, v10, v9
	v_sub_u32_e32 v9, v5, v3
	v_mov_b32_e32 v10, s3
	v_sub_co_u32_e32 v2, vcc, v4, v2
	v_subb_co_u32_e64 v9, s[0:1], v9, v10, vcc
	v_subrev_co_u32_e64 v10, s[0:1], s2, v2
	v_subbrev_co_u32_e64 v9, s[0:1], 0, v9, s[0:1]
	v_cmp_le_u32_e64 s[0:1], s3, v9
	v_cndmask_b32_e64 v11, 0, -1, s[0:1]
	v_cmp_le_u32_e64 s[0:1], s2, v10
	v_cndmask_b32_e64 v10, 0, -1, s[0:1]
	v_cmp_eq_u32_e64 s[0:1], s3, v9
	v_cndmask_b32_e64 v9, v11, v10, s[0:1]
	v_add_co_u32_e64 v10, s[0:1], 2, v1
	v_addc_co_u32_e64 v11, s[0:1], 0, v8, s[0:1]
	v_add_co_u32_e64 v17, s[0:1], 1, v1
	v_addc_co_u32_e64 v18, s[0:1], 0, v8, s[0:1]
	v_subb_co_u32_e32 v3, vcc, v5, v3, vcc
	v_cmp_ne_u32_e64 s[0:1], 0, v9
	v_cmp_le_u32_e32 vcc, s3, v3
	v_cndmask_b32_e64 v9, v18, v11, s[0:1]
	v_cndmask_b32_e64 v11, 0, -1, vcc
	v_cmp_le_u32_e32 vcc, s2, v2
	v_cndmask_b32_e64 v2, 0, -1, vcc
	v_cmp_eq_u32_e32 vcc, s3, v3
	v_cndmask_b32_e32 v2, v11, v2, vcc
	v_cmp_ne_u32_e32 vcc, 0, v2
	v_cndmask_b32_e64 v2, v17, v10, s[0:1]
	v_cndmask_b32_e32 v3, v8, v9, vcc
	v_cndmask_b32_e32 v2, v1, v2, vcc
.LBB259_5:                              ;   in Loop: Header=BB259_3 Depth=1
	s_andn2_saveexec_b64 s[0:1], s[12:13]
	s_cbranch_execz .LBB259_7
; %bb.6:                                ;   in Loop: Header=BB259_3 Depth=1
	s_sub_i32 s12, 0, s2
	v_mul_lo_u32 v1, s12, v14
	v_mul_hi_u32 v1, v14, v1
	v_add_u32_e32 v1, v14, v1
	v_mul_hi_u32 v1, v4, v1
	v_mul_lo_u32 v2, v1, s2
	v_sub_u32_e32 v2, v4, v2
	v_subrev_u32_e32 v3, s2, v2
	v_cmp_le_u32_e32 vcc, s2, v2
	v_cndmask_b32_e32 v2, v2, v3, vcc
	v_add_u32_e32 v3, 1, v1
	v_cndmask_b32_e32 v1, v1, v3, vcc
	v_add_u32_e32 v3, 1, v1
	v_cmp_le_u32_e32 vcc, s2, v2
	v_cndmask_b32_e32 v2, v1, v3, vcc
	v_mov_b32_e32 v3, v0
.LBB259_7:                              ;   in Loop: Header=BB259_3 Depth=1
	s_or_b64 exec, exec, s[0:1]
	v_mul_lo_u32 v1, v3, s2
	v_mul_lo_u32 v10, v2, s3
	v_mad_u64_u32 v[8:9], s[0:1], v2, s2, 0
	v_add3_u32 v1, v9, v10, v1
	v_sub_co_u32_e32 v8, vcc, v4, v8
	s_cmpk_lt_i32 s20, 0x7a
	v_subb_co_u32_e32 v9, vcc, v5, v1, vcc
	s_cbranch_scc1 .LBB259_10
; %bb.8:                                ;   in Loop: Header=BB259_3 Depth=1
	s_mov_b64 s[0:1], 0
	s_cmpk_eq_i32 s20, 0x7a
	s_mov_b64 s[12:13], 0
                                        ; implicit-def: $vgpr10_vgpr11
	s_cbranch_scc0 .LBB259_11
; %bb.9:                                ;   in Loop: Header=BB259_3 Depth=1
	v_lshlrev_b64 v[10:11], 3, v[8:9]
	v_mov_b32_e32 v1, s24
	v_sub_co_u32_e32 v17, vcc, s21, v10
	v_subb_co_u32_e32 v1, vcc, v1, v11, vcc
	v_cvt_f64_u32_e32 v[10:11], v1
	v_ldexp_f64 v[10:11], v[10:11], 32
	v_cvt_f64_u32_e32 v[18:19], v17
	v_add_f64 v[10:11], v[10:11], v[18:19]
	v_cmp_gt_f64_e32 vcc, s[10:11], v[10:11]
	v_cndmask_b32_e64 v1, 0, 1, vcc
	v_lshlrev_b32_e32 v1, 8, v1
	v_ldexp_f64 v[10:11], v[10:11], v1
	v_rsq_f64_e32 v[18:19], v[10:11]
	v_cndmask_b32_e32 v1, 0, v16, vcc
	v_cmp_class_f64_e32 vcc, v[10:11], v15
	v_mul_f64 v[20:21], v[10:11], v[18:19]
	v_mul_f64 v[18:19], v[18:19], 0.5
	v_fma_f64 v[22:23], -v[18:19], v[20:21], 0.5
	v_fmac_f64_e32 v[20:21], v[20:21], v[22:23]
	v_fma_f64 v[24:25], -v[20:21], v[20:21], v[10:11]
	v_fmac_f64_e32 v[18:19], v[18:19], v[22:23]
	v_fmac_f64_e32 v[20:21], v[24:25], v[18:19]
	v_fma_f64 v[22:23], -v[20:21], v[20:21], v[10:11]
	v_fmac_f64_e32 v[20:21], v[22:23], v[18:19]
	v_ldexp_f64 v[18:19], v[20:21], v1
	v_cndmask_b32_e32 v11, v19, v11, vcc
	v_cndmask_b32_e32 v10, v18, v10, vcc
	v_fma_f64 v[10:11], v[10:11], 0.5, -0.5
	v_floor_f64_e32 v[10:11], v[10:11]
	v_add_f64 v[10:11], v[6:7], -v[10:11]
	v_trunc_f64_e32 v[10:11], v[10:11]
	v_ldexp_f64 v[18:19], v[10:11], s27
	v_floor_f64_e32 v[18:19], v[18:19]
	v_fmac_f64_e32 v[10:11], 0xc1f00000, v[18:19]
	v_cvt_u32_f64_e32 v10, v[10:11]
	v_cvt_u32_f64_e32 v11, v[18:19]
	v_mov_b32_e32 v1, s5
	v_subrev_co_u32_e32 v18, vcc, s4, v8
	v_subb_co_u32_e32 v19, vcc, v9, v1, vcc
	v_mov_b32_e32 v1, s22
	v_sub_co_u32_e32 v17, vcc, s23, v10
	v_subb_co_u32_e32 v1, vcc, v1, v11, vcc
	v_add_co_u32_e32 v20, vcc, -1, v17
	v_addc_co_u32_e32 v21, vcc, -1, v1, vcc
	v_mul_lo_u32 v22, v21, v17
	v_mul_lo_u32 v1, v20, v1
	v_mad_u64_u32 v[20:21], s[12:13], v20, v17, 0
	v_add3_u32 v21, v21, v1, v22
	v_mul_lo_u32 v1, v3, s8
	v_mul_lo_u32 v17, v2, s9
	v_mad_u64_u32 v[22:23], s[12:13], v2, s8, 0
	v_add3_u32 v23, v23, v17, v1
	v_mul_lo_u32 v1, v10, s19
	v_mad_u64_u32 v[24:25], s[12:13], v10, s18, 0
	v_mul_lo_u32 v17, v11, s18
	v_lshlrev_b64 v[22:23], 4, v[22:23]
	v_add3_u32 v25, v25, v1, v17
	v_mov_b32_e32 v1, s15
	v_add_co_u32_e32 v17, vcc, s14, v22
	v_addc_co_u32_e32 v1, vcc, v1, v23, vcc
	v_lshlrev_b64 v[22:23], 4, v[24:25]
	v_add_co_u32_e32 v17, vcc, v17, v22
	v_addc_co_u32_e32 v1, vcc, v1, v23, vcc
	v_lshlrev_b64 v[18:19], 4, v[18:19]
	;; [unrolled: 3-line block ×4, first 2 shown]
	v_and_b32_e32 v10, -16, v10
	v_add_co_u32_e32 v10, vcc, v17, v10
	v_addc_co_u32_e32 v1, vcc, v1, v11, vcc
	v_add_co_u32_e32 v10, vcc, 16, v10
	v_addc_co_u32_e32 v11, vcc, 0, v1, vcc
	s_mov_b64 s[12:13], -1
	s_branch .LBB259_11
.LBB259_10:                             ;   in Loop: Header=BB259_3 Depth=1
	s_mov_b64 s[0:1], -1
	s_mov_b64 s[12:13], 0
                                        ; implicit-def: $vgpr10_vgpr11
.LBB259_11:                             ;   in Loop: Header=BB259_3 Depth=1
	s_and_b64 vcc, exec, s[0:1]
	s_cbranch_vccz .LBB259_14
; %bb.12:                               ;   in Loop: Header=BB259_3 Depth=1
	s_cmpk_eq_i32 s20, 0x79
                                        ; implicit-def: $vgpr10_vgpr11
	s_cbranch_scc0 .LBB259_14
; %bb.13:                               ;   in Loop: Header=BB259_3 Depth=1
	v_lshlrev_b64 v[10:11], 3, v[8:9]
	v_or_b32_e32 v1, 1, v10
	v_cvt_f64_u32_e32 v[10:11], v11
	v_ldexp_f64 v[10:11], v[10:11], 32
	v_cvt_f64_u32_e32 v[18:19], v1
	v_add_f64 v[10:11], v[10:11], v[18:19]
	v_cmp_gt_f64_e32 vcc, s[10:11], v[10:11]
	v_cndmask_b32_e64 v1, 0, 1, vcc
	v_lshlrev_b32_e32 v1, 8, v1
	v_ldexp_f64 v[10:11], v[10:11], v1
	v_rsq_f64_e32 v[18:19], v[10:11]
	v_cndmask_b32_e32 v1, 0, v16, vcc
	v_cmp_class_f64_e32 vcc, v[10:11], v15
	v_mul_lo_u32 v17, v2, s9
	v_mul_f64 v[20:21], v[10:11], v[18:19]
	v_mul_f64 v[18:19], v[18:19], 0.5
	v_fma_f64 v[22:23], -v[18:19], v[20:21], 0.5
	v_fmac_f64_e32 v[20:21], v[20:21], v[22:23]
	v_fma_f64 v[24:25], -v[20:21], v[20:21], v[10:11]
	v_fmac_f64_e32 v[18:19], v[18:19], v[22:23]
	v_fmac_f64_e32 v[20:21], v[24:25], v[18:19]
	v_fma_f64 v[22:23], -v[20:21], v[20:21], v[10:11]
	v_fmac_f64_e32 v[20:21], v[22:23], v[18:19]
	v_ldexp_f64 v[18:19], v[20:21], v1
	v_cndmask_b32_e32 v11, v19, v11, vcc
	v_cndmask_b32_e32 v10, v18, v10, vcc
	v_add_f64 v[10:11], v[10:11], -1.0
	v_mul_f64 v[10:11], v[10:11], 0.5
	v_trunc_f64_e32 v[10:11], v[10:11]
	v_ldexp_f64 v[18:19], v[10:11], s27
	v_floor_f64_e32 v[18:19], v[18:19]
	v_fmac_f64_e32 v[10:11], 0xc1f00000, v[18:19]
	v_cvt_u32_f64_e32 v10, v[10:11]
	v_cvt_u32_f64_e32 v11, v[18:19]
	v_mad_u64_u32 v[18:19], s[0:1], v10, v10, v[10:11]
	v_mul_lo_u32 v1, v10, v11
	v_add3_u32 v19, v1, v19, v1
	v_lshrrev_b64 v[18:19], 1, v[18:19]
	v_sub_co_u32_e32 v8, vcc, v8, v18
	v_mul_lo_u32 v1, v3, s8
	v_mad_u64_u32 v[2:3], s[0:1], v2, s8, 0
	v_subb_co_u32_e32 v9, vcc, v9, v19, vcc
	v_add3_u32 v3, v3, v17, v1
	v_pk_mov_b32 v[18:19], s[18:19], s[18:19] op_sel:[0,1]
	v_mul_lo_u32 v1, s19, v10
	v_mad_u64_u32 v[18:19], s[0:1], s18, v10, v[18:19]
	v_mul_lo_u32 v10, s18, v11
	v_lshlrev_b64 v[2:3], 4, v[2:3]
	v_add3_u32 v19, v1, v19, v10
	v_mov_b32_e32 v1, s15
	v_add_co_u32_e32 v10, vcc, s14, v2
	v_addc_co_u32_e32 v1, vcc, v1, v3, vcc
	v_lshlrev_b64 v[2:3], 4, v[18:19]
	v_add_co_u32_e32 v10, vcc, v10, v2
	v_addc_co_u32_e32 v1, vcc, v1, v3, vcc
	v_lshlrev_b64 v[2:3], 4, v[8:9]
	v_add_co_u32_e32 v10, vcc, v10, v2
	v_addc_co_u32_e32 v11, vcc, v1, v3, vcc
	s_mov_b64 s[12:13], -1
.LBB259_14:                             ;   in Loop: Header=BB259_3 Depth=1
	s_and_b64 vcc, exec, s[12:13]
	s_cbranch_vccz .LBB259_2
; %bb.15:                               ;   in Loop: Header=BB259_3 Depth=1
	v_mov_b32_e32 v1, v0
	v_mov_b32_e32 v2, v0
	;; [unrolled: 1-line block ×3, first 2 shown]
	global_store_dwordx4 v[10:11], v[0:3], off
	s_branch .LBB259_2
.LBB259_16:
	s_endpgm
	.section	.rodata,"a",@progbits
	.p2align	6, 0x0
	.amdhsa_kernel _ZL18rocblas_trtri_fillILi128E19rocblas_complex_numIdEPS1_EvP15_rocblas_handle13rocblas_fill_ililT1_llii
		.amdhsa_group_segment_fixed_size 0
		.amdhsa_private_segment_fixed_size 0
		.amdhsa_kernarg_size 328
		.amdhsa_user_sgpr_count 6
		.amdhsa_user_sgpr_private_segment_buffer 1
		.amdhsa_user_sgpr_dispatch_ptr 0
		.amdhsa_user_sgpr_queue_ptr 0
		.amdhsa_user_sgpr_kernarg_segment_ptr 1
		.amdhsa_user_sgpr_dispatch_id 0
		.amdhsa_user_sgpr_flat_scratch_init 0
		.amdhsa_user_sgpr_kernarg_preload_length 0
		.amdhsa_user_sgpr_kernarg_preload_offset 0
		.amdhsa_user_sgpr_private_segment_size 0
		.amdhsa_uses_dynamic_stack 0
		.amdhsa_system_sgpr_private_segment_wavefront_offset 0
		.amdhsa_system_sgpr_workgroup_id_x 1
		.amdhsa_system_sgpr_workgroup_id_y 0
		.amdhsa_system_sgpr_workgroup_id_z 1
		.amdhsa_system_sgpr_workgroup_info 0
		.amdhsa_system_vgpr_workitem_id 0
		.amdhsa_next_free_vgpr 26
		.amdhsa_next_free_sgpr 28
		.amdhsa_accum_offset 28
		.amdhsa_reserve_vcc 1
		.amdhsa_reserve_flat_scratch 0
		.amdhsa_float_round_mode_32 0
		.amdhsa_float_round_mode_16_64 0
		.amdhsa_float_denorm_mode_32 3
		.amdhsa_float_denorm_mode_16_64 3
		.amdhsa_dx10_clamp 1
		.amdhsa_ieee_mode 1
		.amdhsa_fp16_overflow 0
		.amdhsa_tg_split 0
		.amdhsa_exception_fp_ieee_invalid_op 0
		.amdhsa_exception_fp_denorm_src 0
		.amdhsa_exception_fp_ieee_div_zero 0
		.amdhsa_exception_fp_ieee_overflow 0
		.amdhsa_exception_fp_ieee_underflow 0
		.amdhsa_exception_fp_ieee_inexact 0
		.amdhsa_exception_int_div_zero 0
	.end_amdhsa_kernel
	.section	.text._ZL18rocblas_trtri_fillILi128E19rocblas_complex_numIdEPS1_EvP15_rocblas_handle13rocblas_fill_ililT1_llii,"axG",@progbits,_ZL18rocblas_trtri_fillILi128E19rocblas_complex_numIdEPS1_EvP15_rocblas_handle13rocblas_fill_ililT1_llii,comdat
.Lfunc_end259:
	.size	_ZL18rocblas_trtri_fillILi128E19rocblas_complex_numIdEPS1_EvP15_rocblas_handle13rocblas_fill_ililT1_llii, .Lfunc_end259-_ZL18rocblas_trtri_fillILi128E19rocblas_complex_numIdEPS1_EvP15_rocblas_handle13rocblas_fill_ililT1_llii
                                        ; -- End function
	.section	.AMDGPU.csdata,"",@progbits
; Kernel info:
; codeLenInByte = 1960
; NumSgprs: 32
; NumVgprs: 26
; NumAgprs: 0
; TotalNumVgprs: 26
; ScratchSize: 0
; MemoryBound: 0
; FloatMode: 240
; IeeeMode: 1
; LDSByteSize: 0 bytes/workgroup (compile time only)
; SGPRBlocks: 3
; VGPRBlocks: 3
; NumSGPRsForWavesPerEU: 32
; NumVGPRsForWavesPerEU: 26
; AccumOffset: 28
; Occupancy: 8
; WaveLimiterHint : 0
; COMPUTE_PGM_RSRC2:SCRATCH_EN: 0
; COMPUTE_PGM_RSRC2:USER_SGPR: 6
; COMPUTE_PGM_RSRC2:TRAP_HANDLER: 0
; COMPUTE_PGM_RSRC2:TGID_X_EN: 1
; COMPUTE_PGM_RSRC2:TGID_Y_EN: 0
; COMPUTE_PGM_RSRC2:TGID_Z_EN: 1
; COMPUTE_PGM_RSRC2:TIDIG_COMP_CNT: 0
; COMPUTE_PGM_RSRC3_GFX90A:ACCUM_OFFSET: 6
; COMPUTE_PGM_RSRC3_GFX90A:TG_SPLIT: 0
	.section	.text._ZL24rocblas_copy_matrix_trsmILi128ELi8E19rocblas_complex_numIdEPKS1_PS1_EviiiT2_ilT3_illli,"axG",@progbits,_ZL24rocblas_copy_matrix_trsmILi128ELi8E19rocblas_complex_numIdEPKS1_PS1_EviiiT2_ilT3_illli,comdat
	.globl	_ZL24rocblas_copy_matrix_trsmILi128ELi8E19rocblas_complex_numIdEPKS1_PS1_EviiiT2_ilT3_illli ; -- Begin function _ZL24rocblas_copy_matrix_trsmILi128ELi8E19rocblas_complex_numIdEPKS1_PS1_EviiiT2_ilT3_illli
	.p2align	8
	.type	_ZL24rocblas_copy_matrix_trsmILi128ELi8E19rocblas_complex_numIdEPKS1_PS1_EviiiT2_ilT3_illli,@function
_ZL24rocblas_copy_matrix_trsmILi128ELi8E19rocblas_complex_numIdEPKS1_PS1_EviiiT2_ilT3_illli: ; @_ZL24rocblas_copy_matrix_trsmILi128ELi8E19rocblas_complex_numIdEPKS1_PS1_EviiiT2_ilT3_illli
; %bb.0:
	s_load_dwordx2 s[0:1], s[4:5], 0x0
	v_and_b32_e32 v1, 0x3ff, v0
	v_mov_b32_e32 v3, 0
	v_bfe_u32 v0, v0, 10, 10
	v_lshl_add_u32 v2, s6, 7, v1
	v_lshl_add_u32 v0, s7, 3, v0
	v_mov_b32_e32 v1, v3
	s_waitcnt lgkmcnt(0)
	s_ashr_i32 s7, s1, 31
	s_mov_b32 s6, s1
	s_ashr_i32 s1, s0, 31
	v_cmp_gt_u64_e32 vcc, s[0:1], v[2:3]
	v_cmp_gt_u64_e64 s[0:1], s[6:7], v[0:1]
	s_mov_b32 s9, 0
	s_and_b64 s[0:1], vcc, s[0:1]
	s_and_saveexec_b64 s[2:3], s[0:1]
	s_cbranch_execz .LBB260_3
; %bb.1:
	s_load_dwordx2 s[16:17], s[4:5], 0x10
	s_load_dword s11, s[4:5], 0x18
	s_load_dwordx4 s[0:3], s[4:5], 0x20
	s_load_dword s20, s[4:5], 0x30
	s_load_dword s10, s[4:5], 0x5c
	s_load_dwordx4 s[12:15], s[4:5], 0x38
	s_load_dwordx2 s[18:19], s[4:5], 0x48
	s_waitcnt lgkmcnt(0)
	s_ashr_i32 s21, s11, 31
	s_ashr_i32 s22, s20, 31
	s_lshl_b32 s10, s10, 3
	s_mul_i32 s4, s13, s8
	s_mul_hi_u32 s5, s12, s8
	s_add_i32 s5, s5, s4
	s_mul_i32 s4, s12, s8
	v_mad_u64_u32 v[4:5], s[12:13], s20, v0, 0
	v_mov_b32_e32 v6, v5
	v_mad_u64_u32 v[6:7], s[12:13], s22, v0, v[6:7]
	s_lshl_b64 s[4:5], s[4:5], 4
	s_lshl_b64 s[12:13], s[18:19], 4
	v_mov_b32_e32 v5, v6
	s_add_u32 s4, s12, s4
	v_lshlrev_b64 v[4:5], 4, v[4:5]
	s_addc_u32 s5, s13, s5
	v_mov_b32_e32 v6, s5
	v_add_co_u32_e32 v7, vcc, s4, v4
	v_addc_co_u32_e32 v6, vcc, v6, v5, vcc
	v_lshlrev_b64 v[4:5], 4, v[2:3]
	v_add_co_u32_e32 v2, vcc, v7, v4
	v_addc_co_u32_e32 v3, vcc, v6, v5, vcc
	v_mov_b32_e32 v6, s3
	v_add_co_u32_e32 v2, vcc, s2, v2
	s_mul_i32 s1, s1, s8
	s_mul_hi_u32 s4, s0, s8
	v_addc_co_u32_e32 v3, vcc, v6, v3, vcc
	s_add_i32 s1, s4, s1
	v_mad_u64_u32 v[6:7], s[4:5], s11, v0, 0
	s_mul_i32 s22, s22, s10
	s_mul_hi_u32 s2, s20, s10
	v_mov_b32_e32 v8, v7
	s_add_i32 s3, s2, s22
	s_mul_i32 s2, s20, s10
	s_mul_i32 s0, s0, s8
	v_mad_u64_u32 v[8:9], s[4:5], s21, v0, v[8:9]
	s_lshl_b64 s[2:3], s[2:3], 4
	s_lshl_b64 s[0:1], s[0:1], 4
	;; [unrolled: 1-line block ×3, first 2 shown]
	v_mov_b32_e32 v7, v8
	s_add_u32 s0, s4, s0
	v_lshlrev_b64 v[6:7], 4, v[6:7]
	s_addc_u32 s1, s5, s1
	v_mov_b32_e32 v8, s1
	v_add_co_u32_e32 v6, vcc, s0, v6
	v_addc_co_u32_e32 v7, vcc, v8, v7, vcc
	v_add_co_u32_e32 v4, vcc, v6, v4
	s_mul_i32 s21, s21, s10
	s_mul_hi_u32 s0, s11, s10
	v_addc_co_u32_e32 v5, vcc, v7, v5, vcc
	s_add_i32 s1, s0, s21
	s_mul_i32 s0, s11, s10
	v_mov_b32_e32 v6, s17
	v_add_co_u32_e32 v4, vcc, s16, v4
	s_lshl_b64 s[0:1], s[0:1], 4
	v_addc_co_u32_e32 v5, vcc, v6, v5, vcc
	s_mov_b64 s[4:5], 0
	v_mov_b32_e32 v6, s9
	v_mov_b32_e32 v7, s3
	v_mov_b32_e32 v8, s1
.LBB260_2:                              ; =>This Inner Loop Header: Depth=1
	global_load_dwordx4 v[10:13], v[4:5], off
	v_add_co_u32_e32 v0, vcc, s10, v0
	v_addc_co_u32_e32 v1, vcc, v1, v6, vcc
	v_add_co_u32_e32 v4, vcc, s0, v4
	v_addc_co_u32_e32 v5, vcc, v5, v8, vcc
	v_cmp_le_u64_e32 vcc, s[6:7], v[0:1]
	s_or_b64 s[4:5], vcc, s[4:5]
	s_waitcnt vmcnt(0)
	global_store_dwordx4 v[2:3], v[10:13], off
	v_add_co_u32_e32 v2, vcc, s2, v2
	v_addc_co_u32_e32 v3, vcc, v3, v7, vcc
	s_andn2_b64 exec, exec, s[4:5]
	s_cbranch_execnz .LBB260_2
.LBB260_3:
	s_endpgm
	.section	.rodata,"a",@progbits
	.p2align	6, 0x0
	.amdhsa_kernel _ZL24rocblas_copy_matrix_trsmILi128ELi8E19rocblas_complex_numIdEPKS1_PS1_EviiiT2_ilT3_illli
		.amdhsa_group_segment_fixed_size 0
		.amdhsa_private_segment_fixed_size 0
		.amdhsa_kernarg_size 344
		.amdhsa_user_sgpr_count 6
		.amdhsa_user_sgpr_private_segment_buffer 1
		.amdhsa_user_sgpr_dispatch_ptr 0
		.amdhsa_user_sgpr_queue_ptr 0
		.amdhsa_user_sgpr_kernarg_segment_ptr 1
		.amdhsa_user_sgpr_dispatch_id 0
		.amdhsa_user_sgpr_flat_scratch_init 0
		.amdhsa_user_sgpr_kernarg_preload_length 0
		.amdhsa_user_sgpr_kernarg_preload_offset 0
		.amdhsa_user_sgpr_private_segment_size 0
		.amdhsa_uses_dynamic_stack 0
		.amdhsa_system_sgpr_private_segment_wavefront_offset 0
		.amdhsa_system_sgpr_workgroup_id_x 1
		.amdhsa_system_sgpr_workgroup_id_y 1
		.amdhsa_system_sgpr_workgroup_id_z 1
		.amdhsa_system_sgpr_workgroup_info 0
		.amdhsa_system_vgpr_workitem_id 1
		.amdhsa_next_free_vgpr 14
		.amdhsa_next_free_sgpr 23
		.amdhsa_accum_offset 16
		.amdhsa_reserve_vcc 1
		.amdhsa_reserve_flat_scratch 0
		.amdhsa_float_round_mode_32 0
		.amdhsa_float_round_mode_16_64 0
		.amdhsa_float_denorm_mode_32 3
		.amdhsa_float_denorm_mode_16_64 3
		.amdhsa_dx10_clamp 1
		.amdhsa_ieee_mode 1
		.amdhsa_fp16_overflow 0
		.amdhsa_tg_split 0
		.amdhsa_exception_fp_ieee_invalid_op 0
		.amdhsa_exception_fp_denorm_src 0
		.amdhsa_exception_fp_ieee_div_zero 0
		.amdhsa_exception_fp_ieee_overflow 0
		.amdhsa_exception_fp_ieee_underflow 0
		.amdhsa_exception_fp_ieee_inexact 0
		.amdhsa_exception_int_div_zero 0
	.end_amdhsa_kernel
	.section	.text._ZL24rocblas_copy_matrix_trsmILi128ELi8E19rocblas_complex_numIdEPKS1_PS1_EviiiT2_ilT3_illli,"axG",@progbits,_ZL24rocblas_copy_matrix_trsmILi128ELi8E19rocblas_complex_numIdEPKS1_PS1_EviiiT2_ilT3_illli,comdat
.Lfunc_end260:
	.size	_ZL24rocblas_copy_matrix_trsmILi128ELi8E19rocblas_complex_numIdEPKS1_PS1_EviiiT2_ilT3_illli, .Lfunc_end260-_ZL24rocblas_copy_matrix_trsmILi128ELi8E19rocblas_complex_numIdEPKS1_PS1_EviiiT2_ilT3_illli
                                        ; -- End function
	.section	.AMDGPU.csdata,"",@progbits
; Kernel info:
; codeLenInByte = 484
; NumSgprs: 27
; NumVgprs: 14
; NumAgprs: 0
; TotalNumVgprs: 14
; ScratchSize: 0
; MemoryBound: 0
; FloatMode: 240
; IeeeMode: 1
; LDSByteSize: 0 bytes/workgroup (compile time only)
; SGPRBlocks: 3
; VGPRBlocks: 1
; NumSGPRsForWavesPerEU: 27
; NumVGPRsForWavesPerEU: 14
; AccumOffset: 16
; Occupancy: 8
; WaveLimiterHint : 0
; COMPUTE_PGM_RSRC2:SCRATCH_EN: 0
; COMPUTE_PGM_RSRC2:USER_SGPR: 6
; COMPUTE_PGM_RSRC2:TRAP_HANDLER: 0
; COMPUTE_PGM_RSRC2:TGID_X_EN: 1
; COMPUTE_PGM_RSRC2:TGID_Y_EN: 1
; COMPUTE_PGM_RSRC2:TGID_Z_EN: 1
; COMPUTE_PGM_RSRC2:TIDIG_COMP_CNT: 1
; COMPUTE_PGM_RSRC3_GFX90A:ACCUM_OFFSET: 3
; COMPUTE_PGM_RSRC3_GFX90A:TG_SPLIT: 0
	.text
	.p2alignl 6, 3212836864
	.fill 256, 4, 3212836864
	.type	__const._ZL38rocblas_trsm_small_left_device_sharedBILi4ELi4ELb0E19rocblas_complex_numIfES1_PKS1_PS1_Ev13rocblas_fill_18rocblas_operation_17rocblas_diagonal_iiT3_T4_lilT5_lili.step_sizes,@object ; @__const._ZL38rocblas_trsm_small_left_device_sharedBILi4ELi4ELb0E19rocblas_complex_numIfES1_PKS1_PS1_Ev13rocblas_fill_18rocblas_operation_17rocblas_diagonal_iiT3_T4_lilT5_lili.step_sizes
	.section	.rodata,"a",@progbits
	.p2align	2, 0x0
__const._ZL38rocblas_trsm_small_left_device_sharedBILi4ELi4ELb0E19rocblas_complex_numIfES1_PKS1_PS1_Ev13rocblas_fill_18rocblas_operation_17rocblas_diagonal_iiT3_T4_lilT5_lili.step_sizes:
	.long	4                               ; 0x4
	.long	1                               ; 0x1
	;; [unrolled: 1-line block ×3, first 2 shown]
	.size	__const._ZL38rocblas_trsm_small_left_device_sharedBILi4ELi4ELb0E19rocblas_complex_numIfES1_PKS1_PS1_Ev13rocblas_fill_18rocblas_operation_17rocblas_diagonal_iiT3_T4_lilT5_lili.step_sizes, 12

	.type	__const._ZL30rocblas_trsm_small_left_deviceILi4ELi4ELb0E19rocblas_complex_numIfES1_PKS1_PS1_Ev13rocblas_fill_18rocblas_operation_17rocblas_diagonal_iiT3_T4_lilT5_lili.step_sizes,@object ; @__const._ZL30rocblas_trsm_small_left_deviceILi4ELi4ELb0E19rocblas_complex_numIfES1_PKS1_PS1_Ev13rocblas_fill_18rocblas_operation_17rocblas_diagonal_iiT3_T4_lilT5_lili.step_sizes
	.p2align	2, 0x0
__const._ZL30rocblas_trsm_small_left_deviceILi4ELi4ELb0E19rocblas_complex_numIfES1_PKS1_PS1_Ev13rocblas_fill_18rocblas_operation_17rocblas_diagonal_iiT3_T4_lilT5_lili.step_sizes:
	.long	4                               ; 0x4
	.long	1                               ; 0x1
	;; [unrolled: 1-line block ×3, first 2 shown]
	.size	__const._ZL30rocblas_trsm_small_left_deviceILi4ELi4ELb0E19rocblas_complex_numIfES1_PKS1_PS1_Ev13rocblas_fill_18rocblas_operation_17rocblas_diagonal_iiT3_T4_lilT5_lili.step_sizes, 12

	.type	__const._ZL38rocblas_trsm_small_left_device_sharedBILi4ELi4ELb1E19rocblas_complex_numIfES1_PKS1_PS1_Ev13rocblas_fill_18rocblas_operation_17rocblas_diagonal_iiT3_T4_lilT5_lili.step_sizes,@object ; @__const._ZL38rocblas_trsm_small_left_device_sharedBILi4ELi4ELb1E19rocblas_complex_numIfES1_PKS1_PS1_Ev13rocblas_fill_18rocblas_operation_17rocblas_diagonal_iiT3_T4_lilT5_lili.step_sizes
	.p2align	2, 0x0
__const._ZL38rocblas_trsm_small_left_device_sharedBILi4ELi4ELb1E19rocblas_complex_numIfES1_PKS1_PS1_Ev13rocblas_fill_18rocblas_operation_17rocblas_diagonal_iiT3_T4_lilT5_lili.step_sizes:
	.long	4                               ; 0x4
	.long	1                               ; 0x1
	;; [unrolled: 1-line block ×3, first 2 shown]
	.size	__const._ZL38rocblas_trsm_small_left_device_sharedBILi4ELi4ELb1E19rocblas_complex_numIfES1_PKS1_PS1_Ev13rocblas_fill_18rocblas_operation_17rocblas_diagonal_iiT3_T4_lilT5_lili.step_sizes, 12

	.type	__const._ZL30rocblas_trsm_small_left_deviceILi4ELi4ELb1E19rocblas_complex_numIfES1_PKS1_PS1_Ev13rocblas_fill_18rocblas_operation_17rocblas_diagonal_iiT3_T4_lilT5_lili.step_sizes,@object ; @__const._ZL30rocblas_trsm_small_left_deviceILi4ELi4ELb1E19rocblas_complex_numIfES1_PKS1_PS1_Ev13rocblas_fill_18rocblas_operation_17rocblas_diagonal_iiT3_T4_lilT5_lili.step_sizes
	.p2align	2, 0x0
__const._ZL30rocblas_trsm_small_left_deviceILi4ELi4ELb1E19rocblas_complex_numIfES1_PKS1_PS1_Ev13rocblas_fill_18rocblas_operation_17rocblas_diagonal_iiT3_T4_lilT5_lili.step_sizes:
	.long	4                               ; 0x4
	.long	1                               ; 0x1
	;; [unrolled: 1-line block ×3, first 2 shown]
	.size	__const._ZL30rocblas_trsm_small_left_deviceILi4ELi4ELb1E19rocblas_complex_numIfES1_PKS1_PS1_Ev13rocblas_fill_18rocblas_operation_17rocblas_diagonal_iiT3_T4_lilT5_lili.step_sizes, 12

	.type	__const._ZL38rocblas_trsm_small_left_device_sharedBILi8ELi8ELb0E19rocblas_complex_numIfES1_PKS1_PS1_Ev13rocblas_fill_18rocblas_operation_17rocblas_diagonal_iiT3_T4_lilT5_lili.step_sizes,@object ; @__const._ZL38rocblas_trsm_small_left_device_sharedBILi8ELi8ELb0E19rocblas_complex_numIfES1_PKS1_PS1_Ev13rocblas_fill_18rocblas_operation_17rocblas_diagonal_iiT3_T4_lilT5_lili.step_sizes
	.p2align	2, 0x0
__const._ZL38rocblas_trsm_small_left_device_sharedBILi8ELi8ELb0E19rocblas_complex_numIfES1_PKS1_PS1_Ev13rocblas_fill_18rocblas_operation_17rocblas_diagonal_iiT3_T4_lilT5_lili.step_sizes:
	.long	8                               ; 0x8
	.long	4                               ; 0x4
	;; [unrolled: 1-line block ×3, first 2 shown]
	.size	__const._ZL38rocblas_trsm_small_left_device_sharedBILi8ELi8ELb0E19rocblas_complex_numIfES1_PKS1_PS1_Ev13rocblas_fill_18rocblas_operation_17rocblas_diagonal_iiT3_T4_lilT5_lili.step_sizes, 12

	.type	__const._ZL30rocblas_trsm_small_left_deviceILi8ELi8ELb0E19rocblas_complex_numIfES1_PKS1_PS1_Ev13rocblas_fill_18rocblas_operation_17rocblas_diagonal_iiT3_T4_lilT5_lili.step_sizes,@object ; @__const._ZL30rocblas_trsm_small_left_deviceILi8ELi8ELb0E19rocblas_complex_numIfES1_PKS1_PS1_Ev13rocblas_fill_18rocblas_operation_17rocblas_diagonal_iiT3_T4_lilT5_lili.step_sizes
	.p2align	2, 0x0
__const._ZL30rocblas_trsm_small_left_deviceILi8ELi8ELb0E19rocblas_complex_numIfES1_PKS1_PS1_Ev13rocblas_fill_18rocblas_operation_17rocblas_diagonal_iiT3_T4_lilT5_lili.step_sizes:
	.long	8                               ; 0x8
	.long	4                               ; 0x4
	;; [unrolled: 1-line block ×3, first 2 shown]
	.size	__const._ZL30rocblas_trsm_small_left_deviceILi8ELi8ELb0E19rocblas_complex_numIfES1_PKS1_PS1_Ev13rocblas_fill_18rocblas_operation_17rocblas_diagonal_iiT3_T4_lilT5_lili.step_sizes, 12

	.type	__const._ZL38rocblas_trsm_small_left_device_sharedBILi8ELi8ELb1E19rocblas_complex_numIfES1_PKS1_PS1_Ev13rocblas_fill_18rocblas_operation_17rocblas_diagonal_iiT3_T4_lilT5_lili.step_sizes,@object ; @__const._ZL38rocblas_trsm_small_left_device_sharedBILi8ELi8ELb1E19rocblas_complex_numIfES1_PKS1_PS1_Ev13rocblas_fill_18rocblas_operation_17rocblas_diagonal_iiT3_T4_lilT5_lili.step_sizes
	.p2align	2, 0x0
__const._ZL38rocblas_trsm_small_left_device_sharedBILi8ELi8ELb1E19rocblas_complex_numIfES1_PKS1_PS1_Ev13rocblas_fill_18rocblas_operation_17rocblas_diagonal_iiT3_T4_lilT5_lili.step_sizes:
	.long	8                               ; 0x8
	.long	4                               ; 0x4
	;; [unrolled: 1-line block ×3, first 2 shown]
	.size	__const._ZL38rocblas_trsm_small_left_device_sharedBILi8ELi8ELb1E19rocblas_complex_numIfES1_PKS1_PS1_Ev13rocblas_fill_18rocblas_operation_17rocblas_diagonal_iiT3_T4_lilT5_lili.step_sizes, 12

	.type	__const._ZL30rocblas_trsm_small_left_deviceILi8ELi8ELb1E19rocblas_complex_numIfES1_PKS1_PS1_Ev13rocblas_fill_18rocblas_operation_17rocblas_diagonal_iiT3_T4_lilT5_lili.step_sizes,@object ; @__const._ZL30rocblas_trsm_small_left_deviceILi8ELi8ELb1E19rocblas_complex_numIfES1_PKS1_PS1_Ev13rocblas_fill_18rocblas_operation_17rocblas_diagonal_iiT3_T4_lilT5_lili.step_sizes
	.p2align	2, 0x0
__const._ZL30rocblas_trsm_small_left_deviceILi8ELi8ELb1E19rocblas_complex_numIfES1_PKS1_PS1_Ev13rocblas_fill_18rocblas_operation_17rocblas_diagonal_iiT3_T4_lilT5_lili.step_sizes:
	.long	8                               ; 0x8
	.long	4                               ; 0x4
	;; [unrolled: 1-line block ×3, first 2 shown]
	.size	__const._ZL30rocblas_trsm_small_left_deviceILi8ELi8ELb1E19rocblas_complex_numIfES1_PKS1_PS1_Ev13rocblas_fill_18rocblas_operation_17rocblas_diagonal_iiT3_T4_lilT5_lili.step_sizes, 12

	.type	__const._ZL38rocblas_trsm_small_left_device_sharedBILi12ELi12ELb0E19rocblas_complex_numIfES1_PKS1_PS1_Ev13rocblas_fill_18rocblas_operation_17rocblas_diagonal_iiT3_T4_lilT5_lili.step_sizes,@object ; @__const._ZL38rocblas_trsm_small_left_device_sharedBILi12ELi12ELb0E19rocblas_complex_numIfES1_PKS1_PS1_Ev13rocblas_fill_18rocblas_operation_17rocblas_diagonal_iiT3_T4_lilT5_lili.step_sizes
	.p2align	2, 0x0
__const._ZL38rocblas_trsm_small_left_device_sharedBILi12ELi12ELb0E19rocblas_complex_numIfES1_PKS1_PS1_Ev13rocblas_fill_18rocblas_operation_17rocblas_diagonal_iiT3_T4_lilT5_lili.step_sizes:
	.long	12                              ; 0xc
	.long	8                               ; 0x8
	.long	1                               ; 0x1
	.size	__const._ZL38rocblas_trsm_small_left_device_sharedBILi12ELi12ELb0E19rocblas_complex_numIfES1_PKS1_PS1_Ev13rocblas_fill_18rocblas_operation_17rocblas_diagonal_iiT3_T4_lilT5_lili.step_sizes, 12

	.type	__const._ZL30rocblas_trsm_small_left_deviceILi12ELi12ELb0E19rocblas_complex_numIfES1_PKS1_PS1_Ev13rocblas_fill_18rocblas_operation_17rocblas_diagonal_iiT3_T4_lilT5_lili.step_sizes,@object ; @__const._ZL30rocblas_trsm_small_left_deviceILi12ELi12ELb0E19rocblas_complex_numIfES1_PKS1_PS1_Ev13rocblas_fill_18rocblas_operation_17rocblas_diagonal_iiT3_T4_lilT5_lili.step_sizes
	.p2align	2, 0x0
__const._ZL30rocblas_trsm_small_left_deviceILi12ELi12ELb0E19rocblas_complex_numIfES1_PKS1_PS1_Ev13rocblas_fill_18rocblas_operation_17rocblas_diagonal_iiT3_T4_lilT5_lili.step_sizes:
	.long	12                              ; 0xc
	.long	8                               ; 0x8
	.long	1                               ; 0x1
	.size	__const._ZL30rocblas_trsm_small_left_deviceILi12ELi12ELb0E19rocblas_complex_numIfES1_PKS1_PS1_Ev13rocblas_fill_18rocblas_operation_17rocblas_diagonal_iiT3_T4_lilT5_lili.step_sizes, 12

	.type	__const._ZL38rocblas_trsm_small_left_device_sharedBILi12ELi12ELb1E19rocblas_complex_numIfES1_PKS1_PS1_Ev13rocblas_fill_18rocblas_operation_17rocblas_diagonal_iiT3_T4_lilT5_lili.step_sizes,@object ; @__const._ZL38rocblas_trsm_small_left_device_sharedBILi12ELi12ELb1E19rocblas_complex_numIfES1_PKS1_PS1_Ev13rocblas_fill_18rocblas_operation_17rocblas_diagonal_iiT3_T4_lilT5_lili.step_sizes
	.p2align	2, 0x0
__const._ZL38rocblas_trsm_small_left_device_sharedBILi12ELi12ELb1E19rocblas_complex_numIfES1_PKS1_PS1_Ev13rocblas_fill_18rocblas_operation_17rocblas_diagonal_iiT3_T4_lilT5_lili.step_sizes:
	.long	12                              ; 0xc
	.long	8                               ; 0x8
	.long	1                               ; 0x1
	.size	__const._ZL38rocblas_trsm_small_left_device_sharedBILi12ELi12ELb1E19rocblas_complex_numIfES1_PKS1_PS1_Ev13rocblas_fill_18rocblas_operation_17rocblas_diagonal_iiT3_T4_lilT5_lili.step_sizes, 12

	.type	__const._ZL30rocblas_trsm_small_left_deviceILi12ELi12ELb1E19rocblas_complex_numIfES1_PKS1_PS1_Ev13rocblas_fill_18rocblas_operation_17rocblas_diagonal_iiT3_T4_lilT5_lili.step_sizes,@object ; @__const._ZL30rocblas_trsm_small_left_deviceILi12ELi12ELb1E19rocblas_complex_numIfES1_PKS1_PS1_Ev13rocblas_fill_18rocblas_operation_17rocblas_diagonal_iiT3_T4_lilT5_lili.step_sizes
	.p2align	2, 0x0
__const._ZL30rocblas_trsm_small_left_deviceILi12ELi12ELb1E19rocblas_complex_numIfES1_PKS1_PS1_Ev13rocblas_fill_18rocblas_operation_17rocblas_diagonal_iiT3_T4_lilT5_lili.step_sizes:
	.long	12                              ; 0xc
	.long	8                               ; 0x8
	.long	1                               ; 0x1
	.size	__const._ZL30rocblas_trsm_small_left_deviceILi12ELi12ELb1E19rocblas_complex_numIfES1_PKS1_PS1_Ev13rocblas_fill_18rocblas_operation_17rocblas_diagonal_iiT3_T4_lilT5_lili.step_sizes, 12

	.type	__const._ZL38rocblas_trsm_small_left_device_sharedBILi16ELi16ELb0E19rocblas_complex_numIfES1_PKS1_PS1_Ev13rocblas_fill_18rocblas_operation_17rocblas_diagonal_iiT3_T4_lilT5_lili.step_sizes,@object ; @__const._ZL38rocblas_trsm_small_left_device_sharedBILi16ELi16ELb0E19rocblas_complex_numIfES1_PKS1_PS1_Ev13rocblas_fill_18rocblas_operation_17rocblas_diagonal_iiT3_T4_lilT5_lili.step_sizes
	.p2align	2, 0x0
__const._ZL38rocblas_trsm_small_left_device_sharedBILi16ELi16ELb0E19rocblas_complex_numIfES1_PKS1_PS1_Ev13rocblas_fill_18rocblas_operation_17rocblas_diagonal_iiT3_T4_lilT5_lili.step_sizes:
	.long	16                              ; 0x10
	.long	12                              ; 0xc
	.long	1                               ; 0x1
	.size	__const._ZL38rocblas_trsm_small_left_device_sharedBILi16ELi16ELb0E19rocblas_complex_numIfES1_PKS1_PS1_Ev13rocblas_fill_18rocblas_operation_17rocblas_diagonal_iiT3_T4_lilT5_lili.step_sizes, 12

	.type	__const._ZL30rocblas_trsm_small_left_deviceILi16ELi16ELb0E19rocblas_complex_numIfES1_PKS1_PS1_Ev13rocblas_fill_18rocblas_operation_17rocblas_diagonal_iiT3_T4_lilT5_lili.step_sizes,@object ; @__const._ZL30rocblas_trsm_small_left_deviceILi16ELi16ELb0E19rocblas_complex_numIfES1_PKS1_PS1_Ev13rocblas_fill_18rocblas_operation_17rocblas_diagonal_iiT3_T4_lilT5_lili.step_sizes
	.p2align	2, 0x0
__const._ZL30rocblas_trsm_small_left_deviceILi16ELi16ELb0E19rocblas_complex_numIfES1_PKS1_PS1_Ev13rocblas_fill_18rocblas_operation_17rocblas_diagonal_iiT3_T4_lilT5_lili.step_sizes:
	.long	16                              ; 0x10
	.long	12                              ; 0xc
	.long	1                               ; 0x1
	.size	__const._ZL30rocblas_trsm_small_left_deviceILi16ELi16ELb0E19rocblas_complex_numIfES1_PKS1_PS1_Ev13rocblas_fill_18rocblas_operation_17rocblas_diagonal_iiT3_T4_lilT5_lili.step_sizes, 12

	.type	__const._ZL38rocblas_trsm_small_left_device_sharedBILi16ELi16ELb1E19rocblas_complex_numIfES1_PKS1_PS1_Ev13rocblas_fill_18rocblas_operation_17rocblas_diagonal_iiT3_T4_lilT5_lili.step_sizes,@object ; @__const._ZL38rocblas_trsm_small_left_device_sharedBILi16ELi16ELb1E19rocblas_complex_numIfES1_PKS1_PS1_Ev13rocblas_fill_18rocblas_operation_17rocblas_diagonal_iiT3_T4_lilT5_lili.step_sizes
	.p2align	2, 0x0
__const._ZL38rocblas_trsm_small_left_device_sharedBILi16ELi16ELb1E19rocblas_complex_numIfES1_PKS1_PS1_Ev13rocblas_fill_18rocblas_operation_17rocblas_diagonal_iiT3_T4_lilT5_lili.step_sizes:
	.long	16                              ; 0x10
	.long	12                              ; 0xc
	.long	1                               ; 0x1
	.size	__const._ZL38rocblas_trsm_small_left_device_sharedBILi16ELi16ELb1E19rocblas_complex_numIfES1_PKS1_PS1_Ev13rocblas_fill_18rocblas_operation_17rocblas_diagonal_iiT3_T4_lilT5_lili.step_sizes, 12

	.type	__const._ZL30rocblas_trsm_small_left_deviceILi16ELi16ELb1E19rocblas_complex_numIfES1_PKS1_PS1_Ev13rocblas_fill_18rocblas_operation_17rocblas_diagonal_iiT3_T4_lilT5_lili.step_sizes,@object ; @__const._ZL30rocblas_trsm_small_left_deviceILi16ELi16ELb1E19rocblas_complex_numIfES1_PKS1_PS1_Ev13rocblas_fill_18rocblas_operation_17rocblas_diagonal_iiT3_T4_lilT5_lili.step_sizes
	.p2align	2, 0x0
__const._ZL30rocblas_trsm_small_left_deviceILi16ELi16ELb1E19rocblas_complex_numIfES1_PKS1_PS1_Ev13rocblas_fill_18rocblas_operation_17rocblas_diagonal_iiT3_T4_lilT5_lili.step_sizes:
	.long	16                              ; 0x10
	.long	12                              ; 0xc
	.long	1                               ; 0x1
	.size	__const._ZL30rocblas_trsm_small_left_deviceILi16ELi16ELb1E19rocblas_complex_numIfES1_PKS1_PS1_Ev13rocblas_fill_18rocblas_operation_17rocblas_diagonal_iiT3_T4_lilT5_lili.step_sizes, 12

	.type	__const._ZL38rocblas_trsm_small_left_device_sharedBILi20ELi20ELb0E19rocblas_complex_numIfES1_PKS1_PS1_Ev13rocblas_fill_18rocblas_operation_17rocblas_diagonal_iiT3_T4_lilT5_lili.step_sizes,@object ; @__const._ZL38rocblas_trsm_small_left_device_sharedBILi20ELi20ELb0E19rocblas_complex_numIfES1_PKS1_PS1_Ev13rocblas_fill_18rocblas_operation_17rocblas_diagonal_iiT3_T4_lilT5_lili.step_sizes
	.p2align	2, 0x0
__const._ZL38rocblas_trsm_small_left_device_sharedBILi20ELi20ELb0E19rocblas_complex_numIfES1_PKS1_PS1_Ev13rocblas_fill_18rocblas_operation_17rocblas_diagonal_iiT3_T4_lilT5_lili.step_sizes:
	.long	20                              ; 0x14
	.long	16                              ; 0x10
	.long	1                               ; 0x1
	.size	__const._ZL38rocblas_trsm_small_left_device_sharedBILi20ELi20ELb0E19rocblas_complex_numIfES1_PKS1_PS1_Ev13rocblas_fill_18rocblas_operation_17rocblas_diagonal_iiT3_T4_lilT5_lili.step_sizes, 12

	.type	__const._ZL30rocblas_trsm_small_left_deviceILi20ELi20ELb0E19rocblas_complex_numIfES1_PKS1_PS1_Ev13rocblas_fill_18rocblas_operation_17rocblas_diagonal_iiT3_T4_lilT5_lili.step_sizes,@object ; @__const._ZL30rocblas_trsm_small_left_deviceILi20ELi20ELb0E19rocblas_complex_numIfES1_PKS1_PS1_Ev13rocblas_fill_18rocblas_operation_17rocblas_diagonal_iiT3_T4_lilT5_lili.step_sizes
	.p2align	2, 0x0
__const._ZL30rocblas_trsm_small_left_deviceILi20ELi20ELb0E19rocblas_complex_numIfES1_PKS1_PS1_Ev13rocblas_fill_18rocblas_operation_17rocblas_diagonal_iiT3_T4_lilT5_lili.step_sizes:
	.long	20                              ; 0x14
	.long	16                              ; 0x10
	.long	1                               ; 0x1
	.size	__const._ZL30rocblas_trsm_small_left_deviceILi20ELi20ELb0E19rocblas_complex_numIfES1_PKS1_PS1_Ev13rocblas_fill_18rocblas_operation_17rocblas_diagonal_iiT3_T4_lilT5_lili.step_sizes, 12

	.type	__const._ZL38rocblas_trsm_small_left_device_sharedBILi20ELi20ELb1E19rocblas_complex_numIfES1_PKS1_PS1_Ev13rocblas_fill_18rocblas_operation_17rocblas_diagonal_iiT3_T4_lilT5_lili.step_sizes,@object ; @__const._ZL38rocblas_trsm_small_left_device_sharedBILi20ELi20ELb1E19rocblas_complex_numIfES1_PKS1_PS1_Ev13rocblas_fill_18rocblas_operation_17rocblas_diagonal_iiT3_T4_lilT5_lili.step_sizes
	.p2align	2, 0x0
__const._ZL38rocblas_trsm_small_left_device_sharedBILi20ELi20ELb1E19rocblas_complex_numIfES1_PKS1_PS1_Ev13rocblas_fill_18rocblas_operation_17rocblas_diagonal_iiT3_T4_lilT5_lili.step_sizes:
	.long	20                              ; 0x14
	.long	16                              ; 0x10
	.long	1                               ; 0x1
	.size	__const._ZL38rocblas_trsm_small_left_device_sharedBILi20ELi20ELb1E19rocblas_complex_numIfES1_PKS1_PS1_Ev13rocblas_fill_18rocblas_operation_17rocblas_diagonal_iiT3_T4_lilT5_lili.step_sizes, 12

	.type	__const._ZL30rocblas_trsm_small_left_deviceILi20ELi20ELb1E19rocblas_complex_numIfES1_PKS1_PS1_Ev13rocblas_fill_18rocblas_operation_17rocblas_diagonal_iiT3_T4_lilT5_lili.step_sizes,@object ; @__const._ZL30rocblas_trsm_small_left_deviceILi20ELi20ELb1E19rocblas_complex_numIfES1_PKS1_PS1_Ev13rocblas_fill_18rocblas_operation_17rocblas_diagonal_iiT3_T4_lilT5_lili.step_sizes
	.p2align	2, 0x0
__const._ZL30rocblas_trsm_small_left_deviceILi20ELi20ELb1E19rocblas_complex_numIfES1_PKS1_PS1_Ev13rocblas_fill_18rocblas_operation_17rocblas_diagonal_iiT3_T4_lilT5_lili.step_sizes:
	.long	20                              ; 0x14
	.long	16                              ; 0x10
	.long	1                               ; 0x1
	.size	__const._ZL30rocblas_trsm_small_left_deviceILi20ELi20ELb1E19rocblas_complex_numIfES1_PKS1_PS1_Ev13rocblas_fill_18rocblas_operation_17rocblas_diagonal_iiT3_T4_lilT5_lili.step_sizes, 12

	.type	__const._ZL38rocblas_trsm_small_left_device_sharedBILi24ELi24ELb0E19rocblas_complex_numIfES1_PKS1_PS1_Ev13rocblas_fill_18rocblas_operation_17rocblas_diagonal_iiT3_T4_lilT5_lili.step_sizes,@object ; @__const._ZL38rocblas_trsm_small_left_device_sharedBILi24ELi24ELb0E19rocblas_complex_numIfES1_PKS1_PS1_Ev13rocblas_fill_18rocblas_operation_17rocblas_diagonal_iiT3_T4_lilT5_lili.step_sizes
	.p2align	2, 0x0
__const._ZL38rocblas_trsm_small_left_device_sharedBILi24ELi24ELb0E19rocblas_complex_numIfES1_PKS1_PS1_Ev13rocblas_fill_18rocblas_operation_17rocblas_diagonal_iiT3_T4_lilT5_lili.step_sizes:
	.long	24                              ; 0x18
	.long	20                              ; 0x14
	.long	1                               ; 0x1
	.size	__const._ZL38rocblas_trsm_small_left_device_sharedBILi24ELi24ELb0E19rocblas_complex_numIfES1_PKS1_PS1_Ev13rocblas_fill_18rocblas_operation_17rocblas_diagonal_iiT3_T4_lilT5_lili.step_sizes, 12

	.type	__const._ZL30rocblas_trsm_small_left_deviceILi24ELi24ELb0E19rocblas_complex_numIfES1_PKS1_PS1_Ev13rocblas_fill_18rocblas_operation_17rocblas_diagonal_iiT3_T4_lilT5_lili.step_sizes,@object ; @__const._ZL30rocblas_trsm_small_left_deviceILi24ELi24ELb0E19rocblas_complex_numIfES1_PKS1_PS1_Ev13rocblas_fill_18rocblas_operation_17rocblas_diagonal_iiT3_T4_lilT5_lili.step_sizes
	.p2align	2, 0x0
__const._ZL30rocblas_trsm_small_left_deviceILi24ELi24ELb0E19rocblas_complex_numIfES1_PKS1_PS1_Ev13rocblas_fill_18rocblas_operation_17rocblas_diagonal_iiT3_T4_lilT5_lili.step_sizes:
	.long	24                              ; 0x18
	.long	20                              ; 0x14
	.long	1                               ; 0x1
	.size	__const._ZL30rocblas_trsm_small_left_deviceILi24ELi24ELb0E19rocblas_complex_numIfES1_PKS1_PS1_Ev13rocblas_fill_18rocblas_operation_17rocblas_diagonal_iiT3_T4_lilT5_lili.step_sizes, 12

	.type	__const._ZL38rocblas_trsm_small_left_device_sharedBILi24ELi24ELb1E19rocblas_complex_numIfES1_PKS1_PS1_Ev13rocblas_fill_18rocblas_operation_17rocblas_diagonal_iiT3_T4_lilT5_lili.step_sizes,@object ; @__const._ZL38rocblas_trsm_small_left_device_sharedBILi24ELi24ELb1E19rocblas_complex_numIfES1_PKS1_PS1_Ev13rocblas_fill_18rocblas_operation_17rocblas_diagonal_iiT3_T4_lilT5_lili.step_sizes
	.p2align	2, 0x0
__const._ZL38rocblas_trsm_small_left_device_sharedBILi24ELi24ELb1E19rocblas_complex_numIfES1_PKS1_PS1_Ev13rocblas_fill_18rocblas_operation_17rocblas_diagonal_iiT3_T4_lilT5_lili.step_sizes:
	.long	24                              ; 0x18
	.long	20                              ; 0x14
	.long	1                               ; 0x1
	.size	__const._ZL38rocblas_trsm_small_left_device_sharedBILi24ELi24ELb1E19rocblas_complex_numIfES1_PKS1_PS1_Ev13rocblas_fill_18rocblas_operation_17rocblas_diagonal_iiT3_T4_lilT5_lili.step_sizes, 12

	.type	__const._ZL30rocblas_trsm_small_left_deviceILi24ELi24ELb1E19rocblas_complex_numIfES1_PKS1_PS1_Ev13rocblas_fill_18rocblas_operation_17rocblas_diagonal_iiT3_T4_lilT5_lili.step_sizes,@object ; @__const._ZL30rocblas_trsm_small_left_deviceILi24ELi24ELb1E19rocblas_complex_numIfES1_PKS1_PS1_Ev13rocblas_fill_18rocblas_operation_17rocblas_diagonal_iiT3_T4_lilT5_lili.step_sizes
	.p2align	2, 0x0
__const._ZL30rocblas_trsm_small_left_deviceILi24ELi24ELb1E19rocblas_complex_numIfES1_PKS1_PS1_Ev13rocblas_fill_18rocblas_operation_17rocblas_diagonal_iiT3_T4_lilT5_lili.step_sizes:
	.long	24                              ; 0x18
	.long	20                              ; 0x14
	.long	1                               ; 0x1
	.size	__const._ZL30rocblas_trsm_small_left_deviceILi24ELi24ELb1E19rocblas_complex_numIfES1_PKS1_PS1_Ev13rocblas_fill_18rocblas_operation_17rocblas_diagonal_iiT3_T4_lilT5_lili.step_sizes, 12

	.type	__const._ZL38rocblas_trsm_small_left_device_sharedBILi28ELi28ELb0E19rocblas_complex_numIfES1_PKS1_PS1_Ev13rocblas_fill_18rocblas_operation_17rocblas_diagonal_iiT3_T4_lilT5_lili.step_sizes,@object ; @__const._ZL38rocblas_trsm_small_left_device_sharedBILi28ELi28ELb0E19rocblas_complex_numIfES1_PKS1_PS1_Ev13rocblas_fill_18rocblas_operation_17rocblas_diagonal_iiT3_T4_lilT5_lili.step_sizes
	.p2align	2, 0x0
__const._ZL38rocblas_trsm_small_left_device_sharedBILi28ELi28ELb0E19rocblas_complex_numIfES1_PKS1_PS1_Ev13rocblas_fill_18rocblas_operation_17rocblas_diagonal_iiT3_T4_lilT5_lili.step_sizes:
	.long	28                              ; 0x1c
	.long	24                              ; 0x18
	.long	1                               ; 0x1
	.size	__const._ZL38rocblas_trsm_small_left_device_sharedBILi28ELi28ELb0E19rocblas_complex_numIfES1_PKS1_PS1_Ev13rocblas_fill_18rocblas_operation_17rocblas_diagonal_iiT3_T4_lilT5_lili.step_sizes, 12

	.type	__const._ZL30rocblas_trsm_small_left_deviceILi28ELi28ELb0E19rocblas_complex_numIfES1_PKS1_PS1_Ev13rocblas_fill_18rocblas_operation_17rocblas_diagonal_iiT3_T4_lilT5_lili.step_sizes,@object ; @__const._ZL30rocblas_trsm_small_left_deviceILi28ELi28ELb0E19rocblas_complex_numIfES1_PKS1_PS1_Ev13rocblas_fill_18rocblas_operation_17rocblas_diagonal_iiT3_T4_lilT5_lili.step_sizes
	.p2align	2, 0x0
__const._ZL30rocblas_trsm_small_left_deviceILi28ELi28ELb0E19rocblas_complex_numIfES1_PKS1_PS1_Ev13rocblas_fill_18rocblas_operation_17rocblas_diagonal_iiT3_T4_lilT5_lili.step_sizes:
	.long	28                              ; 0x1c
	.long	24                              ; 0x18
	.long	1                               ; 0x1
	.size	__const._ZL30rocblas_trsm_small_left_deviceILi28ELi28ELb0E19rocblas_complex_numIfES1_PKS1_PS1_Ev13rocblas_fill_18rocblas_operation_17rocblas_diagonal_iiT3_T4_lilT5_lili.step_sizes, 12

	.type	__const._ZL38rocblas_trsm_small_left_device_sharedBILi28ELi28ELb1E19rocblas_complex_numIfES1_PKS1_PS1_Ev13rocblas_fill_18rocblas_operation_17rocblas_diagonal_iiT3_T4_lilT5_lili.step_sizes,@object ; @__const._ZL38rocblas_trsm_small_left_device_sharedBILi28ELi28ELb1E19rocblas_complex_numIfES1_PKS1_PS1_Ev13rocblas_fill_18rocblas_operation_17rocblas_diagonal_iiT3_T4_lilT5_lili.step_sizes
	.p2align	2, 0x0
__const._ZL38rocblas_trsm_small_left_device_sharedBILi28ELi28ELb1E19rocblas_complex_numIfES1_PKS1_PS1_Ev13rocblas_fill_18rocblas_operation_17rocblas_diagonal_iiT3_T4_lilT5_lili.step_sizes:
	.long	28                              ; 0x1c
	.long	24                              ; 0x18
	.long	1                               ; 0x1
	.size	__const._ZL38rocblas_trsm_small_left_device_sharedBILi28ELi28ELb1E19rocblas_complex_numIfES1_PKS1_PS1_Ev13rocblas_fill_18rocblas_operation_17rocblas_diagonal_iiT3_T4_lilT5_lili.step_sizes, 12

	.type	__const._ZL30rocblas_trsm_small_left_deviceILi28ELi28ELb1E19rocblas_complex_numIfES1_PKS1_PS1_Ev13rocblas_fill_18rocblas_operation_17rocblas_diagonal_iiT3_T4_lilT5_lili.step_sizes,@object ; @__const._ZL30rocblas_trsm_small_left_deviceILi28ELi28ELb1E19rocblas_complex_numIfES1_PKS1_PS1_Ev13rocblas_fill_18rocblas_operation_17rocblas_diagonal_iiT3_T4_lilT5_lili.step_sizes
	.p2align	2, 0x0
__const._ZL30rocblas_trsm_small_left_deviceILi28ELi28ELb1E19rocblas_complex_numIfES1_PKS1_PS1_Ev13rocblas_fill_18rocblas_operation_17rocblas_diagonal_iiT3_T4_lilT5_lili.step_sizes:
	.long	28                              ; 0x1c
	.long	24                              ; 0x18
	.long	1                               ; 0x1
	.size	__const._ZL30rocblas_trsm_small_left_deviceILi28ELi28ELb1E19rocblas_complex_numIfES1_PKS1_PS1_Ev13rocblas_fill_18rocblas_operation_17rocblas_diagonal_iiT3_T4_lilT5_lili.step_sizes, 12

	.type	__const._ZL38rocblas_trsm_small_left_device_sharedBILi32ELi32ELb0E19rocblas_complex_numIfES1_PKS1_PS1_Ev13rocblas_fill_18rocblas_operation_17rocblas_diagonal_iiT3_T4_lilT5_lili.step_sizes,@object ; @__const._ZL38rocblas_trsm_small_left_device_sharedBILi32ELi32ELb0E19rocblas_complex_numIfES1_PKS1_PS1_Ev13rocblas_fill_18rocblas_operation_17rocblas_diagonal_iiT3_T4_lilT5_lili.step_sizes
	.p2align	2, 0x0
__const._ZL38rocblas_trsm_small_left_device_sharedBILi32ELi32ELb0E19rocblas_complex_numIfES1_PKS1_PS1_Ev13rocblas_fill_18rocblas_operation_17rocblas_diagonal_iiT3_T4_lilT5_lili.step_sizes:
	.long	32                              ; 0x20
	.long	28                              ; 0x1c
	.long	1                               ; 0x1
	.size	__const._ZL38rocblas_trsm_small_left_device_sharedBILi32ELi32ELb0E19rocblas_complex_numIfES1_PKS1_PS1_Ev13rocblas_fill_18rocblas_operation_17rocblas_diagonal_iiT3_T4_lilT5_lili.step_sizes, 12

	.type	__const._ZL30rocblas_trsm_small_left_deviceILi32ELi32ELb0E19rocblas_complex_numIfES1_PKS1_PS1_Ev13rocblas_fill_18rocblas_operation_17rocblas_diagonal_iiT3_T4_lilT5_lili.step_sizes,@object ; @__const._ZL30rocblas_trsm_small_left_deviceILi32ELi32ELb0E19rocblas_complex_numIfES1_PKS1_PS1_Ev13rocblas_fill_18rocblas_operation_17rocblas_diagonal_iiT3_T4_lilT5_lili.step_sizes
	.p2align	2, 0x0
__const._ZL30rocblas_trsm_small_left_deviceILi32ELi32ELb0E19rocblas_complex_numIfES1_PKS1_PS1_Ev13rocblas_fill_18rocblas_operation_17rocblas_diagonal_iiT3_T4_lilT5_lili.step_sizes:
	.long	32                              ; 0x20
	.long	28                              ; 0x1c
	.long	1                               ; 0x1
	.size	__const._ZL30rocblas_trsm_small_left_deviceILi32ELi32ELb0E19rocblas_complex_numIfES1_PKS1_PS1_Ev13rocblas_fill_18rocblas_operation_17rocblas_diagonal_iiT3_T4_lilT5_lili.step_sizes, 12

	.type	__const._ZL38rocblas_trsm_small_left_device_sharedBILi32ELi32ELb1E19rocblas_complex_numIfES1_PKS1_PS1_Ev13rocblas_fill_18rocblas_operation_17rocblas_diagonal_iiT3_T4_lilT5_lili.step_sizes,@object ; @__const._ZL38rocblas_trsm_small_left_device_sharedBILi32ELi32ELb1E19rocblas_complex_numIfES1_PKS1_PS1_Ev13rocblas_fill_18rocblas_operation_17rocblas_diagonal_iiT3_T4_lilT5_lili.step_sizes
	.p2align	2, 0x0
__const._ZL38rocblas_trsm_small_left_device_sharedBILi32ELi32ELb1E19rocblas_complex_numIfES1_PKS1_PS1_Ev13rocblas_fill_18rocblas_operation_17rocblas_diagonal_iiT3_T4_lilT5_lili.step_sizes:
	.long	32                              ; 0x20
	.long	28                              ; 0x1c
	.long	1                               ; 0x1
	.size	__const._ZL38rocblas_trsm_small_left_device_sharedBILi32ELi32ELb1E19rocblas_complex_numIfES1_PKS1_PS1_Ev13rocblas_fill_18rocblas_operation_17rocblas_diagonal_iiT3_T4_lilT5_lili.step_sizes, 12

	.type	__const._ZL30rocblas_trsm_small_left_deviceILi32ELi32ELb1E19rocblas_complex_numIfES1_PKS1_PS1_Ev13rocblas_fill_18rocblas_operation_17rocblas_diagonal_iiT3_T4_lilT5_lili.step_sizes,@object ; @__const._ZL30rocblas_trsm_small_left_deviceILi32ELi32ELb1E19rocblas_complex_numIfES1_PKS1_PS1_Ev13rocblas_fill_18rocblas_operation_17rocblas_diagonal_iiT3_T4_lilT5_lili.step_sizes
	.p2align	2, 0x0
__const._ZL30rocblas_trsm_small_left_deviceILi32ELi32ELb1E19rocblas_complex_numIfES1_PKS1_PS1_Ev13rocblas_fill_18rocblas_operation_17rocblas_diagonal_iiT3_T4_lilT5_lili.step_sizes:
	.long	32                              ; 0x20
	.long	28                              ; 0x1c
	.long	1                               ; 0x1
	.size	__const._ZL30rocblas_trsm_small_left_deviceILi32ELi32ELb1E19rocblas_complex_numIfES1_PKS1_PS1_Ev13rocblas_fill_18rocblas_operation_17rocblas_diagonal_iiT3_T4_lilT5_lili.step_sizes, 12

	.type	__const._ZL38rocblas_trsm_small_left_device_sharedBILi64ELi32ELb0E19rocblas_complex_numIfES1_PKS1_PS1_Ev13rocblas_fill_18rocblas_operation_17rocblas_diagonal_iiT3_T4_lilT5_lili.step_sizes,@object ; @__const._ZL38rocblas_trsm_small_left_device_sharedBILi64ELi32ELb0E19rocblas_complex_numIfES1_PKS1_PS1_Ev13rocblas_fill_18rocblas_operation_17rocblas_diagonal_iiT3_T4_lilT5_lili.step_sizes
	.p2align	2, 0x0
__const._ZL38rocblas_trsm_small_left_device_sharedBILi64ELi32ELb0E19rocblas_complex_numIfES1_PKS1_PS1_Ev13rocblas_fill_18rocblas_operation_17rocblas_diagonal_iiT3_T4_lilT5_lili.step_sizes:
	.long	32                              ; 0x20
	.long	4                               ; 0x4
	.long	1                               ; 0x1
	.size	__const._ZL38rocblas_trsm_small_left_device_sharedBILi64ELi32ELb0E19rocblas_complex_numIfES1_PKS1_PS1_Ev13rocblas_fill_18rocblas_operation_17rocblas_diagonal_iiT3_T4_lilT5_lili.step_sizes, 12

	.type	__const._ZL30rocblas_trsm_small_left_deviceILi64ELi32ELb0E19rocblas_complex_numIfES1_PKS1_PS1_Ev13rocblas_fill_18rocblas_operation_17rocblas_diagonal_iiT3_T4_lilT5_lili.step_sizes,@object ; @__const._ZL30rocblas_trsm_small_left_deviceILi64ELi32ELb0E19rocblas_complex_numIfES1_PKS1_PS1_Ev13rocblas_fill_18rocblas_operation_17rocblas_diagonal_iiT3_T4_lilT5_lili.step_sizes
	.p2align	2, 0x0
__const._ZL30rocblas_trsm_small_left_deviceILi64ELi32ELb0E19rocblas_complex_numIfES1_PKS1_PS1_Ev13rocblas_fill_18rocblas_operation_17rocblas_diagonal_iiT3_T4_lilT5_lili.step_sizes:
	.long	32                              ; 0x20
	.long	4                               ; 0x4
	.long	1                               ; 0x1
	.size	__const._ZL30rocblas_trsm_small_left_deviceILi64ELi32ELb0E19rocblas_complex_numIfES1_PKS1_PS1_Ev13rocblas_fill_18rocblas_operation_17rocblas_diagonal_iiT3_T4_lilT5_lili.step_sizes, 12

	.type	__const._ZL38rocblas_trsm_small_left_device_sharedBILi64ELi32ELb1E19rocblas_complex_numIfES1_PKS1_PS1_Ev13rocblas_fill_18rocblas_operation_17rocblas_diagonal_iiT3_T4_lilT5_lili.step_sizes,@object ; @__const._ZL38rocblas_trsm_small_left_device_sharedBILi64ELi32ELb1E19rocblas_complex_numIfES1_PKS1_PS1_Ev13rocblas_fill_18rocblas_operation_17rocblas_diagonal_iiT3_T4_lilT5_lili.step_sizes
	.p2align	2, 0x0
__const._ZL38rocblas_trsm_small_left_device_sharedBILi64ELi32ELb1E19rocblas_complex_numIfES1_PKS1_PS1_Ev13rocblas_fill_18rocblas_operation_17rocblas_diagonal_iiT3_T4_lilT5_lili.step_sizes:
	.long	32                              ; 0x20
	.long	4                               ; 0x4
	.long	1                               ; 0x1
	.size	__const._ZL38rocblas_trsm_small_left_device_sharedBILi64ELi32ELb1E19rocblas_complex_numIfES1_PKS1_PS1_Ev13rocblas_fill_18rocblas_operation_17rocblas_diagonal_iiT3_T4_lilT5_lili.step_sizes, 12

	.type	__const._ZL30rocblas_trsm_small_left_deviceILi64ELi32ELb1E19rocblas_complex_numIfES1_PKS1_PS1_Ev13rocblas_fill_18rocblas_operation_17rocblas_diagonal_iiT3_T4_lilT5_lili.step_sizes,@object ; @__const._ZL30rocblas_trsm_small_left_deviceILi64ELi32ELb1E19rocblas_complex_numIfES1_PKS1_PS1_Ev13rocblas_fill_18rocblas_operation_17rocblas_diagonal_iiT3_T4_lilT5_lili.step_sizes
	.p2align	2, 0x0
__const._ZL30rocblas_trsm_small_left_deviceILi64ELi32ELb1E19rocblas_complex_numIfES1_PKS1_PS1_Ev13rocblas_fill_18rocblas_operation_17rocblas_diagonal_iiT3_T4_lilT5_lili.step_sizes:
	.long	32                              ; 0x20
	.long	4                               ; 0x4
	.long	1                               ; 0x1
	.size	__const._ZL30rocblas_trsm_small_left_deviceILi64ELi32ELb1E19rocblas_complex_numIfES1_PKS1_PS1_Ev13rocblas_fill_18rocblas_operation_17rocblas_diagonal_iiT3_T4_lilT5_lili.step_sizes, 12

	.type	__const._ZL38rocblas_trsm_small_left_device_sharedBILi4ELi4ELb0E19rocblas_complex_numIdES1_PKS1_PS1_Ev13rocblas_fill_18rocblas_operation_17rocblas_diagonal_iiT3_T4_lilT5_lili.step_sizes,@object ; @__const._ZL38rocblas_trsm_small_left_device_sharedBILi4ELi4ELb0E19rocblas_complex_numIdES1_PKS1_PS1_Ev13rocblas_fill_18rocblas_operation_17rocblas_diagonal_iiT3_T4_lilT5_lili.step_sizes
	.p2align	2, 0x0
__const._ZL38rocblas_trsm_small_left_device_sharedBILi4ELi4ELb0E19rocblas_complex_numIdES1_PKS1_PS1_Ev13rocblas_fill_18rocblas_operation_17rocblas_diagonal_iiT3_T4_lilT5_lili.step_sizes:
	.long	4                               ; 0x4
	.long	1                               ; 0x1
	;; [unrolled: 1-line block ×3, first 2 shown]
	.size	__const._ZL38rocblas_trsm_small_left_device_sharedBILi4ELi4ELb0E19rocblas_complex_numIdES1_PKS1_PS1_Ev13rocblas_fill_18rocblas_operation_17rocblas_diagonal_iiT3_T4_lilT5_lili.step_sizes, 12

	.type	__const._ZL30rocblas_trsm_small_left_deviceILi4ELi4ELb0E19rocblas_complex_numIdES1_PKS1_PS1_Ev13rocblas_fill_18rocblas_operation_17rocblas_diagonal_iiT3_T4_lilT5_lili.step_sizes,@object ; @__const._ZL30rocblas_trsm_small_left_deviceILi4ELi4ELb0E19rocblas_complex_numIdES1_PKS1_PS1_Ev13rocblas_fill_18rocblas_operation_17rocblas_diagonal_iiT3_T4_lilT5_lili.step_sizes
	.p2align	2, 0x0
__const._ZL30rocblas_trsm_small_left_deviceILi4ELi4ELb0E19rocblas_complex_numIdES1_PKS1_PS1_Ev13rocblas_fill_18rocblas_operation_17rocblas_diagonal_iiT3_T4_lilT5_lili.step_sizes:
	.long	4                               ; 0x4
	.long	1                               ; 0x1
	;; [unrolled: 1-line block ×3, first 2 shown]
	.size	__const._ZL30rocblas_trsm_small_left_deviceILi4ELi4ELb0E19rocblas_complex_numIdES1_PKS1_PS1_Ev13rocblas_fill_18rocblas_operation_17rocblas_diagonal_iiT3_T4_lilT5_lili.step_sizes, 12

	.type	__const._ZL38rocblas_trsm_small_left_device_sharedBILi4ELi4ELb1E19rocblas_complex_numIdES1_PKS1_PS1_Ev13rocblas_fill_18rocblas_operation_17rocblas_diagonal_iiT3_T4_lilT5_lili.step_sizes,@object ; @__const._ZL38rocblas_trsm_small_left_device_sharedBILi4ELi4ELb1E19rocblas_complex_numIdES1_PKS1_PS1_Ev13rocblas_fill_18rocblas_operation_17rocblas_diagonal_iiT3_T4_lilT5_lili.step_sizes
	.p2align	2, 0x0
__const._ZL38rocblas_trsm_small_left_device_sharedBILi4ELi4ELb1E19rocblas_complex_numIdES1_PKS1_PS1_Ev13rocblas_fill_18rocblas_operation_17rocblas_diagonal_iiT3_T4_lilT5_lili.step_sizes:
	.long	4                               ; 0x4
	.long	1                               ; 0x1
	;; [unrolled: 1-line block ×3, first 2 shown]
	.size	__const._ZL38rocblas_trsm_small_left_device_sharedBILi4ELi4ELb1E19rocblas_complex_numIdES1_PKS1_PS1_Ev13rocblas_fill_18rocblas_operation_17rocblas_diagonal_iiT3_T4_lilT5_lili.step_sizes, 12

	.type	__const._ZL30rocblas_trsm_small_left_deviceILi4ELi4ELb1E19rocblas_complex_numIdES1_PKS1_PS1_Ev13rocblas_fill_18rocblas_operation_17rocblas_diagonal_iiT3_T4_lilT5_lili.step_sizes,@object ; @__const._ZL30rocblas_trsm_small_left_deviceILi4ELi4ELb1E19rocblas_complex_numIdES1_PKS1_PS1_Ev13rocblas_fill_18rocblas_operation_17rocblas_diagonal_iiT3_T4_lilT5_lili.step_sizes
	.p2align	2, 0x0
__const._ZL30rocblas_trsm_small_left_deviceILi4ELi4ELb1E19rocblas_complex_numIdES1_PKS1_PS1_Ev13rocblas_fill_18rocblas_operation_17rocblas_diagonal_iiT3_T4_lilT5_lili.step_sizes:
	.long	4                               ; 0x4
	.long	1                               ; 0x1
	;; [unrolled: 1-line block ×3, first 2 shown]
	.size	__const._ZL30rocblas_trsm_small_left_deviceILi4ELi4ELb1E19rocblas_complex_numIdES1_PKS1_PS1_Ev13rocblas_fill_18rocblas_operation_17rocblas_diagonal_iiT3_T4_lilT5_lili.step_sizes, 12

	.type	__const._ZL38rocblas_trsm_small_left_device_sharedBILi8ELi8ELb0E19rocblas_complex_numIdES1_PKS1_PS1_Ev13rocblas_fill_18rocblas_operation_17rocblas_diagonal_iiT3_T4_lilT5_lili.step_sizes,@object ; @__const._ZL38rocblas_trsm_small_left_device_sharedBILi8ELi8ELb0E19rocblas_complex_numIdES1_PKS1_PS1_Ev13rocblas_fill_18rocblas_operation_17rocblas_diagonal_iiT3_T4_lilT5_lili.step_sizes
	.p2align	2, 0x0
__const._ZL38rocblas_trsm_small_left_device_sharedBILi8ELi8ELb0E19rocblas_complex_numIdES1_PKS1_PS1_Ev13rocblas_fill_18rocblas_operation_17rocblas_diagonal_iiT3_T4_lilT5_lili.step_sizes:
	.long	8                               ; 0x8
	.long	4                               ; 0x4
	;; [unrolled: 1-line block ×3, first 2 shown]
	.size	__const._ZL38rocblas_trsm_small_left_device_sharedBILi8ELi8ELb0E19rocblas_complex_numIdES1_PKS1_PS1_Ev13rocblas_fill_18rocblas_operation_17rocblas_diagonal_iiT3_T4_lilT5_lili.step_sizes, 12

	.type	__const._ZL30rocblas_trsm_small_left_deviceILi8ELi8ELb0E19rocblas_complex_numIdES1_PKS1_PS1_Ev13rocblas_fill_18rocblas_operation_17rocblas_diagonal_iiT3_T4_lilT5_lili.step_sizes,@object ; @__const._ZL30rocblas_trsm_small_left_deviceILi8ELi8ELb0E19rocblas_complex_numIdES1_PKS1_PS1_Ev13rocblas_fill_18rocblas_operation_17rocblas_diagonal_iiT3_T4_lilT5_lili.step_sizes
	.p2align	2, 0x0
__const._ZL30rocblas_trsm_small_left_deviceILi8ELi8ELb0E19rocblas_complex_numIdES1_PKS1_PS1_Ev13rocblas_fill_18rocblas_operation_17rocblas_diagonal_iiT3_T4_lilT5_lili.step_sizes:
	.long	8                               ; 0x8
	.long	4                               ; 0x4
	;; [unrolled: 1-line block ×3, first 2 shown]
	.size	__const._ZL30rocblas_trsm_small_left_deviceILi8ELi8ELb0E19rocblas_complex_numIdES1_PKS1_PS1_Ev13rocblas_fill_18rocblas_operation_17rocblas_diagonal_iiT3_T4_lilT5_lili.step_sizes, 12

	.type	__const._ZL38rocblas_trsm_small_left_device_sharedBILi8ELi8ELb1E19rocblas_complex_numIdES1_PKS1_PS1_Ev13rocblas_fill_18rocblas_operation_17rocblas_diagonal_iiT3_T4_lilT5_lili.step_sizes,@object ; @__const._ZL38rocblas_trsm_small_left_device_sharedBILi8ELi8ELb1E19rocblas_complex_numIdES1_PKS1_PS1_Ev13rocblas_fill_18rocblas_operation_17rocblas_diagonal_iiT3_T4_lilT5_lili.step_sizes
	.p2align	2, 0x0
__const._ZL38rocblas_trsm_small_left_device_sharedBILi8ELi8ELb1E19rocblas_complex_numIdES1_PKS1_PS1_Ev13rocblas_fill_18rocblas_operation_17rocblas_diagonal_iiT3_T4_lilT5_lili.step_sizes:
	.long	8                               ; 0x8
	.long	4                               ; 0x4
	;; [unrolled: 1-line block ×3, first 2 shown]
	.size	__const._ZL38rocblas_trsm_small_left_device_sharedBILi8ELi8ELb1E19rocblas_complex_numIdES1_PKS1_PS1_Ev13rocblas_fill_18rocblas_operation_17rocblas_diagonal_iiT3_T4_lilT5_lili.step_sizes, 12

	.type	__const._ZL30rocblas_trsm_small_left_deviceILi8ELi8ELb1E19rocblas_complex_numIdES1_PKS1_PS1_Ev13rocblas_fill_18rocblas_operation_17rocblas_diagonal_iiT3_T4_lilT5_lili.step_sizes,@object ; @__const._ZL30rocblas_trsm_small_left_deviceILi8ELi8ELb1E19rocblas_complex_numIdES1_PKS1_PS1_Ev13rocblas_fill_18rocblas_operation_17rocblas_diagonal_iiT3_T4_lilT5_lili.step_sizes
	.p2align	2, 0x0
__const._ZL30rocblas_trsm_small_left_deviceILi8ELi8ELb1E19rocblas_complex_numIdES1_PKS1_PS1_Ev13rocblas_fill_18rocblas_operation_17rocblas_diagonal_iiT3_T4_lilT5_lili.step_sizes:
	.long	8                               ; 0x8
	.long	4                               ; 0x4
	;; [unrolled: 1-line block ×3, first 2 shown]
	.size	__const._ZL30rocblas_trsm_small_left_deviceILi8ELi8ELb1E19rocblas_complex_numIdES1_PKS1_PS1_Ev13rocblas_fill_18rocblas_operation_17rocblas_diagonal_iiT3_T4_lilT5_lili.step_sizes, 12

	.type	__const._ZL38rocblas_trsm_small_left_device_sharedBILi12ELi12ELb0E19rocblas_complex_numIdES1_PKS1_PS1_Ev13rocblas_fill_18rocblas_operation_17rocblas_diagonal_iiT3_T4_lilT5_lili.step_sizes,@object ; @__const._ZL38rocblas_trsm_small_left_device_sharedBILi12ELi12ELb0E19rocblas_complex_numIdES1_PKS1_PS1_Ev13rocblas_fill_18rocblas_operation_17rocblas_diagonal_iiT3_T4_lilT5_lili.step_sizes
	.p2align	2, 0x0
__const._ZL38rocblas_trsm_small_left_device_sharedBILi12ELi12ELb0E19rocblas_complex_numIdES1_PKS1_PS1_Ev13rocblas_fill_18rocblas_operation_17rocblas_diagonal_iiT3_T4_lilT5_lili.step_sizes:
	.long	12                              ; 0xc
	.long	8                               ; 0x8
	.long	1                               ; 0x1
	.size	__const._ZL38rocblas_trsm_small_left_device_sharedBILi12ELi12ELb0E19rocblas_complex_numIdES1_PKS1_PS1_Ev13rocblas_fill_18rocblas_operation_17rocblas_diagonal_iiT3_T4_lilT5_lili.step_sizes, 12

	.type	__const._ZL30rocblas_trsm_small_left_deviceILi12ELi12ELb0E19rocblas_complex_numIdES1_PKS1_PS1_Ev13rocblas_fill_18rocblas_operation_17rocblas_diagonal_iiT3_T4_lilT5_lili.step_sizes,@object ; @__const._ZL30rocblas_trsm_small_left_deviceILi12ELi12ELb0E19rocblas_complex_numIdES1_PKS1_PS1_Ev13rocblas_fill_18rocblas_operation_17rocblas_diagonal_iiT3_T4_lilT5_lili.step_sizes
	.p2align	2, 0x0
__const._ZL30rocblas_trsm_small_left_deviceILi12ELi12ELb0E19rocblas_complex_numIdES1_PKS1_PS1_Ev13rocblas_fill_18rocblas_operation_17rocblas_diagonal_iiT3_T4_lilT5_lili.step_sizes:
	.long	12                              ; 0xc
	.long	8                               ; 0x8
	.long	1                               ; 0x1
	.size	__const._ZL30rocblas_trsm_small_left_deviceILi12ELi12ELb0E19rocblas_complex_numIdES1_PKS1_PS1_Ev13rocblas_fill_18rocblas_operation_17rocblas_diagonal_iiT3_T4_lilT5_lili.step_sizes, 12

	.type	__const._ZL38rocblas_trsm_small_left_device_sharedBILi12ELi12ELb1E19rocblas_complex_numIdES1_PKS1_PS1_Ev13rocblas_fill_18rocblas_operation_17rocblas_diagonal_iiT3_T4_lilT5_lili.step_sizes,@object ; @__const._ZL38rocblas_trsm_small_left_device_sharedBILi12ELi12ELb1E19rocblas_complex_numIdES1_PKS1_PS1_Ev13rocblas_fill_18rocblas_operation_17rocblas_diagonal_iiT3_T4_lilT5_lili.step_sizes
	.p2align	2, 0x0
__const._ZL38rocblas_trsm_small_left_device_sharedBILi12ELi12ELb1E19rocblas_complex_numIdES1_PKS1_PS1_Ev13rocblas_fill_18rocblas_operation_17rocblas_diagonal_iiT3_T4_lilT5_lili.step_sizes:
	.long	12                              ; 0xc
	.long	8                               ; 0x8
	.long	1                               ; 0x1
	.size	__const._ZL38rocblas_trsm_small_left_device_sharedBILi12ELi12ELb1E19rocblas_complex_numIdES1_PKS1_PS1_Ev13rocblas_fill_18rocblas_operation_17rocblas_diagonal_iiT3_T4_lilT5_lili.step_sizes, 12

	.type	__const._ZL30rocblas_trsm_small_left_deviceILi12ELi12ELb1E19rocblas_complex_numIdES1_PKS1_PS1_Ev13rocblas_fill_18rocblas_operation_17rocblas_diagonal_iiT3_T4_lilT5_lili.step_sizes,@object ; @__const._ZL30rocblas_trsm_small_left_deviceILi12ELi12ELb1E19rocblas_complex_numIdES1_PKS1_PS1_Ev13rocblas_fill_18rocblas_operation_17rocblas_diagonal_iiT3_T4_lilT5_lili.step_sizes
	.p2align	2, 0x0
__const._ZL30rocblas_trsm_small_left_deviceILi12ELi12ELb1E19rocblas_complex_numIdES1_PKS1_PS1_Ev13rocblas_fill_18rocblas_operation_17rocblas_diagonal_iiT3_T4_lilT5_lili.step_sizes:
	.long	12                              ; 0xc
	.long	8                               ; 0x8
	.long	1                               ; 0x1
	.size	__const._ZL30rocblas_trsm_small_left_deviceILi12ELi12ELb1E19rocblas_complex_numIdES1_PKS1_PS1_Ev13rocblas_fill_18rocblas_operation_17rocblas_diagonal_iiT3_T4_lilT5_lili.step_sizes, 12

	.type	__const._ZL38rocblas_trsm_small_left_device_sharedBILi16ELi16ELb0E19rocblas_complex_numIdES1_PKS1_PS1_Ev13rocblas_fill_18rocblas_operation_17rocblas_diagonal_iiT3_T4_lilT5_lili.step_sizes,@object ; @__const._ZL38rocblas_trsm_small_left_device_sharedBILi16ELi16ELb0E19rocblas_complex_numIdES1_PKS1_PS1_Ev13rocblas_fill_18rocblas_operation_17rocblas_diagonal_iiT3_T4_lilT5_lili.step_sizes
	.p2align	2, 0x0
__const._ZL38rocblas_trsm_small_left_device_sharedBILi16ELi16ELb0E19rocblas_complex_numIdES1_PKS1_PS1_Ev13rocblas_fill_18rocblas_operation_17rocblas_diagonal_iiT3_T4_lilT5_lili.step_sizes:
	.long	16                              ; 0x10
	.long	12                              ; 0xc
	.long	1                               ; 0x1
	.size	__const._ZL38rocblas_trsm_small_left_device_sharedBILi16ELi16ELb0E19rocblas_complex_numIdES1_PKS1_PS1_Ev13rocblas_fill_18rocblas_operation_17rocblas_diagonal_iiT3_T4_lilT5_lili.step_sizes, 12

	.type	__const._ZL30rocblas_trsm_small_left_deviceILi16ELi16ELb0E19rocblas_complex_numIdES1_PKS1_PS1_Ev13rocblas_fill_18rocblas_operation_17rocblas_diagonal_iiT3_T4_lilT5_lili.step_sizes,@object ; @__const._ZL30rocblas_trsm_small_left_deviceILi16ELi16ELb0E19rocblas_complex_numIdES1_PKS1_PS1_Ev13rocblas_fill_18rocblas_operation_17rocblas_diagonal_iiT3_T4_lilT5_lili.step_sizes
	.p2align	2, 0x0
__const._ZL30rocblas_trsm_small_left_deviceILi16ELi16ELb0E19rocblas_complex_numIdES1_PKS1_PS1_Ev13rocblas_fill_18rocblas_operation_17rocblas_diagonal_iiT3_T4_lilT5_lili.step_sizes:
	.long	16                              ; 0x10
	.long	12                              ; 0xc
	.long	1                               ; 0x1
	.size	__const._ZL30rocblas_trsm_small_left_deviceILi16ELi16ELb0E19rocblas_complex_numIdES1_PKS1_PS1_Ev13rocblas_fill_18rocblas_operation_17rocblas_diagonal_iiT3_T4_lilT5_lili.step_sizes, 12

	.type	__const._ZL38rocblas_trsm_small_left_device_sharedBILi16ELi16ELb1E19rocblas_complex_numIdES1_PKS1_PS1_Ev13rocblas_fill_18rocblas_operation_17rocblas_diagonal_iiT3_T4_lilT5_lili.step_sizes,@object ; @__const._ZL38rocblas_trsm_small_left_device_sharedBILi16ELi16ELb1E19rocblas_complex_numIdES1_PKS1_PS1_Ev13rocblas_fill_18rocblas_operation_17rocblas_diagonal_iiT3_T4_lilT5_lili.step_sizes
	.p2align	2, 0x0
__const._ZL38rocblas_trsm_small_left_device_sharedBILi16ELi16ELb1E19rocblas_complex_numIdES1_PKS1_PS1_Ev13rocblas_fill_18rocblas_operation_17rocblas_diagonal_iiT3_T4_lilT5_lili.step_sizes:
	.long	16                              ; 0x10
	.long	12                              ; 0xc
	.long	1                               ; 0x1
	.size	__const._ZL38rocblas_trsm_small_left_device_sharedBILi16ELi16ELb1E19rocblas_complex_numIdES1_PKS1_PS1_Ev13rocblas_fill_18rocblas_operation_17rocblas_diagonal_iiT3_T4_lilT5_lili.step_sizes, 12

	.type	__const._ZL30rocblas_trsm_small_left_deviceILi16ELi16ELb1E19rocblas_complex_numIdES1_PKS1_PS1_Ev13rocblas_fill_18rocblas_operation_17rocblas_diagonal_iiT3_T4_lilT5_lili.step_sizes,@object ; @__const._ZL30rocblas_trsm_small_left_deviceILi16ELi16ELb1E19rocblas_complex_numIdES1_PKS1_PS1_Ev13rocblas_fill_18rocblas_operation_17rocblas_diagonal_iiT3_T4_lilT5_lili.step_sizes
	.p2align	2, 0x0
__const._ZL30rocblas_trsm_small_left_deviceILi16ELi16ELb1E19rocblas_complex_numIdES1_PKS1_PS1_Ev13rocblas_fill_18rocblas_operation_17rocblas_diagonal_iiT3_T4_lilT5_lili.step_sizes:
	.long	16                              ; 0x10
	.long	12                              ; 0xc
	.long	1                               ; 0x1
	.size	__const._ZL30rocblas_trsm_small_left_deviceILi16ELi16ELb1E19rocblas_complex_numIdES1_PKS1_PS1_Ev13rocblas_fill_18rocblas_operation_17rocblas_diagonal_iiT3_T4_lilT5_lili.step_sizes, 12

	.type	__const._ZL38rocblas_trsm_small_left_device_sharedBILi20ELi20ELb0E19rocblas_complex_numIdES1_PKS1_PS1_Ev13rocblas_fill_18rocblas_operation_17rocblas_diagonal_iiT3_T4_lilT5_lili.step_sizes,@object ; @__const._ZL38rocblas_trsm_small_left_device_sharedBILi20ELi20ELb0E19rocblas_complex_numIdES1_PKS1_PS1_Ev13rocblas_fill_18rocblas_operation_17rocblas_diagonal_iiT3_T4_lilT5_lili.step_sizes
	.p2align	2, 0x0
__const._ZL38rocblas_trsm_small_left_device_sharedBILi20ELi20ELb0E19rocblas_complex_numIdES1_PKS1_PS1_Ev13rocblas_fill_18rocblas_operation_17rocblas_diagonal_iiT3_T4_lilT5_lili.step_sizes:
	.long	20                              ; 0x14
	.long	16                              ; 0x10
	.long	1                               ; 0x1
	.size	__const._ZL38rocblas_trsm_small_left_device_sharedBILi20ELi20ELb0E19rocblas_complex_numIdES1_PKS1_PS1_Ev13rocblas_fill_18rocblas_operation_17rocblas_diagonal_iiT3_T4_lilT5_lili.step_sizes, 12

	.type	__const._ZL30rocblas_trsm_small_left_deviceILi20ELi20ELb0E19rocblas_complex_numIdES1_PKS1_PS1_Ev13rocblas_fill_18rocblas_operation_17rocblas_diagonal_iiT3_T4_lilT5_lili.step_sizes,@object ; @__const._ZL30rocblas_trsm_small_left_deviceILi20ELi20ELb0E19rocblas_complex_numIdES1_PKS1_PS1_Ev13rocblas_fill_18rocblas_operation_17rocblas_diagonal_iiT3_T4_lilT5_lili.step_sizes
	.p2align	2, 0x0
__const._ZL30rocblas_trsm_small_left_deviceILi20ELi20ELb0E19rocblas_complex_numIdES1_PKS1_PS1_Ev13rocblas_fill_18rocblas_operation_17rocblas_diagonal_iiT3_T4_lilT5_lili.step_sizes:
	.long	20                              ; 0x14
	.long	16                              ; 0x10
	.long	1                               ; 0x1
	.size	__const._ZL30rocblas_trsm_small_left_deviceILi20ELi20ELb0E19rocblas_complex_numIdES1_PKS1_PS1_Ev13rocblas_fill_18rocblas_operation_17rocblas_diagonal_iiT3_T4_lilT5_lili.step_sizes, 12

	.type	__const._ZL38rocblas_trsm_small_left_device_sharedBILi20ELi20ELb1E19rocblas_complex_numIdES1_PKS1_PS1_Ev13rocblas_fill_18rocblas_operation_17rocblas_diagonal_iiT3_T4_lilT5_lili.step_sizes,@object ; @__const._ZL38rocblas_trsm_small_left_device_sharedBILi20ELi20ELb1E19rocblas_complex_numIdES1_PKS1_PS1_Ev13rocblas_fill_18rocblas_operation_17rocblas_diagonal_iiT3_T4_lilT5_lili.step_sizes
	.p2align	2, 0x0
__const._ZL38rocblas_trsm_small_left_device_sharedBILi20ELi20ELb1E19rocblas_complex_numIdES1_PKS1_PS1_Ev13rocblas_fill_18rocblas_operation_17rocblas_diagonal_iiT3_T4_lilT5_lili.step_sizes:
	.long	20                              ; 0x14
	.long	16                              ; 0x10
	.long	1                               ; 0x1
	.size	__const._ZL38rocblas_trsm_small_left_device_sharedBILi20ELi20ELb1E19rocblas_complex_numIdES1_PKS1_PS1_Ev13rocblas_fill_18rocblas_operation_17rocblas_diagonal_iiT3_T4_lilT5_lili.step_sizes, 12

	.type	__const._ZL30rocblas_trsm_small_left_deviceILi20ELi20ELb1E19rocblas_complex_numIdES1_PKS1_PS1_Ev13rocblas_fill_18rocblas_operation_17rocblas_diagonal_iiT3_T4_lilT5_lili.step_sizes,@object ; @__const._ZL30rocblas_trsm_small_left_deviceILi20ELi20ELb1E19rocblas_complex_numIdES1_PKS1_PS1_Ev13rocblas_fill_18rocblas_operation_17rocblas_diagonal_iiT3_T4_lilT5_lili.step_sizes
	.p2align	2, 0x0
__const._ZL30rocblas_trsm_small_left_deviceILi20ELi20ELb1E19rocblas_complex_numIdES1_PKS1_PS1_Ev13rocblas_fill_18rocblas_operation_17rocblas_diagonal_iiT3_T4_lilT5_lili.step_sizes:
	.long	20                              ; 0x14
	.long	16                              ; 0x10
	.long	1                               ; 0x1
	.size	__const._ZL30rocblas_trsm_small_left_deviceILi20ELi20ELb1E19rocblas_complex_numIdES1_PKS1_PS1_Ev13rocblas_fill_18rocblas_operation_17rocblas_diagonal_iiT3_T4_lilT5_lili.step_sizes, 12

	.type	__const._ZL38rocblas_trsm_small_left_device_sharedBILi24ELi24ELb0E19rocblas_complex_numIdES1_PKS1_PS1_Ev13rocblas_fill_18rocblas_operation_17rocblas_diagonal_iiT3_T4_lilT5_lili.step_sizes,@object ; @__const._ZL38rocblas_trsm_small_left_device_sharedBILi24ELi24ELb0E19rocblas_complex_numIdES1_PKS1_PS1_Ev13rocblas_fill_18rocblas_operation_17rocblas_diagonal_iiT3_T4_lilT5_lili.step_sizes
	.p2align	2, 0x0
__const._ZL38rocblas_trsm_small_left_device_sharedBILi24ELi24ELb0E19rocblas_complex_numIdES1_PKS1_PS1_Ev13rocblas_fill_18rocblas_operation_17rocblas_diagonal_iiT3_T4_lilT5_lili.step_sizes:
	.long	24                              ; 0x18
	.long	20                              ; 0x14
	.long	1                               ; 0x1
	.size	__const._ZL38rocblas_trsm_small_left_device_sharedBILi24ELi24ELb0E19rocblas_complex_numIdES1_PKS1_PS1_Ev13rocblas_fill_18rocblas_operation_17rocblas_diagonal_iiT3_T4_lilT5_lili.step_sizes, 12

	.type	__const._ZL30rocblas_trsm_small_left_deviceILi24ELi24ELb0E19rocblas_complex_numIdES1_PKS1_PS1_Ev13rocblas_fill_18rocblas_operation_17rocblas_diagonal_iiT3_T4_lilT5_lili.step_sizes,@object ; @__const._ZL30rocblas_trsm_small_left_deviceILi24ELi24ELb0E19rocblas_complex_numIdES1_PKS1_PS1_Ev13rocblas_fill_18rocblas_operation_17rocblas_diagonal_iiT3_T4_lilT5_lili.step_sizes
	.p2align	2, 0x0
__const._ZL30rocblas_trsm_small_left_deviceILi24ELi24ELb0E19rocblas_complex_numIdES1_PKS1_PS1_Ev13rocblas_fill_18rocblas_operation_17rocblas_diagonal_iiT3_T4_lilT5_lili.step_sizes:
	.long	24                              ; 0x18
	.long	20                              ; 0x14
	.long	1                               ; 0x1
	.size	__const._ZL30rocblas_trsm_small_left_deviceILi24ELi24ELb0E19rocblas_complex_numIdES1_PKS1_PS1_Ev13rocblas_fill_18rocblas_operation_17rocblas_diagonal_iiT3_T4_lilT5_lili.step_sizes, 12

	.type	__const._ZL38rocblas_trsm_small_left_device_sharedBILi24ELi24ELb1E19rocblas_complex_numIdES1_PKS1_PS1_Ev13rocblas_fill_18rocblas_operation_17rocblas_diagonal_iiT3_T4_lilT5_lili.step_sizes,@object ; @__const._ZL38rocblas_trsm_small_left_device_sharedBILi24ELi24ELb1E19rocblas_complex_numIdES1_PKS1_PS1_Ev13rocblas_fill_18rocblas_operation_17rocblas_diagonal_iiT3_T4_lilT5_lili.step_sizes
	.p2align	2, 0x0
__const._ZL38rocblas_trsm_small_left_device_sharedBILi24ELi24ELb1E19rocblas_complex_numIdES1_PKS1_PS1_Ev13rocblas_fill_18rocblas_operation_17rocblas_diagonal_iiT3_T4_lilT5_lili.step_sizes:
	.long	24                              ; 0x18
	.long	20                              ; 0x14
	.long	1                               ; 0x1
	.size	__const._ZL38rocblas_trsm_small_left_device_sharedBILi24ELi24ELb1E19rocblas_complex_numIdES1_PKS1_PS1_Ev13rocblas_fill_18rocblas_operation_17rocblas_diagonal_iiT3_T4_lilT5_lili.step_sizes, 12

	.type	__const._ZL30rocblas_trsm_small_left_deviceILi24ELi24ELb1E19rocblas_complex_numIdES1_PKS1_PS1_Ev13rocblas_fill_18rocblas_operation_17rocblas_diagonal_iiT3_T4_lilT5_lili.step_sizes,@object ; @__const._ZL30rocblas_trsm_small_left_deviceILi24ELi24ELb1E19rocblas_complex_numIdES1_PKS1_PS1_Ev13rocblas_fill_18rocblas_operation_17rocblas_diagonal_iiT3_T4_lilT5_lili.step_sizes
	.p2align	2, 0x0
__const._ZL30rocblas_trsm_small_left_deviceILi24ELi24ELb1E19rocblas_complex_numIdES1_PKS1_PS1_Ev13rocblas_fill_18rocblas_operation_17rocblas_diagonal_iiT3_T4_lilT5_lili.step_sizes:
	.long	24                              ; 0x18
	.long	20                              ; 0x14
	.long	1                               ; 0x1
	.size	__const._ZL30rocblas_trsm_small_left_deviceILi24ELi24ELb1E19rocblas_complex_numIdES1_PKS1_PS1_Ev13rocblas_fill_18rocblas_operation_17rocblas_diagonal_iiT3_T4_lilT5_lili.step_sizes, 12

	.type	__const._ZL38rocblas_trsm_small_left_device_sharedBILi28ELi28ELb0E19rocblas_complex_numIdES1_PKS1_PS1_Ev13rocblas_fill_18rocblas_operation_17rocblas_diagonal_iiT3_T4_lilT5_lili.step_sizes,@object ; @__const._ZL38rocblas_trsm_small_left_device_sharedBILi28ELi28ELb0E19rocblas_complex_numIdES1_PKS1_PS1_Ev13rocblas_fill_18rocblas_operation_17rocblas_diagonal_iiT3_T4_lilT5_lili.step_sizes
	.p2align	2, 0x0
__const._ZL38rocblas_trsm_small_left_device_sharedBILi28ELi28ELb0E19rocblas_complex_numIdES1_PKS1_PS1_Ev13rocblas_fill_18rocblas_operation_17rocblas_diagonal_iiT3_T4_lilT5_lili.step_sizes:
	.long	28                              ; 0x1c
	.long	24                              ; 0x18
	.long	1                               ; 0x1
	.size	__const._ZL38rocblas_trsm_small_left_device_sharedBILi28ELi28ELb0E19rocblas_complex_numIdES1_PKS1_PS1_Ev13rocblas_fill_18rocblas_operation_17rocblas_diagonal_iiT3_T4_lilT5_lili.step_sizes, 12

	.type	__const._ZL30rocblas_trsm_small_left_deviceILi28ELi28ELb0E19rocblas_complex_numIdES1_PKS1_PS1_Ev13rocblas_fill_18rocblas_operation_17rocblas_diagonal_iiT3_T4_lilT5_lili.step_sizes,@object ; @__const._ZL30rocblas_trsm_small_left_deviceILi28ELi28ELb0E19rocblas_complex_numIdES1_PKS1_PS1_Ev13rocblas_fill_18rocblas_operation_17rocblas_diagonal_iiT3_T4_lilT5_lili.step_sizes
	.p2align	2, 0x0
__const._ZL30rocblas_trsm_small_left_deviceILi28ELi28ELb0E19rocblas_complex_numIdES1_PKS1_PS1_Ev13rocblas_fill_18rocblas_operation_17rocblas_diagonal_iiT3_T4_lilT5_lili.step_sizes:
	.long	28                              ; 0x1c
	.long	24                              ; 0x18
	.long	1                               ; 0x1
	.size	__const._ZL30rocblas_trsm_small_left_deviceILi28ELi28ELb0E19rocblas_complex_numIdES1_PKS1_PS1_Ev13rocblas_fill_18rocblas_operation_17rocblas_diagonal_iiT3_T4_lilT5_lili.step_sizes, 12

	.type	__const._ZL38rocblas_trsm_small_left_device_sharedBILi28ELi28ELb1E19rocblas_complex_numIdES1_PKS1_PS1_Ev13rocblas_fill_18rocblas_operation_17rocblas_diagonal_iiT3_T4_lilT5_lili.step_sizes,@object ; @__const._ZL38rocblas_trsm_small_left_device_sharedBILi28ELi28ELb1E19rocblas_complex_numIdES1_PKS1_PS1_Ev13rocblas_fill_18rocblas_operation_17rocblas_diagonal_iiT3_T4_lilT5_lili.step_sizes
	.p2align	2, 0x0
__const._ZL38rocblas_trsm_small_left_device_sharedBILi28ELi28ELb1E19rocblas_complex_numIdES1_PKS1_PS1_Ev13rocblas_fill_18rocblas_operation_17rocblas_diagonal_iiT3_T4_lilT5_lili.step_sizes:
	.long	28                              ; 0x1c
	.long	24                              ; 0x18
	.long	1                               ; 0x1
	.size	__const._ZL38rocblas_trsm_small_left_device_sharedBILi28ELi28ELb1E19rocblas_complex_numIdES1_PKS1_PS1_Ev13rocblas_fill_18rocblas_operation_17rocblas_diagonal_iiT3_T4_lilT5_lili.step_sizes, 12

	.type	__const._ZL30rocblas_trsm_small_left_deviceILi28ELi28ELb1E19rocblas_complex_numIdES1_PKS1_PS1_Ev13rocblas_fill_18rocblas_operation_17rocblas_diagonal_iiT3_T4_lilT5_lili.step_sizes,@object ; @__const._ZL30rocblas_trsm_small_left_deviceILi28ELi28ELb1E19rocblas_complex_numIdES1_PKS1_PS1_Ev13rocblas_fill_18rocblas_operation_17rocblas_diagonal_iiT3_T4_lilT5_lili.step_sizes
	.p2align	2, 0x0
__const._ZL30rocblas_trsm_small_left_deviceILi28ELi28ELb1E19rocblas_complex_numIdES1_PKS1_PS1_Ev13rocblas_fill_18rocblas_operation_17rocblas_diagonal_iiT3_T4_lilT5_lili.step_sizes:
	.long	28                              ; 0x1c
	.long	24                              ; 0x18
	.long	1                               ; 0x1
	.size	__const._ZL30rocblas_trsm_small_left_deviceILi28ELi28ELb1E19rocblas_complex_numIdES1_PKS1_PS1_Ev13rocblas_fill_18rocblas_operation_17rocblas_diagonal_iiT3_T4_lilT5_lili.step_sizes, 12

	.type	__const._ZL38rocblas_trsm_small_left_device_sharedBILi32ELi32ELb0E19rocblas_complex_numIdES1_PKS1_PS1_Ev13rocblas_fill_18rocblas_operation_17rocblas_diagonal_iiT3_T4_lilT5_lili.step_sizes,@object ; @__const._ZL38rocblas_trsm_small_left_device_sharedBILi32ELi32ELb0E19rocblas_complex_numIdES1_PKS1_PS1_Ev13rocblas_fill_18rocblas_operation_17rocblas_diagonal_iiT3_T4_lilT5_lili.step_sizes
	.p2align	2, 0x0
__const._ZL38rocblas_trsm_small_left_device_sharedBILi32ELi32ELb0E19rocblas_complex_numIdES1_PKS1_PS1_Ev13rocblas_fill_18rocblas_operation_17rocblas_diagonal_iiT3_T4_lilT5_lili.step_sizes:
	.long	32                              ; 0x20
	.long	28                              ; 0x1c
	.long	1                               ; 0x1
	.size	__const._ZL38rocblas_trsm_small_left_device_sharedBILi32ELi32ELb0E19rocblas_complex_numIdES1_PKS1_PS1_Ev13rocblas_fill_18rocblas_operation_17rocblas_diagonal_iiT3_T4_lilT5_lili.step_sizes, 12

	.type	__const._ZL30rocblas_trsm_small_left_deviceILi32ELi32ELb0E19rocblas_complex_numIdES1_PKS1_PS1_Ev13rocblas_fill_18rocblas_operation_17rocblas_diagonal_iiT3_T4_lilT5_lili.step_sizes,@object ; @__const._ZL30rocblas_trsm_small_left_deviceILi32ELi32ELb0E19rocblas_complex_numIdES1_PKS1_PS1_Ev13rocblas_fill_18rocblas_operation_17rocblas_diagonal_iiT3_T4_lilT5_lili.step_sizes
	.p2align	2, 0x0
__const._ZL30rocblas_trsm_small_left_deviceILi32ELi32ELb0E19rocblas_complex_numIdES1_PKS1_PS1_Ev13rocblas_fill_18rocblas_operation_17rocblas_diagonal_iiT3_T4_lilT5_lili.step_sizes:
	.long	32                              ; 0x20
	.long	28                              ; 0x1c
	.long	1                               ; 0x1
	.size	__const._ZL30rocblas_trsm_small_left_deviceILi32ELi32ELb0E19rocblas_complex_numIdES1_PKS1_PS1_Ev13rocblas_fill_18rocblas_operation_17rocblas_diagonal_iiT3_T4_lilT5_lili.step_sizes, 12

	.type	__const._ZL38rocblas_trsm_small_left_device_sharedBILi32ELi32ELb1E19rocblas_complex_numIdES1_PKS1_PS1_Ev13rocblas_fill_18rocblas_operation_17rocblas_diagonal_iiT3_T4_lilT5_lili.step_sizes,@object ; @__const._ZL38rocblas_trsm_small_left_device_sharedBILi32ELi32ELb1E19rocblas_complex_numIdES1_PKS1_PS1_Ev13rocblas_fill_18rocblas_operation_17rocblas_diagonal_iiT3_T4_lilT5_lili.step_sizes
	.p2align	2, 0x0
__const._ZL38rocblas_trsm_small_left_device_sharedBILi32ELi32ELb1E19rocblas_complex_numIdES1_PKS1_PS1_Ev13rocblas_fill_18rocblas_operation_17rocblas_diagonal_iiT3_T4_lilT5_lili.step_sizes:
	.long	32                              ; 0x20
	.long	28                              ; 0x1c
	.long	1                               ; 0x1
	.size	__const._ZL38rocblas_trsm_small_left_device_sharedBILi32ELi32ELb1E19rocblas_complex_numIdES1_PKS1_PS1_Ev13rocblas_fill_18rocblas_operation_17rocblas_diagonal_iiT3_T4_lilT5_lili.step_sizes, 12

	.type	__const._ZL30rocblas_trsm_small_left_deviceILi32ELi32ELb1E19rocblas_complex_numIdES1_PKS1_PS1_Ev13rocblas_fill_18rocblas_operation_17rocblas_diagonal_iiT3_T4_lilT5_lili.step_sizes,@object ; @__const._ZL30rocblas_trsm_small_left_deviceILi32ELi32ELb1E19rocblas_complex_numIdES1_PKS1_PS1_Ev13rocblas_fill_18rocblas_operation_17rocblas_diagonal_iiT3_T4_lilT5_lili.step_sizes
	.p2align	2, 0x0
__const._ZL30rocblas_trsm_small_left_deviceILi32ELi32ELb1E19rocblas_complex_numIdES1_PKS1_PS1_Ev13rocblas_fill_18rocblas_operation_17rocblas_diagonal_iiT3_T4_lilT5_lili.step_sizes:
	.long	32                              ; 0x20
	.long	28                              ; 0x1c
	.long	1                               ; 0x1
	.size	__const._ZL30rocblas_trsm_small_left_deviceILi32ELi32ELb1E19rocblas_complex_numIdES1_PKS1_PS1_Ev13rocblas_fill_18rocblas_operation_17rocblas_diagonal_iiT3_T4_lilT5_lili.step_sizes, 12

	.type	__hip_cuid_621a6d638822fd8a,@object ; @__hip_cuid_621a6d638822fd8a
	.section	.bss,"aw",@nobits
	.globl	__hip_cuid_621a6d638822fd8a
__hip_cuid_621a6d638822fd8a:
	.byte	0                               ; 0x0
	.size	__hip_cuid_621a6d638822fd8a, 1

	.ident	"AMD clang version 19.0.0git (https://github.com/RadeonOpenCompute/llvm-project roc-6.4.0 25133 c7fe45cf4b819c5991fe208aaa96edf142730f1d)"
	.section	".note.GNU-stack","",@progbits
	.addrsig
	.addrsig_sym __hip_cuid_621a6d638822fd8a
	.amdgpu_metadata
---
amdhsa.kernels:
  - .agpr_count:     0
    .args:
      - .offset:         0
        .size:           8
        .value_kind:     by_value
      - .offset:         8
        .size:           8
        .value_kind:     by_value
      - .offset:         16
        .size:           4
        .value_kind:     by_value
      - .address_space:  global
        .offset:         24
        .size:           8
        .value_kind:     global_buffer
      - .offset:         32
        .size:           8
        .value_kind:     by_value
      - .offset:         40
        .size:           8
        .value_kind:     by_value
      - .offset:         48
        .size:           4
        .value_kind:     by_value
      - .offset:         56
        .size:           8
        .value_kind:     by_value
      - .offset:         64
        .size:           4
        .value_kind:     by_value
    .group_segment_fixed_size: 0
    .kernarg_segment_align: 8
    .kernarg_segment_size: 68
    .language:       OpenCL C
    .language_version:
      - 2
      - 0
    .max_flat_workgroup_size: 1024
    .name:           _ZL23rocblas_set_matrix_trsmILi128ELi8EfPfEvlliT2_llT1_li
    .private_segment_fixed_size: 0
    .sgpr_count:     16
    .sgpr_spill_count: 0
    .symbol:         _ZL23rocblas_set_matrix_trsmILi128ELi8EfPfEvlliT2_llT1_li.kd
    .uniform_work_group_size: 1
    .uses_dynamic_stack: false
    .vgpr_count:     8
    .vgpr_spill_count: 0
    .wavefront_size: 64
  - .agpr_count:     0
    .args:
      - .offset:         0
        .size:           4
        .value_kind:     by_value
      - .offset:         4
        .size:           4
        .value_kind:     by_value
      - .offset:         8
        .size:           4
        .value_kind:     by_value
      - .offset:         12
        .size:           4
        .value_kind:     by_value
      - .offset:         16
        .size:           4
        .value_kind:     by_value
      - .offset:         20
        .size:           4
        .value_kind:     by_value
      - .address_space:  global
        .offset:         24
        .size:           8
        .value_kind:     global_buffer
      - .offset:         32
        .size:           8
        .value_kind:     by_value
      - .offset:         40
        .size:           4
        .value_kind:     by_value
      - .offset:         48
        .size:           8
        .value_kind:     by_value
      - .address_space:  global
        .offset:         56
        .size:           8
        .value_kind:     global_buffer
      - .offset:         64
        .size:           8
        .value_kind:     by_value
      - .offset:         72
        .size:           4
        .value_kind:     by_value
      - .offset:         80
        .size:           8
        .value_kind:     by_value
      - .offset:         88
        .size:           4
        .value_kind:     by_value
      - .offset:         96
        .size:           4
        .value_kind:     hidden_block_count_x
      - .offset:         100
        .size:           4
        .value_kind:     hidden_block_count_y
      - .offset:         104
        .size:           4
        .value_kind:     hidden_block_count_z
      - .offset:         108
        .size:           2
        .value_kind:     hidden_group_size_x
      - .offset:         110
        .size:           2
        .value_kind:     hidden_group_size_y
      - .offset:         112
        .size:           2
        .value_kind:     hidden_group_size_z
      - .offset:         114
        .size:           2
        .value_kind:     hidden_remainder_x
      - .offset:         116
        .size:           2
        .value_kind:     hidden_remainder_y
      - .offset:         118
        .size:           2
        .value_kind:     hidden_remainder_z
      - .offset:         136
        .size:           8
        .value_kind:     hidden_global_offset_x
      - .offset:         144
        .size:           8
        .value_kind:     hidden_global_offset_y
      - .offset:         152
        .size:           8
        .value_kind:     hidden_global_offset_z
      - .offset:         160
        .size:           2
        .value_kind:     hidden_grid_dims
    .group_segment_fixed_size: 128
    .kernarg_segment_align: 8
    .kernarg_segment_size: 352
    .language:       OpenCL C
    .language_version:
      - 2
      - 0
    .max_flat_workgroup_size: 4
    .name:           _ZL38rocblas_trsm_small_left_device_sharedBILi4ELi4ELb0EffPKfPfEv13rocblas_fill_18rocblas_operation_17rocblas_diagonal_iiT3_T4_lilT5_lili
    .private_segment_fixed_size: 0
    .sgpr_count:     47
    .sgpr_spill_count: 0
    .symbol:         _ZL38rocblas_trsm_small_left_device_sharedBILi4ELi4ELb0EffPKfPfEv13rocblas_fill_18rocblas_operation_17rocblas_diagonal_iiT3_T4_lilT5_lili.kd
    .uniform_work_group_size: 1
    .uses_dynamic_stack: false
    .vgpr_count:     35
    .vgpr_spill_count: 0
    .wavefront_size: 64
  - .agpr_count:     0
    .args:
      - .offset:         0
        .size:           4
        .value_kind:     by_value
      - .offset:         4
        .size:           4
        .value_kind:     by_value
      - .offset:         8
        .size:           4
        .value_kind:     by_value
      - .offset:         12
        .size:           4
        .value_kind:     by_value
      - .offset:         16
        .size:           4
        .value_kind:     by_value
      - .offset:         20
        .size:           4
        .value_kind:     by_value
      - .address_space:  global
        .offset:         24
        .size:           8
        .value_kind:     global_buffer
      - .offset:         32
        .size:           8
        .value_kind:     by_value
      - .offset:         40
        .size:           4
        .value_kind:     by_value
      - .offset:         48
        .size:           8
        .value_kind:     by_value
      - .address_space:  global
        .offset:         56
        .size:           8
        .value_kind:     global_buffer
      - .offset:         64
        .size:           8
        .value_kind:     by_value
      - .offset:         72
        .size:           4
        .value_kind:     by_value
      - .offset:         80
        .size:           8
        .value_kind:     by_value
      - .offset:         88
        .size:           4
        .value_kind:     by_value
      - .offset:         96
        .size:           4
        .value_kind:     hidden_block_count_x
      - .offset:         100
        .size:           4
        .value_kind:     hidden_block_count_y
      - .offset:         104
        .size:           4
        .value_kind:     hidden_block_count_z
      - .offset:         108
        .size:           2
        .value_kind:     hidden_group_size_x
      - .offset:         110
        .size:           2
        .value_kind:     hidden_group_size_y
      - .offset:         112
        .size:           2
        .value_kind:     hidden_group_size_z
      - .offset:         114
        .size:           2
        .value_kind:     hidden_remainder_x
      - .offset:         116
        .size:           2
        .value_kind:     hidden_remainder_y
      - .offset:         118
        .size:           2
        .value_kind:     hidden_remainder_z
      - .offset:         136
        .size:           8
        .value_kind:     hidden_global_offset_x
      - .offset:         144
        .size:           8
        .value_kind:     hidden_global_offset_y
      - .offset:         152
        .size:           8
        .value_kind:     hidden_global_offset_z
      - .offset:         160
        .size:           2
        .value_kind:     hidden_grid_dims
    .group_segment_fixed_size: 64
    .kernarg_segment_align: 8
    .kernarg_segment_size: 352
    .language:       OpenCL C
    .language_version:
      - 2
      - 0
    .max_flat_workgroup_size: 4
    .name:           _ZL30rocblas_trsm_small_left_deviceILi4ELi4ELb0EffPKfPfEv13rocblas_fill_18rocblas_operation_17rocblas_diagonal_iiT3_T4_lilT5_lili
    .private_segment_fixed_size: 0
    .sgpr_count:     47
    .sgpr_spill_count: 0
    .symbol:         _ZL30rocblas_trsm_small_left_deviceILi4ELi4ELb0EffPKfPfEv13rocblas_fill_18rocblas_operation_17rocblas_diagonal_iiT3_T4_lilT5_lili.kd
    .uniform_work_group_size: 1
    .uses_dynamic_stack: false
    .vgpr_count:     35
    .vgpr_spill_count: 0
    .wavefront_size: 64
  - .agpr_count:     0
    .args:
      - .offset:         0
        .size:           4
        .value_kind:     by_value
      - .offset:         4
        .size:           4
        .value_kind:     by_value
      - .offset:         8
        .size:           4
        .value_kind:     by_value
      - .offset:         12
        .size:           4
        .value_kind:     by_value
      - .offset:         16
        .size:           4
        .value_kind:     by_value
      - .offset:         20
        .size:           4
        .value_kind:     by_value
      - .address_space:  global
        .offset:         24
        .size:           8
        .value_kind:     global_buffer
      - .offset:         32
        .size:           8
        .value_kind:     by_value
      - .offset:         40
        .size:           4
        .value_kind:     by_value
      - .offset:         48
        .size:           8
        .value_kind:     by_value
      - .address_space:  global
        .offset:         56
        .size:           8
        .value_kind:     global_buffer
      - .offset:         64
        .size:           8
        .value_kind:     by_value
      - .offset:         72
        .size:           4
        .value_kind:     by_value
      - .offset:         80
        .size:           8
        .value_kind:     by_value
      - .offset:         88
        .size:           4
        .value_kind:     by_value
      - .offset:         96
        .size:           4
        .value_kind:     hidden_block_count_x
      - .offset:         100
        .size:           4
        .value_kind:     hidden_block_count_y
      - .offset:         104
        .size:           4
        .value_kind:     hidden_block_count_z
      - .offset:         108
        .size:           2
        .value_kind:     hidden_group_size_x
      - .offset:         110
        .size:           2
        .value_kind:     hidden_group_size_y
      - .offset:         112
        .size:           2
        .value_kind:     hidden_group_size_z
      - .offset:         114
        .size:           2
        .value_kind:     hidden_remainder_x
      - .offset:         116
        .size:           2
        .value_kind:     hidden_remainder_y
      - .offset:         118
        .size:           2
        .value_kind:     hidden_remainder_z
      - .offset:         136
        .size:           8
        .value_kind:     hidden_global_offset_x
      - .offset:         144
        .size:           8
        .value_kind:     hidden_global_offset_y
      - .offset:         152
        .size:           8
        .value_kind:     hidden_global_offset_z
      - .offset:         160
        .size:           2
        .value_kind:     hidden_grid_dims
    .group_segment_fixed_size: 128
    .kernarg_segment_align: 8
    .kernarg_segment_size: 352
    .language:       OpenCL C
    .language_version:
      - 2
      - 0
    .max_flat_workgroup_size: 4
    .name:           _ZL38rocblas_trsm_small_left_device_sharedBILi4ELi4ELb1EffPKfPfEv13rocblas_fill_18rocblas_operation_17rocblas_diagonal_iiT3_T4_lilT5_lili
    .private_segment_fixed_size: 0
    .sgpr_count:     47
    .sgpr_spill_count: 0
    .symbol:         _ZL38rocblas_trsm_small_left_device_sharedBILi4ELi4ELb1EffPKfPfEv13rocblas_fill_18rocblas_operation_17rocblas_diagonal_iiT3_T4_lilT5_lili.kd
    .uniform_work_group_size: 1
    .uses_dynamic_stack: false
    .vgpr_count:     35
    .vgpr_spill_count: 0
    .wavefront_size: 64
  - .agpr_count:     0
    .args:
      - .offset:         0
        .size:           4
        .value_kind:     by_value
      - .offset:         4
        .size:           4
        .value_kind:     by_value
      - .offset:         8
        .size:           4
        .value_kind:     by_value
      - .offset:         12
        .size:           4
        .value_kind:     by_value
      - .offset:         16
        .size:           4
        .value_kind:     by_value
      - .offset:         20
        .size:           4
        .value_kind:     by_value
      - .address_space:  global
        .offset:         24
        .size:           8
        .value_kind:     global_buffer
      - .offset:         32
        .size:           8
        .value_kind:     by_value
      - .offset:         40
        .size:           4
        .value_kind:     by_value
      - .offset:         48
        .size:           8
        .value_kind:     by_value
      - .address_space:  global
        .offset:         56
        .size:           8
        .value_kind:     global_buffer
      - .offset:         64
        .size:           8
        .value_kind:     by_value
      - .offset:         72
        .size:           4
        .value_kind:     by_value
      - .offset:         80
        .size:           8
        .value_kind:     by_value
      - .offset:         88
        .size:           4
        .value_kind:     by_value
      - .offset:         96
        .size:           4
        .value_kind:     hidden_block_count_x
      - .offset:         100
        .size:           4
        .value_kind:     hidden_block_count_y
      - .offset:         104
        .size:           4
        .value_kind:     hidden_block_count_z
      - .offset:         108
        .size:           2
        .value_kind:     hidden_group_size_x
      - .offset:         110
        .size:           2
        .value_kind:     hidden_group_size_y
      - .offset:         112
        .size:           2
        .value_kind:     hidden_group_size_z
      - .offset:         114
        .size:           2
        .value_kind:     hidden_remainder_x
      - .offset:         116
        .size:           2
        .value_kind:     hidden_remainder_y
      - .offset:         118
        .size:           2
        .value_kind:     hidden_remainder_z
      - .offset:         136
        .size:           8
        .value_kind:     hidden_global_offset_x
      - .offset:         144
        .size:           8
        .value_kind:     hidden_global_offset_y
      - .offset:         152
        .size:           8
        .value_kind:     hidden_global_offset_z
      - .offset:         160
        .size:           2
        .value_kind:     hidden_grid_dims
    .group_segment_fixed_size: 64
    .kernarg_segment_align: 8
    .kernarg_segment_size: 352
    .language:       OpenCL C
    .language_version:
      - 2
      - 0
    .max_flat_workgroup_size: 4
    .name:           _ZL30rocblas_trsm_small_left_deviceILi4ELi4ELb1EffPKfPfEv13rocblas_fill_18rocblas_operation_17rocblas_diagonal_iiT3_T4_lilT5_lili
    .private_segment_fixed_size: 0
    .sgpr_count:     47
    .sgpr_spill_count: 0
    .symbol:         _ZL30rocblas_trsm_small_left_deviceILi4ELi4ELb1EffPKfPfEv13rocblas_fill_18rocblas_operation_17rocblas_diagonal_iiT3_T4_lilT5_lili.kd
    .uniform_work_group_size: 1
    .uses_dynamic_stack: false
    .vgpr_count:     35
    .vgpr_spill_count: 0
    .wavefront_size: 64
  - .agpr_count:     0
    .args:
      - .offset:         0
        .size:           4
        .value_kind:     by_value
      - .offset:         4
        .size:           4
        .value_kind:     by_value
      - .offset:         8
        .size:           4
        .value_kind:     by_value
      - .offset:         12
        .size:           4
        .value_kind:     by_value
      - .offset:         16
        .size:           4
        .value_kind:     by_value
      - .offset:         20
        .size:           4
        .value_kind:     by_value
      - .address_space:  global
        .offset:         24
        .size:           8
        .value_kind:     global_buffer
      - .offset:         32
        .size:           8
        .value_kind:     by_value
      - .offset:         40
        .size:           4
        .value_kind:     by_value
      - .offset:         48
        .size:           8
        .value_kind:     by_value
      - .address_space:  global
        .offset:         56
        .size:           8
        .value_kind:     global_buffer
      - .offset:         64
        .size:           8
        .value_kind:     by_value
      - .offset:         72
        .size:           4
        .value_kind:     by_value
      - .offset:         80
        .size:           8
        .value_kind:     by_value
      - .offset:         88
        .size:           4
        .value_kind:     by_value
      - .offset:         96
        .size:           4
        .value_kind:     hidden_block_count_x
      - .offset:         100
        .size:           4
        .value_kind:     hidden_block_count_y
      - .offset:         104
        .size:           4
        .value_kind:     hidden_block_count_z
      - .offset:         108
        .size:           2
        .value_kind:     hidden_group_size_x
      - .offset:         110
        .size:           2
        .value_kind:     hidden_group_size_y
      - .offset:         112
        .size:           2
        .value_kind:     hidden_group_size_z
      - .offset:         114
        .size:           2
        .value_kind:     hidden_remainder_x
      - .offset:         116
        .size:           2
        .value_kind:     hidden_remainder_y
      - .offset:         118
        .size:           2
        .value_kind:     hidden_remainder_z
      - .offset:         136
        .size:           8
        .value_kind:     hidden_global_offset_x
      - .offset:         144
        .size:           8
        .value_kind:     hidden_global_offset_y
      - .offset:         152
        .size:           8
        .value_kind:     hidden_global_offset_z
      - .offset:         160
        .size:           2
        .value_kind:     hidden_grid_dims
    .group_segment_fixed_size: 128
    .kernarg_segment_align: 8
    .kernarg_segment_size: 352
    .language:       OpenCL C
    .language_version:
      - 2
      - 0
    .max_flat_workgroup_size: 4
    .name:           _ZL31rocblas_trsm_small_right_deviceIffPKfPfLi4EEv13rocblas_fill_18rocblas_operation_17rocblas_diagonal_iiT0_T1_lilT2_lili
    .private_segment_fixed_size: 0
    .sgpr_count:     48
    .sgpr_spill_count: 0
    .symbol:         _ZL31rocblas_trsm_small_right_deviceIffPKfPfLi4EEv13rocblas_fill_18rocblas_operation_17rocblas_diagonal_iiT0_T1_lilT2_lili.kd
    .uniform_work_group_size: 1
    .uses_dynamic_stack: false
    .vgpr_count:     35
    .vgpr_spill_count: 0
    .wavefront_size: 64
  - .agpr_count:     0
    .args:
      - .offset:         0
        .size:           4
        .value_kind:     by_value
      - .offset:         4
        .size:           4
        .value_kind:     by_value
      - .offset:         8
        .size:           4
        .value_kind:     by_value
      - .offset:         12
        .size:           4
        .value_kind:     by_value
      - .offset:         16
        .size:           4
        .value_kind:     by_value
      - .offset:         20
        .size:           4
        .value_kind:     by_value
      - .address_space:  global
        .offset:         24
        .size:           8
        .value_kind:     global_buffer
      - .offset:         32
        .size:           8
        .value_kind:     by_value
      - .offset:         40
        .size:           4
        .value_kind:     by_value
      - .offset:         48
        .size:           8
        .value_kind:     by_value
      - .address_space:  global
        .offset:         56
        .size:           8
        .value_kind:     global_buffer
      - .offset:         64
        .size:           8
        .value_kind:     by_value
      - .offset:         72
        .size:           4
        .value_kind:     by_value
      - .offset:         80
        .size:           8
        .value_kind:     by_value
      - .offset:         88
        .size:           4
        .value_kind:     by_value
      - .offset:         96
        .size:           4
        .value_kind:     hidden_block_count_x
      - .offset:         100
        .size:           4
        .value_kind:     hidden_block_count_y
      - .offset:         104
        .size:           4
        .value_kind:     hidden_block_count_z
      - .offset:         108
        .size:           2
        .value_kind:     hidden_group_size_x
      - .offset:         110
        .size:           2
        .value_kind:     hidden_group_size_y
      - .offset:         112
        .size:           2
        .value_kind:     hidden_group_size_z
      - .offset:         114
        .size:           2
        .value_kind:     hidden_remainder_x
      - .offset:         116
        .size:           2
        .value_kind:     hidden_remainder_y
      - .offset:         118
        .size:           2
        .value_kind:     hidden_remainder_z
      - .offset:         136
        .size:           8
        .value_kind:     hidden_global_offset_x
      - .offset:         144
        .size:           8
        .value_kind:     hidden_global_offset_y
      - .offset:         152
        .size:           8
        .value_kind:     hidden_global_offset_z
      - .offset:         160
        .size:           2
        .value_kind:     hidden_grid_dims
    .group_segment_fixed_size: 512
    .kernarg_segment_align: 8
    .kernarg_segment_size: 352
    .language:       OpenCL C
    .language_version:
      - 2
      - 0
    .max_flat_workgroup_size: 8
    .name:           _ZL38rocblas_trsm_small_left_device_sharedBILi8ELi8ELb0EffPKfPfEv13rocblas_fill_18rocblas_operation_17rocblas_diagonal_iiT3_T4_lilT5_lili
    .private_segment_fixed_size: 0
    .sgpr_count:     47
    .sgpr_spill_count: 0
    .symbol:         _ZL38rocblas_trsm_small_left_device_sharedBILi8ELi8ELb0EffPKfPfEv13rocblas_fill_18rocblas_operation_17rocblas_diagonal_iiT3_T4_lilT5_lili.kd
    .uniform_work_group_size: 1
    .uses_dynamic_stack: false
    .vgpr_count:     35
    .vgpr_spill_count: 0
    .wavefront_size: 64
  - .agpr_count:     0
    .args:
      - .offset:         0
        .size:           4
        .value_kind:     by_value
      - .offset:         4
        .size:           4
        .value_kind:     by_value
      - .offset:         8
        .size:           4
        .value_kind:     by_value
      - .offset:         12
        .size:           4
        .value_kind:     by_value
      - .offset:         16
        .size:           4
        .value_kind:     by_value
      - .offset:         20
        .size:           4
        .value_kind:     by_value
      - .address_space:  global
        .offset:         24
        .size:           8
        .value_kind:     global_buffer
      - .offset:         32
        .size:           8
        .value_kind:     by_value
      - .offset:         40
        .size:           4
        .value_kind:     by_value
      - .offset:         48
        .size:           8
        .value_kind:     by_value
      - .address_space:  global
        .offset:         56
        .size:           8
        .value_kind:     global_buffer
      - .offset:         64
        .size:           8
        .value_kind:     by_value
      - .offset:         72
        .size:           4
        .value_kind:     by_value
      - .offset:         80
        .size:           8
        .value_kind:     by_value
      - .offset:         88
        .size:           4
        .value_kind:     by_value
      - .offset:         96
        .size:           4
        .value_kind:     hidden_block_count_x
      - .offset:         100
        .size:           4
        .value_kind:     hidden_block_count_y
      - .offset:         104
        .size:           4
        .value_kind:     hidden_block_count_z
      - .offset:         108
        .size:           2
        .value_kind:     hidden_group_size_x
      - .offset:         110
        .size:           2
        .value_kind:     hidden_group_size_y
      - .offset:         112
        .size:           2
        .value_kind:     hidden_group_size_z
      - .offset:         114
        .size:           2
        .value_kind:     hidden_remainder_x
      - .offset:         116
        .size:           2
        .value_kind:     hidden_remainder_y
      - .offset:         118
        .size:           2
        .value_kind:     hidden_remainder_z
      - .offset:         136
        .size:           8
        .value_kind:     hidden_global_offset_x
      - .offset:         144
        .size:           8
        .value_kind:     hidden_global_offset_y
      - .offset:         152
        .size:           8
        .value_kind:     hidden_global_offset_z
      - .offset:         160
        .size:           2
        .value_kind:     hidden_grid_dims
    .group_segment_fixed_size: 256
    .kernarg_segment_align: 8
    .kernarg_segment_size: 352
    .language:       OpenCL C
    .language_version:
      - 2
      - 0
    .max_flat_workgroup_size: 8
    .name:           _ZL30rocblas_trsm_small_left_deviceILi8ELi8ELb0EffPKfPfEv13rocblas_fill_18rocblas_operation_17rocblas_diagonal_iiT3_T4_lilT5_lili
    .private_segment_fixed_size: 0
    .sgpr_count:     47
    .sgpr_spill_count: 0
    .symbol:         _ZL30rocblas_trsm_small_left_deviceILi8ELi8ELb0EffPKfPfEv13rocblas_fill_18rocblas_operation_17rocblas_diagonal_iiT3_T4_lilT5_lili.kd
    .uniform_work_group_size: 1
    .uses_dynamic_stack: false
    .vgpr_count:     48
    .vgpr_spill_count: 0
    .wavefront_size: 64
  - .agpr_count:     0
    .args:
      - .offset:         0
        .size:           4
        .value_kind:     by_value
      - .offset:         4
        .size:           4
        .value_kind:     by_value
      - .offset:         8
        .size:           4
        .value_kind:     by_value
      - .offset:         12
        .size:           4
        .value_kind:     by_value
      - .offset:         16
        .size:           4
        .value_kind:     by_value
      - .offset:         20
        .size:           4
        .value_kind:     by_value
      - .address_space:  global
        .offset:         24
        .size:           8
        .value_kind:     global_buffer
      - .offset:         32
        .size:           8
        .value_kind:     by_value
      - .offset:         40
        .size:           4
        .value_kind:     by_value
      - .offset:         48
        .size:           8
        .value_kind:     by_value
      - .address_space:  global
        .offset:         56
        .size:           8
        .value_kind:     global_buffer
      - .offset:         64
        .size:           8
        .value_kind:     by_value
      - .offset:         72
        .size:           4
        .value_kind:     by_value
      - .offset:         80
        .size:           8
        .value_kind:     by_value
      - .offset:         88
        .size:           4
        .value_kind:     by_value
      - .offset:         96
        .size:           4
        .value_kind:     hidden_block_count_x
      - .offset:         100
        .size:           4
        .value_kind:     hidden_block_count_y
      - .offset:         104
        .size:           4
        .value_kind:     hidden_block_count_z
      - .offset:         108
        .size:           2
        .value_kind:     hidden_group_size_x
      - .offset:         110
        .size:           2
        .value_kind:     hidden_group_size_y
      - .offset:         112
        .size:           2
        .value_kind:     hidden_group_size_z
      - .offset:         114
        .size:           2
        .value_kind:     hidden_remainder_x
      - .offset:         116
        .size:           2
        .value_kind:     hidden_remainder_y
      - .offset:         118
        .size:           2
        .value_kind:     hidden_remainder_z
      - .offset:         136
        .size:           8
        .value_kind:     hidden_global_offset_x
      - .offset:         144
        .size:           8
        .value_kind:     hidden_global_offset_y
      - .offset:         152
        .size:           8
        .value_kind:     hidden_global_offset_z
      - .offset:         160
        .size:           2
        .value_kind:     hidden_grid_dims
    .group_segment_fixed_size: 512
    .kernarg_segment_align: 8
    .kernarg_segment_size: 352
    .language:       OpenCL C
    .language_version:
      - 2
      - 0
    .max_flat_workgroup_size: 8
    .name:           _ZL38rocblas_trsm_small_left_device_sharedBILi8ELi8ELb1EffPKfPfEv13rocblas_fill_18rocblas_operation_17rocblas_diagonal_iiT3_T4_lilT5_lili
    .private_segment_fixed_size: 0
    .sgpr_count:     47
    .sgpr_spill_count: 0
    .symbol:         _ZL38rocblas_trsm_small_left_device_sharedBILi8ELi8ELb1EffPKfPfEv13rocblas_fill_18rocblas_operation_17rocblas_diagonal_iiT3_T4_lilT5_lili.kd
    .uniform_work_group_size: 1
    .uses_dynamic_stack: false
    .vgpr_count:     58
    .vgpr_spill_count: 0
    .wavefront_size: 64
  - .agpr_count:     0
    .args:
      - .offset:         0
        .size:           4
        .value_kind:     by_value
      - .offset:         4
        .size:           4
        .value_kind:     by_value
      - .offset:         8
        .size:           4
        .value_kind:     by_value
      - .offset:         12
        .size:           4
        .value_kind:     by_value
      - .offset:         16
        .size:           4
        .value_kind:     by_value
      - .offset:         20
        .size:           4
        .value_kind:     by_value
      - .address_space:  global
        .offset:         24
        .size:           8
        .value_kind:     global_buffer
      - .offset:         32
        .size:           8
        .value_kind:     by_value
      - .offset:         40
        .size:           4
        .value_kind:     by_value
      - .offset:         48
        .size:           8
        .value_kind:     by_value
      - .address_space:  global
        .offset:         56
        .size:           8
        .value_kind:     global_buffer
      - .offset:         64
        .size:           8
        .value_kind:     by_value
      - .offset:         72
        .size:           4
        .value_kind:     by_value
      - .offset:         80
        .size:           8
        .value_kind:     by_value
      - .offset:         88
        .size:           4
        .value_kind:     by_value
      - .offset:         96
        .size:           4
        .value_kind:     hidden_block_count_x
      - .offset:         100
        .size:           4
        .value_kind:     hidden_block_count_y
      - .offset:         104
        .size:           4
        .value_kind:     hidden_block_count_z
      - .offset:         108
        .size:           2
        .value_kind:     hidden_group_size_x
      - .offset:         110
        .size:           2
        .value_kind:     hidden_group_size_y
      - .offset:         112
        .size:           2
        .value_kind:     hidden_group_size_z
      - .offset:         114
        .size:           2
        .value_kind:     hidden_remainder_x
      - .offset:         116
        .size:           2
        .value_kind:     hidden_remainder_y
      - .offset:         118
        .size:           2
        .value_kind:     hidden_remainder_z
      - .offset:         136
        .size:           8
        .value_kind:     hidden_global_offset_x
      - .offset:         144
        .size:           8
        .value_kind:     hidden_global_offset_y
      - .offset:         152
        .size:           8
        .value_kind:     hidden_global_offset_z
      - .offset:         160
        .size:           2
        .value_kind:     hidden_grid_dims
    .group_segment_fixed_size: 256
    .kernarg_segment_align: 8
    .kernarg_segment_size: 352
    .language:       OpenCL C
    .language_version:
      - 2
      - 0
    .max_flat_workgroup_size: 8
    .name:           _ZL30rocblas_trsm_small_left_deviceILi8ELi8ELb1EffPKfPfEv13rocblas_fill_18rocblas_operation_17rocblas_diagonal_iiT3_T4_lilT5_lili
    .private_segment_fixed_size: 0
    .sgpr_count:     47
    .sgpr_spill_count: 0
    .symbol:         _ZL30rocblas_trsm_small_left_deviceILi8ELi8ELb1EffPKfPfEv13rocblas_fill_18rocblas_operation_17rocblas_diagonal_iiT3_T4_lilT5_lili.kd
    .uniform_work_group_size: 1
    .uses_dynamic_stack: false
    .vgpr_count:     56
    .vgpr_spill_count: 0
    .wavefront_size: 64
  - .agpr_count:     0
    .args:
      - .offset:         0
        .size:           4
        .value_kind:     by_value
      - .offset:         4
        .size:           4
        .value_kind:     by_value
      - .offset:         8
        .size:           4
        .value_kind:     by_value
      - .offset:         12
        .size:           4
        .value_kind:     by_value
      - .offset:         16
        .size:           4
        .value_kind:     by_value
      - .offset:         20
        .size:           4
        .value_kind:     by_value
      - .address_space:  global
        .offset:         24
        .size:           8
        .value_kind:     global_buffer
      - .offset:         32
        .size:           8
        .value_kind:     by_value
      - .offset:         40
        .size:           4
        .value_kind:     by_value
      - .offset:         48
        .size:           8
        .value_kind:     by_value
      - .address_space:  global
        .offset:         56
        .size:           8
        .value_kind:     global_buffer
      - .offset:         64
        .size:           8
        .value_kind:     by_value
      - .offset:         72
        .size:           4
        .value_kind:     by_value
      - .offset:         80
        .size:           8
        .value_kind:     by_value
      - .offset:         88
        .size:           4
        .value_kind:     by_value
      - .offset:         96
        .size:           4
        .value_kind:     hidden_block_count_x
      - .offset:         100
        .size:           4
        .value_kind:     hidden_block_count_y
      - .offset:         104
        .size:           4
        .value_kind:     hidden_block_count_z
      - .offset:         108
        .size:           2
        .value_kind:     hidden_group_size_x
      - .offset:         110
        .size:           2
        .value_kind:     hidden_group_size_y
      - .offset:         112
        .size:           2
        .value_kind:     hidden_group_size_z
      - .offset:         114
        .size:           2
        .value_kind:     hidden_remainder_x
      - .offset:         116
        .size:           2
        .value_kind:     hidden_remainder_y
      - .offset:         118
        .size:           2
        .value_kind:     hidden_remainder_z
      - .offset:         136
        .size:           8
        .value_kind:     hidden_global_offset_x
      - .offset:         144
        .size:           8
        .value_kind:     hidden_global_offset_y
      - .offset:         152
        .size:           8
        .value_kind:     hidden_global_offset_z
      - .offset:         160
        .size:           2
        .value_kind:     hidden_grid_dims
    .group_segment_fixed_size: 512
    .kernarg_segment_align: 8
    .kernarg_segment_size: 352
    .language:       OpenCL C
    .language_version:
      - 2
      - 0
    .max_flat_workgroup_size: 8
    .name:           _ZL31rocblas_trsm_small_right_deviceIffPKfPfLi8EEv13rocblas_fill_18rocblas_operation_17rocblas_diagonal_iiT0_T1_lilT2_lili
    .private_segment_fixed_size: 0
    .sgpr_count:     48
    .sgpr_spill_count: 0
    .symbol:         _ZL31rocblas_trsm_small_right_deviceIffPKfPfLi8EEv13rocblas_fill_18rocblas_operation_17rocblas_diagonal_iiT0_T1_lilT2_lili.kd
    .uniform_work_group_size: 1
    .uses_dynamic_stack: false
    .vgpr_count:     62
    .vgpr_spill_count: 0
    .wavefront_size: 64
  - .agpr_count:     0
    .args:
      - .offset:         0
        .size:           4
        .value_kind:     by_value
      - .offset:         4
        .size:           4
        .value_kind:     by_value
      - .offset:         8
        .size:           4
        .value_kind:     by_value
      - .offset:         12
        .size:           4
        .value_kind:     by_value
      - .offset:         16
        .size:           4
        .value_kind:     by_value
      - .offset:         20
        .size:           4
        .value_kind:     by_value
      - .address_space:  global
        .offset:         24
        .size:           8
        .value_kind:     global_buffer
      - .offset:         32
        .size:           8
        .value_kind:     by_value
      - .offset:         40
        .size:           4
        .value_kind:     by_value
      - .offset:         48
        .size:           8
        .value_kind:     by_value
      - .address_space:  global
        .offset:         56
        .size:           8
        .value_kind:     global_buffer
      - .offset:         64
        .size:           8
        .value_kind:     by_value
      - .offset:         72
        .size:           4
        .value_kind:     by_value
      - .offset:         80
        .size:           8
        .value_kind:     by_value
      - .offset:         88
        .size:           4
        .value_kind:     by_value
      - .offset:         96
        .size:           4
        .value_kind:     hidden_block_count_x
      - .offset:         100
        .size:           4
        .value_kind:     hidden_block_count_y
      - .offset:         104
        .size:           4
        .value_kind:     hidden_block_count_z
      - .offset:         108
        .size:           2
        .value_kind:     hidden_group_size_x
      - .offset:         110
        .size:           2
        .value_kind:     hidden_group_size_y
      - .offset:         112
        .size:           2
        .value_kind:     hidden_group_size_z
      - .offset:         114
        .size:           2
        .value_kind:     hidden_remainder_x
      - .offset:         116
        .size:           2
        .value_kind:     hidden_remainder_y
      - .offset:         118
        .size:           2
        .value_kind:     hidden_remainder_z
      - .offset:         136
        .size:           8
        .value_kind:     hidden_global_offset_x
      - .offset:         144
        .size:           8
        .value_kind:     hidden_global_offset_y
      - .offset:         152
        .size:           8
        .value_kind:     hidden_global_offset_z
      - .offset:         160
        .size:           2
        .value_kind:     hidden_grid_dims
    .group_segment_fixed_size: 1152
    .kernarg_segment_align: 8
    .kernarg_segment_size: 352
    .language:       OpenCL C
    .language_version:
      - 2
      - 0
    .max_flat_workgroup_size: 12
    .name:           _ZL38rocblas_trsm_small_left_device_sharedBILi12ELi12ELb0EffPKfPfEv13rocblas_fill_18rocblas_operation_17rocblas_diagonal_iiT3_T4_lilT5_lili
    .private_segment_fixed_size: 0
    .sgpr_count:     47
    .sgpr_spill_count: 0
    .symbol:         _ZL38rocblas_trsm_small_left_device_sharedBILi12ELi12ELb0EffPKfPfEv13rocblas_fill_18rocblas_operation_17rocblas_diagonal_iiT3_T4_lilT5_lili.kd
    .uniform_work_group_size: 1
    .uses_dynamic_stack: false
    .vgpr_count:     46
    .vgpr_spill_count: 0
    .wavefront_size: 64
  - .agpr_count:     0
    .args:
      - .offset:         0
        .size:           4
        .value_kind:     by_value
      - .offset:         4
        .size:           4
        .value_kind:     by_value
      - .offset:         8
        .size:           4
        .value_kind:     by_value
      - .offset:         12
        .size:           4
        .value_kind:     by_value
      - .offset:         16
        .size:           4
        .value_kind:     by_value
      - .offset:         20
        .size:           4
        .value_kind:     by_value
      - .address_space:  global
        .offset:         24
        .size:           8
        .value_kind:     global_buffer
      - .offset:         32
        .size:           8
        .value_kind:     by_value
      - .offset:         40
        .size:           4
        .value_kind:     by_value
      - .offset:         48
        .size:           8
        .value_kind:     by_value
      - .address_space:  global
        .offset:         56
        .size:           8
        .value_kind:     global_buffer
      - .offset:         64
        .size:           8
        .value_kind:     by_value
      - .offset:         72
        .size:           4
        .value_kind:     by_value
      - .offset:         80
        .size:           8
        .value_kind:     by_value
      - .offset:         88
        .size:           4
        .value_kind:     by_value
      - .offset:         96
        .size:           4
        .value_kind:     hidden_block_count_x
      - .offset:         100
        .size:           4
        .value_kind:     hidden_block_count_y
      - .offset:         104
        .size:           4
        .value_kind:     hidden_block_count_z
      - .offset:         108
        .size:           2
        .value_kind:     hidden_group_size_x
      - .offset:         110
        .size:           2
        .value_kind:     hidden_group_size_y
      - .offset:         112
        .size:           2
        .value_kind:     hidden_group_size_z
      - .offset:         114
        .size:           2
        .value_kind:     hidden_remainder_x
      - .offset:         116
        .size:           2
        .value_kind:     hidden_remainder_y
      - .offset:         118
        .size:           2
        .value_kind:     hidden_remainder_z
      - .offset:         136
        .size:           8
        .value_kind:     hidden_global_offset_x
      - .offset:         144
        .size:           8
        .value_kind:     hidden_global_offset_y
      - .offset:         152
        .size:           8
        .value_kind:     hidden_global_offset_z
      - .offset:         160
        .size:           2
        .value_kind:     hidden_grid_dims
    .group_segment_fixed_size: 576
    .kernarg_segment_align: 8
    .kernarg_segment_size: 352
    .language:       OpenCL C
    .language_version:
      - 2
      - 0
    .max_flat_workgroup_size: 12
    .name:           _ZL30rocblas_trsm_small_left_deviceILi12ELi12ELb0EffPKfPfEv13rocblas_fill_18rocblas_operation_17rocblas_diagonal_iiT3_T4_lilT5_lili
    .private_segment_fixed_size: 0
    .sgpr_count:     47
    .sgpr_spill_count: 0
    .symbol:         _ZL30rocblas_trsm_small_left_deviceILi12ELi12ELb0EffPKfPfEv13rocblas_fill_18rocblas_operation_17rocblas_diagonal_iiT3_T4_lilT5_lili.kd
    .uniform_work_group_size: 1
    .uses_dynamic_stack: false
    .vgpr_count:     60
    .vgpr_spill_count: 0
    .wavefront_size: 64
  - .agpr_count:     0
    .args:
      - .offset:         0
        .size:           4
        .value_kind:     by_value
      - .offset:         4
        .size:           4
        .value_kind:     by_value
      - .offset:         8
        .size:           4
        .value_kind:     by_value
      - .offset:         12
        .size:           4
        .value_kind:     by_value
      - .offset:         16
        .size:           4
        .value_kind:     by_value
      - .offset:         20
        .size:           4
        .value_kind:     by_value
      - .address_space:  global
        .offset:         24
        .size:           8
        .value_kind:     global_buffer
      - .offset:         32
        .size:           8
        .value_kind:     by_value
      - .offset:         40
        .size:           4
        .value_kind:     by_value
      - .offset:         48
        .size:           8
        .value_kind:     by_value
      - .address_space:  global
        .offset:         56
        .size:           8
        .value_kind:     global_buffer
      - .offset:         64
        .size:           8
        .value_kind:     by_value
      - .offset:         72
        .size:           4
        .value_kind:     by_value
      - .offset:         80
        .size:           8
        .value_kind:     by_value
      - .offset:         88
        .size:           4
        .value_kind:     by_value
      - .offset:         96
        .size:           4
        .value_kind:     hidden_block_count_x
      - .offset:         100
        .size:           4
        .value_kind:     hidden_block_count_y
      - .offset:         104
        .size:           4
        .value_kind:     hidden_block_count_z
      - .offset:         108
        .size:           2
        .value_kind:     hidden_group_size_x
      - .offset:         110
        .size:           2
        .value_kind:     hidden_group_size_y
      - .offset:         112
        .size:           2
        .value_kind:     hidden_group_size_z
      - .offset:         114
        .size:           2
        .value_kind:     hidden_remainder_x
      - .offset:         116
        .size:           2
        .value_kind:     hidden_remainder_y
      - .offset:         118
        .size:           2
        .value_kind:     hidden_remainder_z
      - .offset:         136
        .size:           8
        .value_kind:     hidden_global_offset_x
      - .offset:         144
        .size:           8
        .value_kind:     hidden_global_offset_y
      - .offset:         152
        .size:           8
        .value_kind:     hidden_global_offset_z
      - .offset:         160
        .size:           2
        .value_kind:     hidden_grid_dims
    .group_segment_fixed_size: 1152
    .kernarg_segment_align: 8
    .kernarg_segment_size: 352
    .language:       OpenCL C
    .language_version:
      - 2
      - 0
    .max_flat_workgroup_size: 12
    .name:           _ZL38rocblas_trsm_small_left_device_sharedBILi12ELi12ELb1EffPKfPfEv13rocblas_fill_18rocblas_operation_17rocblas_diagonal_iiT3_T4_lilT5_lili
    .private_segment_fixed_size: 0
    .sgpr_count:     50
    .sgpr_spill_count: 0
    .symbol:         _ZL38rocblas_trsm_small_left_device_sharedBILi12ELi12ELb1EffPKfPfEv13rocblas_fill_18rocblas_operation_17rocblas_diagonal_iiT3_T4_lilT5_lili.kd
    .uniform_work_group_size: 1
    .uses_dynamic_stack: false
    .vgpr_count:     65
    .vgpr_spill_count: 0
    .wavefront_size: 64
  - .agpr_count:     0
    .args:
      - .offset:         0
        .size:           4
        .value_kind:     by_value
      - .offset:         4
        .size:           4
        .value_kind:     by_value
      - .offset:         8
        .size:           4
        .value_kind:     by_value
      - .offset:         12
        .size:           4
        .value_kind:     by_value
      - .offset:         16
        .size:           4
        .value_kind:     by_value
      - .offset:         20
        .size:           4
        .value_kind:     by_value
      - .address_space:  global
        .offset:         24
        .size:           8
        .value_kind:     global_buffer
      - .offset:         32
        .size:           8
        .value_kind:     by_value
      - .offset:         40
        .size:           4
        .value_kind:     by_value
      - .offset:         48
        .size:           8
        .value_kind:     by_value
      - .address_space:  global
        .offset:         56
        .size:           8
        .value_kind:     global_buffer
      - .offset:         64
        .size:           8
        .value_kind:     by_value
      - .offset:         72
        .size:           4
        .value_kind:     by_value
      - .offset:         80
        .size:           8
        .value_kind:     by_value
      - .offset:         88
        .size:           4
        .value_kind:     by_value
      - .offset:         96
        .size:           4
        .value_kind:     hidden_block_count_x
      - .offset:         100
        .size:           4
        .value_kind:     hidden_block_count_y
      - .offset:         104
        .size:           4
        .value_kind:     hidden_block_count_z
      - .offset:         108
        .size:           2
        .value_kind:     hidden_group_size_x
      - .offset:         110
        .size:           2
        .value_kind:     hidden_group_size_y
      - .offset:         112
        .size:           2
        .value_kind:     hidden_group_size_z
      - .offset:         114
        .size:           2
        .value_kind:     hidden_remainder_x
      - .offset:         116
        .size:           2
        .value_kind:     hidden_remainder_y
      - .offset:         118
        .size:           2
        .value_kind:     hidden_remainder_z
      - .offset:         136
        .size:           8
        .value_kind:     hidden_global_offset_x
      - .offset:         144
        .size:           8
        .value_kind:     hidden_global_offset_y
      - .offset:         152
        .size:           8
        .value_kind:     hidden_global_offset_z
      - .offset:         160
        .size:           2
        .value_kind:     hidden_grid_dims
    .group_segment_fixed_size: 576
    .kernarg_segment_align: 8
    .kernarg_segment_size: 352
    .language:       OpenCL C
    .language_version:
      - 2
      - 0
    .max_flat_workgroup_size: 12
    .name:           _ZL30rocblas_trsm_small_left_deviceILi12ELi12ELb1EffPKfPfEv13rocblas_fill_18rocblas_operation_17rocblas_diagonal_iiT3_T4_lilT5_lili
    .private_segment_fixed_size: 0
    .sgpr_count:     47
    .sgpr_spill_count: 0
    .symbol:         _ZL30rocblas_trsm_small_left_deviceILi12ELi12ELb1EffPKfPfEv13rocblas_fill_18rocblas_operation_17rocblas_diagonal_iiT3_T4_lilT5_lili.kd
    .uniform_work_group_size: 1
    .uses_dynamic_stack: false
    .vgpr_count:     64
    .vgpr_spill_count: 0
    .wavefront_size: 64
  - .agpr_count:     0
    .args:
      - .offset:         0
        .size:           4
        .value_kind:     by_value
      - .offset:         4
        .size:           4
        .value_kind:     by_value
      - .offset:         8
        .size:           4
        .value_kind:     by_value
      - .offset:         12
        .size:           4
        .value_kind:     by_value
      - .offset:         16
        .size:           4
        .value_kind:     by_value
      - .offset:         20
        .size:           4
        .value_kind:     by_value
      - .address_space:  global
        .offset:         24
        .size:           8
        .value_kind:     global_buffer
      - .offset:         32
        .size:           8
        .value_kind:     by_value
      - .offset:         40
        .size:           4
        .value_kind:     by_value
      - .offset:         48
        .size:           8
        .value_kind:     by_value
      - .address_space:  global
        .offset:         56
        .size:           8
        .value_kind:     global_buffer
      - .offset:         64
        .size:           8
        .value_kind:     by_value
      - .offset:         72
        .size:           4
        .value_kind:     by_value
      - .offset:         80
        .size:           8
        .value_kind:     by_value
      - .offset:         88
        .size:           4
        .value_kind:     by_value
      - .offset:         96
        .size:           4
        .value_kind:     hidden_block_count_x
      - .offset:         100
        .size:           4
        .value_kind:     hidden_block_count_y
      - .offset:         104
        .size:           4
        .value_kind:     hidden_block_count_z
      - .offset:         108
        .size:           2
        .value_kind:     hidden_group_size_x
      - .offset:         110
        .size:           2
        .value_kind:     hidden_group_size_y
      - .offset:         112
        .size:           2
        .value_kind:     hidden_group_size_z
      - .offset:         114
        .size:           2
        .value_kind:     hidden_remainder_x
      - .offset:         116
        .size:           2
        .value_kind:     hidden_remainder_y
      - .offset:         118
        .size:           2
        .value_kind:     hidden_remainder_z
      - .offset:         136
        .size:           8
        .value_kind:     hidden_global_offset_x
      - .offset:         144
        .size:           8
        .value_kind:     hidden_global_offset_y
      - .offset:         152
        .size:           8
        .value_kind:     hidden_global_offset_z
      - .offset:         160
        .size:           2
        .value_kind:     hidden_grid_dims
    .group_segment_fixed_size: 1152
    .kernarg_segment_align: 8
    .kernarg_segment_size: 352
    .language:       OpenCL C
    .language_version:
      - 2
      - 0
    .max_flat_workgroup_size: 12
    .name:           _ZL31rocblas_trsm_small_right_deviceIffPKfPfLi12EEv13rocblas_fill_18rocblas_operation_17rocblas_diagonal_iiT0_T1_lilT2_lili
    .private_segment_fixed_size: 0
    .sgpr_count:     48
    .sgpr_spill_count: 0
    .symbol:         _ZL31rocblas_trsm_small_right_deviceIffPKfPfLi12EEv13rocblas_fill_18rocblas_operation_17rocblas_diagonal_iiT0_T1_lilT2_lili.kd
    .uniform_work_group_size: 1
    .uses_dynamic_stack: false
    .vgpr_count:     60
    .vgpr_spill_count: 0
    .wavefront_size: 64
  - .agpr_count:     0
    .args:
      - .offset:         0
        .size:           4
        .value_kind:     by_value
      - .offset:         4
        .size:           4
        .value_kind:     by_value
      - .offset:         8
        .size:           4
        .value_kind:     by_value
      - .offset:         12
        .size:           4
        .value_kind:     by_value
      - .offset:         16
        .size:           4
        .value_kind:     by_value
      - .offset:         20
        .size:           4
        .value_kind:     by_value
      - .address_space:  global
        .offset:         24
        .size:           8
        .value_kind:     global_buffer
      - .offset:         32
        .size:           8
        .value_kind:     by_value
      - .offset:         40
        .size:           4
        .value_kind:     by_value
      - .offset:         48
        .size:           8
        .value_kind:     by_value
      - .address_space:  global
        .offset:         56
        .size:           8
        .value_kind:     global_buffer
      - .offset:         64
        .size:           8
        .value_kind:     by_value
      - .offset:         72
        .size:           4
        .value_kind:     by_value
      - .offset:         80
        .size:           8
        .value_kind:     by_value
      - .offset:         88
        .size:           4
        .value_kind:     by_value
      - .offset:         96
        .size:           4
        .value_kind:     hidden_block_count_x
      - .offset:         100
        .size:           4
        .value_kind:     hidden_block_count_y
      - .offset:         104
        .size:           4
        .value_kind:     hidden_block_count_z
      - .offset:         108
        .size:           2
        .value_kind:     hidden_group_size_x
      - .offset:         110
        .size:           2
        .value_kind:     hidden_group_size_y
      - .offset:         112
        .size:           2
        .value_kind:     hidden_group_size_z
      - .offset:         114
        .size:           2
        .value_kind:     hidden_remainder_x
      - .offset:         116
        .size:           2
        .value_kind:     hidden_remainder_y
      - .offset:         118
        .size:           2
        .value_kind:     hidden_remainder_z
      - .offset:         136
        .size:           8
        .value_kind:     hidden_global_offset_x
      - .offset:         144
        .size:           8
        .value_kind:     hidden_global_offset_y
      - .offset:         152
        .size:           8
        .value_kind:     hidden_global_offset_z
      - .offset:         160
        .size:           2
        .value_kind:     hidden_grid_dims
    .group_segment_fixed_size: 2048
    .kernarg_segment_align: 8
    .kernarg_segment_size: 352
    .language:       OpenCL C
    .language_version:
      - 2
      - 0
    .max_flat_workgroup_size: 16
    .name:           _ZL38rocblas_trsm_small_left_device_sharedBILi16ELi16ELb0EffPKfPfEv13rocblas_fill_18rocblas_operation_17rocblas_diagonal_iiT3_T4_lilT5_lili
    .private_segment_fixed_size: 0
    .sgpr_count:     47
    .sgpr_spill_count: 0
    .symbol:         _ZL38rocblas_trsm_small_left_device_sharedBILi16ELi16ELb0EffPKfPfEv13rocblas_fill_18rocblas_operation_17rocblas_diagonal_iiT3_T4_lilT5_lili.kd
    .uniform_work_group_size: 1
    .uses_dynamic_stack: false
    .vgpr_count:     63
    .vgpr_spill_count: 0
    .wavefront_size: 64
  - .agpr_count:     0
    .args:
      - .offset:         0
        .size:           4
        .value_kind:     by_value
      - .offset:         4
        .size:           4
        .value_kind:     by_value
      - .offset:         8
        .size:           4
        .value_kind:     by_value
      - .offset:         12
        .size:           4
        .value_kind:     by_value
      - .offset:         16
        .size:           4
        .value_kind:     by_value
      - .offset:         20
        .size:           4
        .value_kind:     by_value
      - .address_space:  global
        .offset:         24
        .size:           8
        .value_kind:     global_buffer
      - .offset:         32
        .size:           8
        .value_kind:     by_value
      - .offset:         40
        .size:           4
        .value_kind:     by_value
      - .offset:         48
        .size:           8
        .value_kind:     by_value
      - .address_space:  global
        .offset:         56
        .size:           8
        .value_kind:     global_buffer
      - .offset:         64
        .size:           8
        .value_kind:     by_value
      - .offset:         72
        .size:           4
        .value_kind:     by_value
      - .offset:         80
        .size:           8
        .value_kind:     by_value
      - .offset:         88
        .size:           4
        .value_kind:     by_value
      - .offset:         96
        .size:           4
        .value_kind:     hidden_block_count_x
      - .offset:         100
        .size:           4
        .value_kind:     hidden_block_count_y
      - .offset:         104
        .size:           4
        .value_kind:     hidden_block_count_z
      - .offset:         108
        .size:           2
        .value_kind:     hidden_group_size_x
      - .offset:         110
        .size:           2
        .value_kind:     hidden_group_size_y
      - .offset:         112
        .size:           2
        .value_kind:     hidden_group_size_z
      - .offset:         114
        .size:           2
        .value_kind:     hidden_remainder_x
      - .offset:         116
        .size:           2
        .value_kind:     hidden_remainder_y
      - .offset:         118
        .size:           2
        .value_kind:     hidden_remainder_z
      - .offset:         136
        .size:           8
        .value_kind:     hidden_global_offset_x
      - .offset:         144
        .size:           8
        .value_kind:     hidden_global_offset_y
      - .offset:         152
        .size:           8
        .value_kind:     hidden_global_offset_z
      - .offset:         160
        .size:           2
        .value_kind:     hidden_grid_dims
    .group_segment_fixed_size: 1024
    .kernarg_segment_align: 8
    .kernarg_segment_size: 352
    .language:       OpenCL C
    .language_version:
      - 2
      - 0
    .max_flat_workgroup_size: 16
    .name:           _ZL30rocblas_trsm_small_left_deviceILi16ELi16ELb0EffPKfPfEv13rocblas_fill_18rocblas_operation_17rocblas_diagonal_iiT3_T4_lilT5_lili
    .private_segment_fixed_size: 0
    .sgpr_count:     47
    .sgpr_spill_count: 0
    .symbol:         _ZL30rocblas_trsm_small_left_deviceILi16ELi16ELb0EffPKfPfEv13rocblas_fill_18rocblas_operation_17rocblas_diagonal_iiT3_T4_lilT5_lili.kd
    .uniform_work_group_size: 1
    .uses_dynamic_stack: false
    .vgpr_count:     66
    .vgpr_spill_count: 0
    .wavefront_size: 64
  - .agpr_count:     0
    .args:
      - .offset:         0
        .size:           4
        .value_kind:     by_value
      - .offset:         4
        .size:           4
        .value_kind:     by_value
      - .offset:         8
        .size:           4
        .value_kind:     by_value
      - .offset:         12
        .size:           4
        .value_kind:     by_value
      - .offset:         16
        .size:           4
        .value_kind:     by_value
      - .offset:         20
        .size:           4
        .value_kind:     by_value
      - .address_space:  global
        .offset:         24
        .size:           8
        .value_kind:     global_buffer
      - .offset:         32
        .size:           8
        .value_kind:     by_value
      - .offset:         40
        .size:           4
        .value_kind:     by_value
      - .offset:         48
        .size:           8
        .value_kind:     by_value
      - .address_space:  global
        .offset:         56
        .size:           8
        .value_kind:     global_buffer
      - .offset:         64
        .size:           8
        .value_kind:     by_value
      - .offset:         72
        .size:           4
        .value_kind:     by_value
      - .offset:         80
        .size:           8
        .value_kind:     by_value
      - .offset:         88
        .size:           4
        .value_kind:     by_value
      - .offset:         96
        .size:           4
        .value_kind:     hidden_block_count_x
      - .offset:         100
        .size:           4
        .value_kind:     hidden_block_count_y
      - .offset:         104
        .size:           4
        .value_kind:     hidden_block_count_z
      - .offset:         108
        .size:           2
        .value_kind:     hidden_group_size_x
      - .offset:         110
        .size:           2
        .value_kind:     hidden_group_size_y
      - .offset:         112
        .size:           2
        .value_kind:     hidden_group_size_z
      - .offset:         114
        .size:           2
        .value_kind:     hidden_remainder_x
      - .offset:         116
        .size:           2
        .value_kind:     hidden_remainder_y
      - .offset:         118
        .size:           2
        .value_kind:     hidden_remainder_z
      - .offset:         136
        .size:           8
        .value_kind:     hidden_global_offset_x
      - .offset:         144
        .size:           8
        .value_kind:     hidden_global_offset_y
      - .offset:         152
        .size:           8
        .value_kind:     hidden_global_offset_z
      - .offset:         160
        .size:           2
        .value_kind:     hidden_grid_dims
    .group_segment_fixed_size: 2048
    .kernarg_segment_align: 8
    .kernarg_segment_size: 352
    .language:       OpenCL C
    .language_version:
      - 2
      - 0
    .max_flat_workgroup_size: 16
    .name:           _ZL38rocblas_trsm_small_left_device_sharedBILi16ELi16ELb1EffPKfPfEv13rocblas_fill_18rocblas_operation_17rocblas_diagonal_iiT3_T4_lilT5_lili
    .private_segment_fixed_size: 0
    .sgpr_count:     47
    .sgpr_spill_count: 0
    .symbol:         _ZL38rocblas_trsm_small_left_device_sharedBILi16ELi16ELb1EffPKfPfEv13rocblas_fill_18rocblas_operation_17rocblas_diagonal_iiT3_T4_lilT5_lili.kd
    .uniform_work_group_size: 1
    .uses_dynamic_stack: false
    .vgpr_count:     65
    .vgpr_spill_count: 0
    .wavefront_size: 64
  - .agpr_count:     0
    .args:
      - .offset:         0
        .size:           4
        .value_kind:     by_value
      - .offset:         4
        .size:           4
        .value_kind:     by_value
      - .offset:         8
        .size:           4
        .value_kind:     by_value
      - .offset:         12
        .size:           4
        .value_kind:     by_value
      - .offset:         16
        .size:           4
        .value_kind:     by_value
      - .offset:         20
        .size:           4
        .value_kind:     by_value
      - .address_space:  global
        .offset:         24
        .size:           8
        .value_kind:     global_buffer
      - .offset:         32
        .size:           8
        .value_kind:     by_value
      - .offset:         40
        .size:           4
        .value_kind:     by_value
      - .offset:         48
        .size:           8
        .value_kind:     by_value
      - .address_space:  global
        .offset:         56
        .size:           8
        .value_kind:     global_buffer
      - .offset:         64
        .size:           8
        .value_kind:     by_value
      - .offset:         72
        .size:           4
        .value_kind:     by_value
      - .offset:         80
        .size:           8
        .value_kind:     by_value
      - .offset:         88
        .size:           4
        .value_kind:     by_value
      - .offset:         96
        .size:           4
        .value_kind:     hidden_block_count_x
      - .offset:         100
        .size:           4
        .value_kind:     hidden_block_count_y
      - .offset:         104
        .size:           4
        .value_kind:     hidden_block_count_z
      - .offset:         108
        .size:           2
        .value_kind:     hidden_group_size_x
      - .offset:         110
        .size:           2
        .value_kind:     hidden_group_size_y
      - .offset:         112
        .size:           2
        .value_kind:     hidden_group_size_z
      - .offset:         114
        .size:           2
        .value_kind:     hidden_remainder_x
      - .offset:         116
        .size:           2
        .value_kind:     hidden_remainder_y
      - .offset:         118
        .size:           2
        .value_kind:     hidden_remainder_z
      - .offset:         136
        .size:           8
        .value_kind:     hidden_global_offset_x
      - .offset:         144
        .size:           8
        .value_kind:     hidden_global_offset_y
      - .offset:         152
        .size:           8
        .value_kind:     hidden_global_offset_z
      - .offset:         160
        .size:           2
        .value_kind:     hidden_grid_dims
    .group_segment_fixed_size: 1024
    .kernarg_segment_align: 8
    .kernarg_segment_size: 352
    .language:       OpenCL C
    .language_version:
      - 2
      - 0
    .max_flat_workgroup_size: 16
    .name:           _ZL30rocblas_trsm_small_left_deviceILi16ELi16ELb1EffPKfPfEv13rocblas_fill_18rocblas_operation_17rocblas_diagonal_iiT3_T4_lilT5_lili
    .private_segment_fixed_size: 0
    .sgpr_count:     47
    .sgpr_spill_count: 0
    .symbol:         _ZL30rocblas_trsm_small_left_deviceILi16ELi16ELb1EffPKfPfEv13rocblas_fill_18rocblas_operation_17rocblas_diagonal_iiT3_T4_lilT5_lili.kd
    .uniform_work_group_size: 1
    .uses_dynamic_stack: false
    .vgpr_count:     67
    .vgpr_spill_count: 0
    .wavefront_size: 64
  - .agpr_count:     0
    .args:
      - .offset:         0
        .size:           4
        .value_kind:     by_value
      - .offset:         4
        .size:           4
        .value_kind:     by_value
      - .offset:         8
        .size:           4
        .value_kind:     by_value
      - .offset:         12
        .size:           4
        .value_kind:     by_value
      - .offset:         16
        .size:           4
        .value_kind:     by_value
      - .offset:         20
        .size:           4
        .value_kind:     by_value
      - .address_space:  global
        .offset:         24
        .size:           8
        .value_kind:     global_buffer
      - .offset:         32
        .size:           8
        .value_kind:     by_value
      - .offset:         40
        .size:           4
        .value_kind:     by_value
      - .offset:         48
        .size:           8
        .value_kind:     by_value
      - .address_space:  global
        .offset:         56
        .size:           8
        .value_kind:     global_buffer
      - .offset:         64
        .size:           8
        .value_kind:     by_value
      - .offset:         72
        .size:           4
        .value_kind:     by_value
      - .offset:         80
        .size:           8
        .value_kind:     by_value
      - .offset:         88
        .size:           4
        .value_kind:     by_value
      - .offset:         96
        .size:           4
        .value_kind:     hidden_block_count_x
      - .offset:         100
        .size:           4
        .value_kind:     hidden_block_count_y
      - .offset:         104
        .size:           4
        .value_kind:     hidden_block_count_z
      - .offset:         108
        .size:           2
        .value_kind:     hidden_group_size_x
      - .offset:         110
        .size:           2
        .value_kind:     hidden_group_size_y
      - .offset:         112
        .size:           2
        .value_kind:     hidden_group_size_z
      - .offset:         114
        .size:           2
        .value_kind:     hidden_remainder_x
      - .offset:         116
        .size:           2
        .value_kind:     hidden_remainder_y
      - .offset:         118
        .size:           2
        .value_kind:     hidden_remainder_z
      - .offset:         136
        .size:           8
        .value_kind:     hidden_global_offset_x
      - .offset:         144
        .size:           8
        .value_kind:     hidden_global_offset_y
      - .offset:         152
        .size:           8
        .value_kind:     hidden_global_offset_z
      - .offset:         160
        .size:           2
        .value_kind:     hidden_grid_dims
    .group_segment_fixed_size: 2048
    .kernarg_segment_align: 8
    .kernarg_segment_size: 352
    .language:       OpenCL C
    .language_version:
      - 2
      - 0
    .max_flat_workgroup_size: 16
    .name:           _ZL31rocblas_trsm_small_right_deviceIffPKfPfLi16EEv13rocblas_fill_18rocblas_operation_17rocblas_diagonal_iiT0_T1_lilT2_lili
    .private_segment_fixed_size: 0
    .sgpr_count:     48
    .sgpr_spill_count: 0
    .symbol:         _ZL31rocblas_trsm_small_right_deviceIffPKfPfLi16EEv13rocblas_fill_18rocblas_operation_17rocblas_diagonal_iiT0_T1_lilT2_lili.kd
    .uniform_work_group_size: 1
    .uses_dynamic_stack: false
    .vgpr_count:     62
    .vgpr_spill_count: 0
    .wavefront_size: 64
  - .agpr_count:     0
    .args:
      - .offset:         0
        .size:           4
        .value_kind:     by_value
      - .offset:         4
        .size:           4
        .value_kind:     by_value
      - .offset:         8
        .size:           4
        .value_kind:     by_value
      - .offset:         12
        .size:           4
        .value_kind:     by_value
      - .offset:         16
        .size:           4
        .value_kind:     by_value
      - .offset:         20
        .size:           4
        .value_kind:     by_value
      - .address_space:  global
        .offset:         24
        .size:           8
        .value_kind:     global_buffer
      - .offset:         32
        .size:           8
        .value_kind:     by_value
      - .offset:         40
        .size:           4
        .value_kind:     by_value
      - .offset:         48
        .size:           8
        .value_kind:     by_value
      - .address_space:  global
        .offset:         56
        .size:           8
        .value_kind:     global_buffer
      - .offset:         64
        .size:           8
        .value_kind:     by_value
      - .offset:         72
        .size:           4
        .value_kind:     by_value
      - .offset:         80
        .size:           8
        .value_kind:     by_value
      - .offset:         88
        .size:           4
        .value_kind:     by_value
      - .offset:         96
        .size:           4
        .value_kind:     hidden_block_count_x
      - .offset:         100
        .size:           4
        .value_kind:     hidden_block_count_y
      - .offset:         104
        .size:           4
        .value_kind:     hidden_block_count_z
      - .offset:         108
        .size:           2
        .value_kind:     hidden_group_size_x
      - .offset:         110
        .size:           2
        .value_kind:     hidden_group_size_y
      - .offset:         112
        .size:           2
        .value_kind:     hidden_group_size_z
      - .offset:         114
        .size:           2
        .value_kind:     hidden_remainder_x
      - .offset:         116
        .size:           2
        .value_kind:     hidden_remainder_y
      - .offset:         118
        .size:           2
        .value_kind:     hidden_remainder_z
      - .offset:         136
        .size:           8
        .value_kind:     hidden_global_offset_x
      - .offset:         144
        .size:           8
        .value_kind:     hidden_global_offset_y
      - .offset:         152
        .size:           8
        .value_kind:     hidden_global_offset_z
      - .offset:         160
        .size:           2
        .value_kind:     hidden_grid_dims
    .group_segment_fixed_size: 3200
    .kernarg_segment_align: 8
    .kernarg_segment_size: 352
    .language:       OpenCL C
    .language_version:
      - 2
      - 0
    .max_flat_workgroup_size: 20
    .name:           _ZL38rocblas_trsm_small_left_device_sharedBILi20ELi20ELb0EffPKfPfEv13rocblas_fill_18rocblas_operation_17rocblas_diagonal_iiT3_T4_lilT5_lili
    .private_segment_fixed_size: 0
    .sgpr_count:     47
    .sgpr_spill_count: 0
    .symbol:         _ZL38rocblas_trsm_small_left_device_sharedBILi20ELi20ELb0EffPKfPfEv13rocblas_fill_18rocblas_operation_17rocblas_diagonal_iiT3_T4_lilT5_lili.kd
    .uniform_work_group_size: 1
    .uses_dynamic_stack: false
    .vgpr_count:     61
    .vgpr_spill_count: 0
    .wavefront_size: 64
  - .agpr_count:     0
    .args:
      - .offset:         0
        .size:           4
        .value_kind:     by_value
      - .offset:         4
        .size:           4
        .value_kind:     by_value
      - .offset:         8
        .size:           4
        .value_kind:     by_value
      - .offset:         12
        .size:           4
        .value_kind:     by_value
      - .offset:         16
        .size:           4
        .value_kind:     by_value
      - .offset:         20
        .size:           4
        .value_kind:     by_value
      - .address_space:  global
        .offset:         24
        .size:           8
        .value_kind:     global_buffer
      - .offset:         32
        .size:           8
        .value_kind:     by_value
      - .offset:         40
        .size:           4
        .value_kind:     by_value
      - .offset:         48
        .size:           8
        .value_kind:     by_value
      - .address_space:  global
        .offset:         56
        .size:           8
        .value_kind:     global_buffer
      - .offset:         64
        .size:           8
        .value_kind:     by_value
      - .offset:         72
        .size:           4
        .value_kind:     by_value
      - .offset:         80
        .size:           8
        .value_kind:     by_value
      - .offset:         88
        .size:           4
        .value_kind:     by_value
      - .offset:         96
        .size:           4
        .value_kind:     hidden_block_count_x
      - .offset:         100
        .size:           4
        .value_kind:     hidden_block_count_y
      - .offset:         104
        .size:           4
        .value_kind:     hidden_block_count_z
      - .offset:         108
        .size:           2
        .value_kind:     hidden_group_size_x
      - .offset:         110
        .size:           2
        .value_kind:     hidden_group_size_y
      - .offset:         112
        .size:           2
        .value_kind:     hidden_group_size_z
      - .offset:         114
        .size:           2
        .value_kind:     hidden_remainder_x
      - .offset:         116
        .size:           2
        .value_kind:     hidden_remainder_y
      - .offset:         118
        .size:           2
        .value_kind:     hidden_remainder_z
      - .offset:         136
        .size:           8
        .value_kind:     hidden_global_offset_x
      - .offset:         144
        .size:           8
        .value_kind:     hidden_global_offset_y
      - .offset:         152
        .size:           8
        .value_kind:     hidden_global_offset_z
      - .offset:         160
        .size:           2
        .value_kind:     hidden_grid_dims
    .group_segment_fixed_size: 1600
    .kernarg_segment_align: 8
    .kernarg_segment_size: 352
    .language:       OpenCL C
    .language_version:
      - 2
      - 0
    .max_flat_workgroup_size: 20
    .name:           _ZL30rocblas_trsm_small_left_deviceILi20ELi20ELb0EffPKfPfEv13rocblas_fill_18rocblas_operation_17rocblas_diagonal_iiT3_T4_lilT5_lili
    .private_segment_fixed_size: 0
    .sgpr_count:     47
    .sgpr_spill_count: 0
    .symbol:         _ZL30rocblas_trsm_small_left_deviceILi20ELi20ELb0EffPKfPfEv13rocblas_fill_18rocblas_operation_17rocblas_diagonal_iiT3_T4_lilT5_lili.kd
    .uniform_work_group_size: 1
    .uses_dynamic_stack: false
    .vgpr_count:     66
    .vgpr_spill_count: 0
    .wavefront_size: 64
  - .agpr_count:     0
    .args:
      - .offset:         0
        .size:           4
        .value_kind:     by_value
      - .offset:         4
        .size:           4
        .value_kind:     by_value
      - .offset:         8
        .size:           4
        .value_kind:     by_value
      - .offset:         12
        .size:           4
        .value_kind:     by_value
      - .offset:         16
        .size:           4
        .value_kind:     by_value
      - .offset:         20
        .size:           4
        .value_kind:     by_value
      - .address_space:  global
        .offset:         24
        .size:           8
        .value_kind:     global_buffer
      - .offset:         32
        .size:           8
        .value_kind:     by_value
      - .offset:         40
        .size:           4
        .value_kind:     by_value
      - .offset:         48
        .size:           8
        .value_kind:     by_value
      - .address_space:  global
        .offset:         56
        .size:           8
        .value_kind:     global_buffer
      - .offset:         64
        .size:           8
        .value_kind:     by_value
      - .offset:         72
        .size:           4
        .value_kind:     by_value
      - .offset:         80
        .size:           8
        .value_kind:     by_value
      - .offset:         88
        .size:           4
        .value_kind:     by_value
      - .offset:         96
        .size:           4
        .value_kind:     hidden_block_count_x
      - .offset:         100
        .size:           4
        .value_kind:     hidden_block_count_y
      - .offset:         104
        .size:           4
        .value_kind:     hidden_block_count_z
      - .offset:         108
        .size:           2
        .value_kind:     hidden_group_size_x
      - .offset:         110
        .size:           2
        .value_kind:     hidden_group_size_y
      - .offset:         112
        .size:           2
        .value_kind:     hidden_group_size_z
      - .offset:         114
        .size:           2
        .value_kind:     hidden_remainder_x
      - .offset:         116
        .size:           2
        .value_kind:     hidden_remainder_y
      - .offset:         118
        .size:           2
        .value_kind:     hidden_remainder_z
      - .offset:         136
        .size:           8
        .value_kind:     hidden_global_offset_x
      - .offset:         144
        .size:           8
        .value_kind:     hidden_global_offset_y
      - .offset:         152
        .size:           8
        .value_kind:     hidden_global_offset_z
      - .offset:         160
        .size:           2
        .value_kind:     hidden_grid_dims
    .group_segment_fixed_size: 3200
    .kernarg_segment_align: 8
    .kernarg_segment_size: 352
    .language:       OpenCL C
    .language_version:
      - 2
      - 0
    .max_flat_workgroup_size: 20
    .name:           _ZL38rocblas_trsm_small_left_device_sharedBILi20ELi20ELb1EffPKfPfEv13rocblas_fill_18rocblas_operation_17rocblas_diagonal_iiT3_T4_lilT5_lili
    .private_segment_fixed_size: 0
    .sgpr_count:     47
    .sgpr_spill_count: 0
    .symbol:         _ZL38rocblas_trsm_small_left_device_sharedBILi20ELi20ELb1EffPKfPfEv13rocblas_fill_18rocblas_operation_17rocblas_diagonal_iiT3_T4_lilT5_lili.kd
    .uniform_work_group_size: 1
    .uses_dynamic_stack: false
    .vgpr_count:     84
    .vgpr_spill_count: 0
    .wavefront_size: 64
  - .agpr_count:     0
    .args:
      - .offset:         0
        .size:           4
        .value_kind:     by_value
      - .offset:         4
        .size:           4
        .value_kind:     by_value
      - .offset:         8
        .size:           4
        .value_kind:     by_value
      - .offset:         12
        .size:           4
        .value_kind:     by_value
      - .offset:         16
        .size:           4
        .value_kind:     by_value
      - .offset:         20
        .size:           4
        .value_kind:     by_value
      - .address_space:  global
        .offset:         24
        .size:           8
        .value_kind:     global_buffer
      - .offset:         32
        .size:           8
        .value_kind:     by_value
      - .offset:         40
        .size:           4
        .value_kind:     by_value
      - .offset:         48
        .size:           8
        .value_kind:     by_value
      - .address_space:  global
        .offset:         56
        .size:           8
        .value_kind:     global_buffer
      - .offset:         64
        .size:           8
        .value_kind:     by_value
      - .offset:         72
        .size:           4
        .value_kind:     by_value
      - .offset:         80
        .size:           8
        .value_kind:     by_value
      - .offset:         88
        .size:           4
        .value_kind:     by_value
      - .offset:         96
        .size:           4
        .value_kind:     hidden_block_count_x
      - .offset:         100
        .size:           4
        .value_kind:     hidden_block_count_y
      - .offset:         104
        .size:           4
        .value_kind:     hidden_block_count_z
      - .offset:         108
        .size:           2
        .value_kind:     hidden_group_size_x
      - .offset:         110
        .size:           2
        .value_kind:     hidden_group_size_y
      - .offset:         112
        .size:           2
        .value_kind:     hidden_group_size_z
      - .offset:         114
        .size:           2
        .value_kind:     hidden_remainder_x
      - .offset:         116
        .size:           2
        .value_kind:     hidden_remainder_y
      - .offset:         118
        .size:           2
        .value_kind:     hidden_remainder_z
      - .offset:         136
        .size:           8
        .value_kind:     hidden_global_offset_x
      - .offset:         144
        .size:           8
        .value_kind:     hidden_global_offset_y
      - .offset:         152
        .size:           8
        .value_kind:     hidden_global_offset_z
      - .offset:         160
        .size:           2
        .value_kind:     hidden_grid_dims
    .group_segment_fixed_size: 1600
    .kernarg_segment_align: 8
    .kernarg_segment_size: 352
    .language:       OpenCL C
    .language_version:
      - 2
      - 0
    .max_flat_workgroup_size: 20
    .name:           _ZL30rocblas_trsm_small_left_deviceILi20ELi20ELb1EffPKfPfEv13rocblas_fill_18rocblas_operation_17rocblas_diagonal_iiT3_T4_lilT5_lili
    .private_segment_fixed_size: 0
    .sgpr_count:     47
    .sgpr_spill_count: 0
    .symbol:         _ZL30rocblas_trsm_small_left_deviceILi20ELi20ELb1EffPKfPfEv13rocblas_fill_18rocblas_operation_17rocblas_diagonal_iiT3_T4_lilT5_lili.kd
    .uniform_work_group_size: 1
    .uses_dynamic_stack: false
    .vgpr_count:     77
    .vgpr_spill_count: 0
    .wavefront_size: 64
  - .agpr_count:     0
    .args:
      - .offset:         0
        .size:           4
        .value_kind:     by_value
      - .offset:         4
        .size:           4
        .value_kind:     by_value
      - .offset:         8
        .size:           4
        .value_kind:     by_value
      - .offset:         12
        .size:           4
        .value_kind:     by_value
      - .offset:         16
        .size:           4
        .value_kind:     by_value
      - .offset:         20
        .size:           4
        .value_kind:     by_value
      - .address_space:  global
        .offset:         24
        .size:           8
        .value_kind:     global_buffer
      - .offset:         32
        .size:           8
        .value_kind:     by_value
      - .offset:         40
        .size:           4
        .value_kind:     by_value
      - .offset:         48
        .size:           8
        .value_kind:     by_value
      - .address_space:  global
        .offset:         56
        .size:           8
        .value_kind:     global_buffer
      - .offset:         64
        .size:           8
        .value_kind:     by_value
      - .offset:         72
        .size:           4
        .value_kind:     by_value
      - .offset:         80
        .size:           8
        .value_kind:     by_value
      - .offset:         88
        .size:           4
        .value_kind:     by_value
      - .offset:         96
        .size:           4
        .value_kind:     hidden_block_count_x
      - .offset:         100
        .size:           4
        .value_kind:     hidden_block_count_y
      - .offset:         104
        .size:           4
        .value_kind:     hidden_block_count_z
      - .offset:         108
        .size:           2
        .value_kind:     hidden_group_size_x
      - .offset:         110
        .size:           2
        .value_kind:     hidden_group_size_y
      - .offset:         112
        .size:           2
        .value_kind:     hidden_group_size_z
      - .offset:         114
        .size:           2
        .value_kind:     hidden_remainder_x
      - .offset:         116
        .size:           2
        .value_kind:     hidden_remainder_y
      - .offset:         118
        .size:           2
        .value_kind:     hidden_remainder_z
      - .offset:         136
        .size:           8
        .value_kind:     hidden_global_offset_x
      - .offset:         144
        .size:           8
        .value_kind:     hidden_global_offset_y
      - .offset:         152
        .size:           8
        .value_kind:     hidden_global_offset_z
      - .offset:         160
        .size:           2
        .value_kind:     hidden_grid_dims
    .group_segment_fixed_size: 3200
    .kernarg_segment_align: 8
    .kernarg_segment_size: 352
    .language:       OpenCL C
    .language_version:
      - 2
      - 0
    .max_flat_workgroup_size: 20
    .name:           _ZL31rocblas_trsm_small_right_deviceIffPKfPfLi20EEv13rocblas_fill_18rocblas_operation_17rocblas_diagonal_iiT0_T1_lilT2_lili
    .private_segment_fixed_size: 0
    .sgpr_count:     48
    .sgpr_spill_count: 0
    .symbol:         _ZL31rocblas_trsm_small_right_deviceIffPKfPfLi20EEv13rocblas_fill_18rocblas_operation_17rocblas_diagonal_iiT0_T1_lilT2_lili.kd
    .uniform_work_group_size: 1
    .uses_dynamic_stack: false
    .vgpr_count:     60
    .vgpr_spill_count: 0
    .wavefront_size: 64
  - .agpr_count:     0
    .args:
      - .offset:         0
        .size:           4
        .value_kind:     by_value
      - .offset:         4
        .size:           4
        .value_kind:     by_value
      - .offset:         8
        .size:           4
        .value_kind:     by_value
      - .offset:         12
        .size:           4
        .value_kind:     by_value
      - .offset:         16
        .size:           4
        .value_kind:     by_value
      - .offset:         20
        .size:           4
        .value_kind:     by_value
      - .address_space:  global
        .offset:         24
        .size:           8
        .value_kind:     global_buffer
      - .offset:         32
        .size:           8
        .value_kind:     by_value
      - .offset:         40
        .size:           4
        .value_kind:     by_value
      - .offset:         48
        .size:           8
        .value_kind:     by_value
      - .address_space:  global
        .offset:         56
        .size:           8
        .value_kind:     global_buffer
      - .offset:         64
        .size:           8
        .value_kind:     by_value
      - .offset:         72
        .size:           4
        .value_kind:     by_value
      - .offset:         80
        .size:           8
        .value_kind:     by_value
      - .offset:         88
        .size:           4
        .value_kind:     by_value
      - .offset:         96
        .size:           4
        .value_kind:     hidden_block_count_x
      - .offset:         100
        .size:           4
        .value_kind:     hidden_block_count_y
      - .offset:         104
        .size:           4
        .value_kind:     hidden_block_count_z
      - .offset:         108
        .size:           2
        .value_kind:     hidden_group_size_x
      - .offset:         110
        .size:           2
        .value_kind:     hidden_group_size_y
      - .offset:         112
        .size:           2
        .value_kind:     hidden_group_size_z
      - .offset:         114
        .size:           2
        .value_kind:     hidden_remainder_x
      - .offset:         116
        .size:           2
        .value_kind:     hidden_remainder_y
      - .offset:         118
        .size:           2
        .value_kind:     hidden_remainder_z
      - .offset:         136
        .size:           8
        .value_kind:     hidden_global_offset_x
      - .offset:         144
        .size:           8
        .value_kind:     hidden_global_offset_y
      - .offset:         152
        .size:           8
        .value_kind:     hidden_global_offset_z
      - .offset:         160
        .size:           2
        .value_kind:     hidden_grid_dims
    .group_segment_fixed_size: 4608
    .kernarg_segment_align: 8
    .kernarg_segment_size: 352
    .language:       OpenCL C
    .language_version:
      - 2
      - 0
    .max_flat_workgroup_size: 24
    .name:           _ZL38rocblas_trsm_small_left_device_sharedBILi24ELi24ELb0EffPKfPfEv13rocblas_fill_18rocblas_operation_17rocblas_diagonal_iiT3_T4_lilT5_lili
    .private_segment_fixed_size: 0
    .sgpr_count:     47
    .sgpr_spill_count: 0
    .symbol:         _ZL38rocblas_trsm_small_left_device_sharedBILi24ELi24ELb0EffPKfPfEv13rocblas_fill_18rocblas_operation_17rocblas_diagonal_iiT3_T4_lilT5_lili.kd
    .uniform_work_group_size: 1
    .uses_dynamic_stack: false
    .vgpr_count:     76
    .vgpr_spill_count: 0
    .wavefront_size: 64
  - .agpr_count:     0
    .args:
      - .offset:         0
        .size:           4
        .value_kind:     by_value
      - .offset:         4
        .size:           4
        .value_kind:     by_value
      - .offset:         8
        .size:           4
        .value_kind:     by_value
      - .offset:         12
        .size:           4
        .value_kind:     by_value
      - .offset:         16
        .size:           4
        .value_kind:     by_value
      - .offset:         20
        .size:           4
        .value_kind:     by_value
      - .address_space:  global
        .offset:         24
        .size:           8
        .value_kind:     global_buffer
      - .offset:         32
        .size:           8
        .value_kind:     by_value
      - .offset:         40
        .size:           4
        .value_kind:     by_value
      - .offset:         48
        .size:           8
        .value_kind:     by_value
      - .address_space:  global
        .offset:         56
        .size:           8
        .value_kind:     global_buffer
      - .offset:         64
        .size:           8
        .value_kind:     by_value
      - .offset:         72
        .size:           4
        .value_kind:     by_value
      - .offset:         80
        .size:           8
        .value_kind:     by_value
      - .offset:         88
        .size:           4
        .value_kind:     by_value
      - .offset:         96
        .size:           4
        .value_kind:     hidden_block_count_x
      - .offset:         100
        .size:           4
        .value_kind:     hidden_block_count_y
      - .offset:         104
        .size:           4
        .value_kind:     hidden_block_count_z
      - .offset:         108
        .size:           2
        .value_kind:     hidden_group_size_x
      - .offset:         110
        .size:           2
        .value_kind:     hidden_group_size_y
      - .offset:         112
        .size:           2
        .value_kind:     hidden_group_size_z
      - .offset:         114
        .size:           2
        .value_kind:     hidden_remainder_x
      - .offset:         116
        .size:           2
        .value_kind:     hidden_remainder_y
      - .offset:         118
        .size:           2
        .value_kind:     hidden_remainder_z
      - .offset:         136
        .size:           8
        .value_kind:     hidden_global_offset_x
      - .offset:         144
        .size:           8
        .value_kind:     hidden_global_offset_y
      - .offset:         152
        .size:           8
        .value_kind:     hidden_global_offset_z
      - .offset:         160
        .size:           2
        .value_kind:     hidden_grid_dims
    .group_segment_fixed_size: 2304
    .kernarg_segment_align: 8
    .kernarg_segment_size: 352
    .language:       OpenCL C
    .language_version:
      - 2
      - 0
    .max_flat_workgroup_size: 24
    .name:           _ZL30rocblas_trsm_small_left_deviceILi24ELi24ELb0EffPKfPfEv13rocblas_fill_18rocblas_operation_17rocblas_diagonal_iiT3_T4_lilT5_lili
    .private_segment_fixed_size: 0
    .sgpr_count:     47
    .sgpr_spill_count: 0
    .symbol:         _ZL30rocblas_trsm_small_left_deviceILi24ELi24ELb0EffPKfPfEv13rocblas_fill_18rocblas_operation_17rocblas_diagonal_iiT3_T4_lilT5_lili.kd
    .uniform_work_group_size: 1
    .uses_dynamic_stack: false
    .vgpr_count:     68
    .vgpr_spill_count: 0
    .wavefront_size: 64
  - .agpr_count:     0
    .args:
      - .offset:         0
        .size:           4
        .value_kind:     by_value
      - .offset:         4
        .size:           4
        .value_kind:     by_value
      - .offset:         8
        .size:           4
        .value_kind:     by_value
      - .offset:         12
        .size:           4
        .value_kind:     by_value
      - .offset:         16
        .size:           4
        .value_kind:     by_value
      - .offset:         20
        .size:           4
        .value_kind:     by_value
      - .address_space:  global
        .offset:         24
        .size:           8
        .value_kind:     global_buffer
      - .offset:         32
        .size:           8
        .value_kind:     by_value
      - .offset:         40
        .size:           4
        .value_kind:     by_value
      - .offset:         48
        .size:           8
        .value_kind:     by_value
      - .address_space:  global
        .offset:         56
        .size:           8
        .value_kind:     global_buffer
      - .offset:         64
        .size:           8
        .value_kind:     by_value
      - .offset:         72
        .size:           4
        .value_kind:     by_value
      - .offset:         80
        .size:           8
        .value_kind:     by_value
      - .offset:         88
        .size:           4
        .value_kind:     by_value
      - .offset:         96
        .size:           4
        .value_kind:     hidden_block_count_x
      - .offset:         100
        .size:           4
        .value_kind:     hidden_block_count_y
      - .offset:         104
        .size:           4
        .value_kind:     hidden_block_count_z
      - .offset:         108
        .size:           2
        .value_kind:     hidden_group_size_x
      - .offset:         110
        .size:           2
        .value_kind:     hidden_group_size_y
      - .offset:         112
        .size:           2
        .value_kind:     hidden_group_size_z
      - .offset:         114
        .size:           2
        .value_kind:     hidden_remainder_x
      - .offset:         116
        .size:           2
        .value_kind:     hidden_remainder_y
      - .offset:         118
        .size:           2
        .value_kind:     hidden_remainder_z
      - .offset:         136
        .size:           8
        .value_kind:     hidden_global_offset_x
      - .offset:         144
        .size:           8
        .value_kind:     hidden_global_offset_y
      - .offset:         152
        .size:           8
        .value_kind:     hidden_global_offset_z
      - .offset:         160
        .size:           2
        .value_kind:     hidden_grid_dims
    .group_segment_fixed_size: 4608
    .kernarg_segment_align: 8
    .kernarg_segment_size: 352
    .language:       OpenCL C
    .language_version:
      - 2
      - 0
    .max_flat_workgroup_size: 24
    .name:           _ZL38rocblas_trsm_small_left_device_sharedBILi24ELi24ELb1EffPKfPfEv13rocblas_fill_18rocblas_operation_17rocblas_diagonal_iiT3_T4_lilT5_lili
    .private_segment_fixed_size: 0
    .sgpr_count:     47
    .sgpr_spill_count: 0
    .symbol:         _ZL38rocblas_trsm_small_left_device_sharedBILi24ELi24ELb1EffPKfPfEv13rocblas_fill_18rocblas_operation_17rocblas_diagonal_iiT3_T4_lilT5_lili.kd
    .uniform_work_group_size: 1
    .uses_dynamic_stack: false
    .vgpr_count:     116
    .vgpr_spill_count: 0
    .wavefront_size: 64
  - .agpr_count:     0
    .args:
      - .offset:         0
        .size:           4
        .value_kind:     by_value
      - .offset:         4
        .size:           4
        .value_kind:     by_value
      - .offset:         8
        .size:           4
        .value_kind:     by_value
      - .offset:         12
        .size:           4
        .value_kind:     by_value
      - .offset:         16
        .size:           4
        .value_kind:     by_value
      - .offset:         20
        .size:           4
        .value_kind:     by_value
      - .address_space:  global
        .offset:         24
        .size:           8
        .value_kind:     global_buffer
      - .offset:         32
        .size:           8
        .value_kind:     by_value
      - .offset:         40
        .size:           4
        .value_kind:     by_value
      - .offset:         48
        .size:           8
        .value_kind:     by_value
      - .address_space:  global
        .offset:         56
        .size:           8
        .value_kind:     global_buffer
      - .offset:         64
        .size:           8
        .value_kind:     by_value
      - .offset:         72
        .size:           4
        .value_kind:     by_value
      - .offset:         80
        .size:           8
        .value_kind:     by_value
      - .offset:         88
        .size:           4
        .value_kind:     by_value
      - .offset:         96
        .size:           4
        .value_kind:     hidden_block_count_x
      - .offset:         100
        .size:           4
        .value_kind:     hidden_block_count_y
      - .offset:         104
        .size:           4
        .value_kind:     hidden_block_count_z
      - .offset:         108
        .size:           2
        .value_kind:     hidden_group_size_x
      - .offset:         110
        .size:           2
        .value_kind:     hidden_group_size_y
      - .offset:         112
        .size:           2
        .value_kind:     hidden_group_size_z
      - .offset:         114
        .size:           2
        .value_kind:     hidden_remainder_x
      - .offset:         116
        .size:           2
        .value_kind:     hidden_remainder_y
      - .offset:         118
        .size:           2
        .value_kind:     hidden_remainder_z
      - .offset:         136
        .size:           8
        .value_kind:     hidden_global_offset_x
      - .offset:         144
        .size:           8
        .value_kind:     hidden_global_offset_y
      - .offset:         152
        .size:           8
        .value_kind:     hidden_global_offset_z
      - .offset:         160
        .size:           2
        .value_kind:     hidden_grid_dims
    .group_segment_fixed_size: 2304
    .kernarg_segment_align: 8
    .kernarg_segment_size: 352
    .language:       OpenCL C
    .language_version:
      - 2
      - 0
    .max_flat_workgroup_size: 24
    .name:           _ZL30rocblas_trsm_small_left_deviceILi24ELi24ELb1EffPKfPfEv13rocblas_fill_18rocblas_operation_17rocblas_diagonal_iiT3_T4_lilT5_lili
    .private_segment_fixed_size: 0
    .sgpr_count:     47
    .sgpr_spill_count: 0
    .symbol:         _ZL30rocblas_trsm_small_left_deviceILi24ELi24ELb1EffPKfPfEv13rocblas_fill_18rocblas_operation_17rocblas_diagonal_iiT3_T4_lilT5_lili.kd
    .uniform_work_group_size: 1
    .uses_dynamic_stack: false
    .vgpr_count:     102
    .vgpr_spill_count: 0
    .wavefront_size: 64
  - .agpr_count:     0
    .args:
      - .offset:         0
        .size:           4
        .value_kind:     by_value
      - .offset:         4
        .size:           4
        .value_kind:     by_value
      - .offset:         8
        .size:           4
        .value_kind:     by_value
      - .offset:         12
        .size:           4
        .value_kind:     by_value
      - .offset:         16
        .size:           4
        .value_kind:     by_value
      - .offset:         20
        .size:           4
        .value_kind:     by_value
      - .address_space:  global
        .offset:         24
        .size:           8
        .value_kind:     global_buffer
      - .offset:         32
        .size:           8
        .value_kind:     by_value
      - .offset:         40
        .size:           4
        .value_kind:     by_value
      - .offset:         48
        .size:           8
        .value_kind:     by_value
      - .address_space:  global
        .offset:         56
        .size:           8
        .value_kind:     global_buffer
      - .offset:         64
        .size:           8
        .value_kind:     by_value
      - .offset:         72
        .size:           4
        .value_kind:     by_value
      - .offset:         80
        .size:           8
        .value_kind:     by_value
      - .offset:         88
        .size:           4
        .value_kind:     by_value
      - .offset:         96
        .size:           4
        .value_kind:     hidden_block_count_x
      - .offset:         100
        .size:           4
        .value_kind:     hidden_block_count_y
      - .offset:         104
        .size:           4
        .value_kind:     hidden_block_count_z
      - .offset:         108
        .size:           2
        .value_kind:     hidden_group_size_x
      - .offset:         110
        .size:           2
        .value_kind:     hidden_group_size_y
      - .offset:         112
        .size:           2
        .value_kind:     hidden_group_size_z
      - .offset:         114
        .size:           2
        .value_kind:     hidden_remainder_x
      - .offset:         116
        .size:           2
        .value_kind:     hidden_remainder_y
      - .offset:         118
        .size:           2
        .value_kind:     hidden_remainder_z
      - .offset:         136
        .size:           8
        .value_kind:     hidden_global_offset_x
      - .offset:         144
        .size:           8
        .value_kind:     hidden_global_offset_y
      - .offset:         152
        .size:           8
        .value_kind:     hidden_global_offset_z
      - .offset:         160
        .size:           2
        .value_kind:     hidden_grid_dims
    .group_segment_fixed_size: 4608
    .kernarg_segment_align: 8
    .kernarg_segment_size: 352
    .language:       OpenCL C
    .language_version:
      - 2
      - 0
    .max_flat_workgroup_size: 24
    .name:           _ZL31rocblas_trsm_small_right_deviceIffPKfPfLi24EEv13rocblas_fill_18rocblas_operation_17rocblas_diagonal_iiT0_T1_lilT2_lili
    .private_segment_fixed_size: 0
    .sgpr_count:     48
    .sgpr_spill_count: 0
    .symbol:         _ZL31rocblas_trsm_small_right_deviceIffPKfPfLi24EEv13rocblas_fill_18rocblas_operation_17rocblas_diagonal_iiT0_T1_lilT2_lili.kd
    .uniform_work_group_size: 1
    .uses_dynamic_stack: false
    .vgpr_count:     60
    .vgpr_spill_count: 0
    .wavefront_size: 64
  - .agpr_count:     0
    .args:
      - .offset:         0
        .size:           4
        .value_kind:     by_value
      - .offset:         4
        .size:           4
        .value_kind:     by_value
      - .offset:         8
        .size:           4
        .value_kind:     by_value
      - .offset:         12
        .size:           4
        .value_kind:     by_value
      - .offset:         16
        .size:           4
        .value_kind:     by_value
      - .offset:         20
        .size:           4
        .value_kind:     by_value
      - .address_space:  global
        .offset:         24
        .size:           8
        .value_kind:     global_buffer
      - .offset:         32
        .size:           8
        .value_kind:     by_value
      - .offset:         40
        .size:           4
        .value_kind:     by_value
      - .offset:         48
        .size:           8
        .value_kind:     by_value
      - .address_space:  global
        .offset:         56
        .size:           8
        .value_kind:     global_buffer
      - .offset:         64
        .size:           8
        .value_kind:     by_value
      - .offset:         72
        .size:           4
        .value_kind:     by_value
      - .offset:         80
        .size:           8
        .value_kind:     by_value
      - .offset:         88
        .size:           4
        .value_kind:     by_value
      - .offset:         96
        .size:           4
        .value_kind:     hidden_block_count_x
      - .offset:         100
        .size:           4
        .value_kind:     hidden_block_count_y
      - .offset:         104
        .size:           4
        .value_kind:     hidden_block_count_z
      - .offset:         108
        .size:           2
        .value_kind:     hidden_group_size_x
      - .offset:         110
        .size:           2
        .value_kind:     hidden_group_size_y
      - .offset:         112
        .size:           2
        .value_kind:     hidden_group_size_z
      - .offset:         114
        .size:           2
        .value_kind:     hidden_remainder_x
      - .offset:         116
        .size:           2
        .value_kind:     hidden_remainder_y
      - .offset:         118
        .size:           2
        .value_kind:     hidden_remainder_z
      - .offset:         136
        .size:           8
        .value_kind:     hidden_global_offset_x
      - .offset:         144
        .size:           8
        .value_kind:     hidden_global_offset_y
      - .offset:         152
        .size:           8
        .value_kind:     hidden_global_offset_z
      - .offset:         160
        .size:           2
        .value_kind:     hidden_grid_dims
    .group_segment_fixed_size: 6272
    .kernarg_segment_align: 8
    .kernarg_segment_size: 352
    .language:       OpenCL C
    .language_version:
      - 2
      - 0
    .max_flat_workgroup_size: 28
    .name:           _ZL38rocblas_trsm_small_left_device_sharedBILi28ELi28ELb0EffPKfPfEv13rocblas_fill_18rocblas_operation_17rocblas_diagonal_iiT3_T4_lilT5_lili
    .private_segment_fixed_size: 0
    .sgpr_count:     51
    .sgpr_spill_count: 0
    .symbol:         _ZL38rocblas_trsm_small_left_device_sharedBILi28ELi28ELb0EffPKfPfEv13rocblas_fill_18rocblas_operation_17rocblas_diagonal_iiT3_T4_lilT5_lili.kd
    .uniform_work_group_size: 1
    .uses_dynamic_stack: false
    .vgpr_count:     90
    .vgpr_spill_count: 0
    .wavefront_size: 64
  - .agpr_count:     0
    .args:
      - .offset:         0
        .size:           4
        .value_kind:     by_value
      - .offset:         4
        .size:           4
        .value_kind:     by_value
      - .offset:         8
        .size:           4
        .value_kind:     by_value
      - .offset:         12
        .size:           4
        .value_kind:     by_value
      - .offset:         16
        .size:           4
        .value_kind:     by_value
      - .offset:         20
        .size:           4
        .value_kind:     by_value
      - .address_space:  global
        .offset:         24
        .size:           8
        .value_kind:     global_buffer
      - .offset:         32
        .size:           8
        .value_kind:     by_value
      - .offset:         40
        .size:           4
        .value_kind:     by_value
      - .offset:         48
        .size:           8
        .value_kind:     by_value
      - .address_space:  global
        .offset:         56
        .size:           8
        .value_kind:     global_buffer
      - .offset:         64
        .size:           8
        .value_kind:     by_value
      - .offset:         72
        .size:           4
        .value_kind:     by_value
      - .offset:         80
        .size:           8
        .value_kind:     by_value
      - .offset:         88
        .size:           4
        .value_kind:     by_value
      - .offset:         96
        .size:           4
        .value_kind:     hidden_block_count_x
      - .offset:         100
        .size:           4
        .value_kind:     hidden_block_count_y
      - .offset:         104
        .size:           4
        .value_kind:     hidden_block_count_z
      - .offset:         108
        .size:           2
        .value_kind:     hidden_group_size_x
      - .offset:         110
        .size:           2
        .value_kind:     hidden_group_size_y
      - .offset:         112
        .size:           2
        .value_kind:     hidden_group_size_z
      - .offset:         114
        .size:           2
        .value_kind:     hidden_remainder_x
      - .offset:         116
        .size:           2
        .value_kind:     hidden_remainder_y
      - .offset:         118
        .size:           2
        .value_kind:     hidden_remainder_z
      - .offset:         136
        .size:           8
        .value_kind:     hidden_global_offset_x
      - .offset:         144
        .size:           8
        .value_kind:     hidden_global_offset_y
      - .offset:         152
        .size:           8
        .value_kind:     hidden_global_offset_z
      - .offset:         160
        .size:           2
        .value_kind:     hidden_grid_dims
    .group_segment_fixed_size: 3136
    .kernarg_segment_align: 8
    .kernarg_segment_size: 352
    .language:       OpenCL C
    .language_version:
      - 2
      - 0
    .max_flat_workgroup_size: 28
    .name:           _ZL30rocblas_trsm_small_left_deviceILi28ELi28ELb0EffPKfPfEv13rocblas_fill_18rocblas_operation_17rocblas_diagonal_iiT3_T4_lilT5_lili
    .private_segment_fixed_size: 0
    .sgpr_count:     47
    .sgpr_spill_count: 0
    .symbol:         _ZL30rocblas_trsm_small_left_deviceILi28ELi28ELb0EffPKfPfEv13rocblas_fill_18rocblas_operation_17rocblas_diagonal_iiT3_T4_lilT5_lili.kd
    .uniform_work_group_size: 1
    .uses_dynamic_stack: false
    .vgpr_count:     86
    .vgpr_spill_count: 0
    .wavefront_size: 64
  - .agpr_count:     0
    .args:
      - .offset:         0
        .size:           4
        .value_kind:     by_value
      - .offset:         4
        .size:           4
        .value_kind:     by_value
      - .offset:         8
        .size:           4
        .value_kind:     by_value
      - .offset:         12
        .size:           4
        .value_kind:     by_value
      - .offset:         16
        .size:           4
        .value_kind:     by_value
      - .offset:         20
        .size:           4
        .value_kind:     by_value
      - .address_space:  global
        .offset:         24
        .size:           8
        .value_kind:     global_buffer
      - .offset:         32
        .size:           8
        .value_kind:     by_value
      - .offset:         40
        .size:           4
        .value_kind:     by_value
      - .offset:         48
        .size:           8
        .value_kind:     by_value
      - .address_space:  global
        .offset:         56
        .size:           8
        .value_kind:     global_buffer
      - .offset:         64
        .size:           8
        .value_kind:     by_value
      - .offset:         72
        .size:           4
        .value_kind:     by_value
      - .offset:         80
        .size:           8
        .value_kind:     by_value
      - .offset:         88
        .size:           4
        .value_kind:     by_value
      - .offset:         96
        .size:           4
        .value_kind:     hidden_block_count_x
      - .offset:         100
        .size:           4
        .value_kind:     hidden_block_count_y
      - .offset:         104
        .size:           4
        .value_kind:     hidden_block_count_z
      - .offset:         108
        .size:           2
        .value_kind:     hidden_group_size_x
      - .offset:         110
        .size:           2
        .value_kind:     hidden_group_size_y
      - .offset:         112
        .size:           2
        .value_kind:     hidden_group_size_z
      - .offset:         114
        .size:           2
        .value_kind:     hidden_remainder_x
      - .offset:         116
        .size:           2
        .value_kind:     hidden_remainder_y
      - .offset:         118
        .size:           2
        .value_kind:     hidden_remainder_z
      - .offset:         136
        .size:           8
        .value_kind:     hidden_global_offset_x
      - .offset:         144
        .size:           8
        .value_kind:     hidden_global_offset_y
      - .offset:         152
        .size:           8
        .value_kind:     hidden_global_offset_z
      - .offset:         160
        .size:           2
        .value_kind:     hidden_grid_dims
    .group_segment_fixed_size: 6272
    .kernarg_segment_align: 8
    .kernarg_segment_size: 352
    .language:       OpenCL C
    .language_version:
      - 2
      - 0
    .max_flat_workgroup_size: 28
    .name:           _ZL38rocblas_trsm_small_left_device_sharedBILi28ELi28ELb1EffPKfPfEv13rocblas_fill_18rocblas_operation_17rocblas_diagonal_iiT3_T4_lilT5_lili
    .private_segment_fixed_size: 0
    .sgpr_count:     50
    .sgpr_spill_count: 0
    .symbol:         _ZL38rocblas_trsm_small_left_device_sharedBILi28ELi28ELb1EffPKfPfEv13rocblas_fill_18rocblas_operation_17rocblas_diagonal_iiT3_T4_lilT5_lili.kd
    .uniform_work_group_size: 1
    .uses_dynamic_stack: false
    .vgpr_count:     132
    .vgpr_spill_count: 0
    .wavefront_size: 64
  - .agpr_count:     0
    .args:
      - .offset:         0
        .size:           4
        .value_kind:     by_value
      - .offset:         4
        .size:           4
        .value_kind:     by_value
      - .offset:         8
        .size:           4
        .value_kind:     by_value
      - .offset:         12
        .size:           4
        .value_kind:     by_value
      - .offset:         16
        .size:           4
        .value_kind:     by_value
      - .offset:         20
        .size:           4
        .value_kind:     by_value
      - .address_space:  global
        .offset:         24
        .size:           8
        .value_kind:     global_buffer
      - .offset:         32
        .size:           8
        .value_kind:     by_value
      - .offset:         40
        .size:           4
        .value_kind:     by_value
      - .offset:         48
        .size:           8
        .value_kind:     by_value
      - .address_space:  global
        .offset:         56
        .size:           8
        .value_kind:     global_buffer
      - .offset:         64
        .size:           8
        .value_kind:     by_value
      - .offset:         72
        .size:           4
        .value_kind:     by_value
      - .offset:         80
        .size:           8
        .value_kind:     by_value
      - .offset:         88
        .size:           4
        .value_kind:     by_value
      - .offset:         96
        .size:           4
        .value_kind:     hidden_block_count_x
      - .offset:         100
        .size:           4
        .value_kind:     hidden_block_count_y
      - .offset:         104
        .size:           4
        .value_kind:     hidden_block_count_z
      - .offset:         108
        .size:           2
        .value_kind:     hidden_group_size_x
      - .offset:         110
        .size:           2
        .value_kind:     hidden_group_size_y
      - .offset:         112
        .size:           2
        .value_kind:     hidden_group_size_z
      - .offset:         114
        .size:           2
        .value_kind:     hidden_remainder_x
      - .offset:         116
        .size:           2
        .value_kind:     hidden_remainder_y
      - .offset:         118
        .size:           2
        .value_kind:     hidden_remainder_z
      - .offset:         136
        .size:           8
        .value_kind:     hidden_global_offset_x
      - .offset:         144
        .size:           8
        .value_kind:     hidden_global_offset_y
      - .offset:         152
        .size:           8
        .value_kind:     hidden_global_offset_z
      - .offset:         160
        .size:           2
        .value_kind:     hidden_grid_dims
    .group_segment_fixed_size: 3136
    .kernarg_segment_align: 8
    .kernarg_segment_size: 352
    .language:       OpenCL C
    .language_version:
      - 2
      - 0
    .max_flat_workgroup_size: 28
    .name:           _ZL30rocblas_trsm_small_left_deviceILi28ELi28ELb1EffPKfPfEv13rocblas_fill_18rocblas_operation_17rocblas_diagonal_iiT3_T4_lilT5_lili
    .private_segment_fixed_size: 0
    .sgpr_count:     47
    .sgpr_spill_count: 0
    .symbol:         _ZL30rocblas_trsm_small_left_deviceILi28ELi28ELb1EffPKfPfEv13rocblas_fill_18rocblas_operation_17rocblas_diagonal_iiT3_T4_lilT5_lili.kd
    .uniform_work_group_size: 1
    .uses_dynamic_stack: false
    .vgpr_count:     103
    .vgpr_spill_count: 0
    .wavefront_size: 64
  - .agpr_count:     0
    .args:
      - .offset:         0
        .size:           4
        .value_kind:     by_value
      - .offset:         4
        .size:           4
        .value_kind:     by_value
      - .offset:         8
        .size:           4
        .value_kind:     by_value
      - .offset:         12
        .size:           4
        .value_kind:     by_value
      - .offset:         16
        .size:           4
        .value_kind:     by_value
      - .offset:         20
        .size:           4
        .value_kind:     by_value
      - .address_space:  global
        .offset:         24
        .size:           8
        .value_kind:     global_buffer
      - .offset:         32
        .size:           8
        .value_kind:     by_value
      - .offset:         40
        .size:           4
        .value_kind:     by_value
      - .offset:         48
        .size:           8
        .value_kind:     by_value
      - .address_space:  global
        .offset:         56
        .size:           8
        .value_kind:     global_buffer
      - .offset:         64
        .size:           8
        .value_kind:     by_value
      - .offset:         72
        .size:           4
        .value_kind:     by_value
      - .offset:         80
        .size:           8
        .value_kind:     by_value
      - .offset:         88
        .size:           4
        .value_kind:     by_value
      - .offset:         96
        .size:           4
        .value_kind:     hidden_block_count_x
      - .offset:         100
        .size:           4
        .value_kind:     hidden_block_count_y
      - .offset:         104
        .size:           4
        .value_kind:     hidden_block_count_z
      - .offset:         108
        .size:           2
        .value_kind:     hidden_group_size_x
      - .offset:         110
        .size:           2
        .value_kind:     hidden_group_size_y
      - .offset:         112
        .size:           2
        .value_kind:     hidden_group_size_z
      - .offset:         114
        .size:           2
        .value_kind:     hidden_remainder_x
      - .offset:         116
        .size:           2
        .value_kind:     hidden_remainder_y
      - .offset:         118
        .size:           2
        .value_kind:     hidden_remainder_z
      - .offset:         136
        .size:           8
        .value_kind:     hidden_global_offset_x
      - .offset:         144
        .size:           8
        .value_kind:     hidden_global_offset_y
      - .offset:         152
        .size:           8
        .value_kind:     hidden_global_offset_z
      - .offset:         160
        .size:           2
        .value_kind:     hidden_grid_dims
    .group_segment_fixed_size: 6272
    .kernarg_segment_align: 8
    .kernarg_segment_size: 352
    .language:       OpenCL C
    .language_version:
      - 2
      - 0
    .max_flat_workgroup_size: 28
    .name:           _ZL31rocblas_trsm_small_right_deviceIffPKfPfLi28EEv13rocblas_fill_18rocblas_operation_17rocblas_diagonal_iiT0_T1_lilT2_lili
    .private_segment_fixed_size: 0
    .sgpr_count:     48
    .sgpr_spill_count: 0
    .symbol:         _ZL31rocblas_trsm_small_right_deviceIffPKfPfLi28EEv13rocblas_fill_18rocblas_operation_17rocblas_diagonal_iiT0_T1_lilT2_lili.kd
    .uniform_work_group_size: 1
    .uses_dynamic_stack: false
    .vgpr_count:     60
    .vgpr_spill_count: 0
    .wavefront_size: 64
  - .agpr_count:     0
    .args:
      - .offset:         0
        .size:           4
        .value_kind:     by_value
      - .offset:         4
        .size:           4
        .value_kind:     by_value
      - .offset:         8
        .size:           4
        .value_kind:     by_value
      - .offset:         12
        .size:           4
        .value_kind:     by_value
      - .offset:         16
        .size:           4
        .value_kind:     by_value
      - .offset:         20
        .size:           4
        .value_kind:     by_value
      - .address_space:  global
        .offset:         24
        .size:           8
        .value_kind:     global_buffer
      - .offset:         32
        .size:           8
        .value_kind:     by_value
      - .offset:         40
        .size:           4
        .value_kind:     by_value
      - .offset:         48
        .size:           8
        .value_kind:     by_value
      - .address_space:  global
        .offset:         56
        .size:           8
        .value_kind:     global_buffer
      - .offset:         64
        .size:           8
        .value_kind:     by_value
      - .offset:         72
        .size:           4
        .value_kind:     by_value
      - .offset:         80
        .size:           8
        .value_kind:     by_value
      - .offset:         88
        .size:           4
        .value_kind:     by_value
      - .offset:         96
        .size:           4
        .value_kind:     hidden_block_count_x
      - .offset:         100
        .size:           4
        .value_kind:     hidden_block_count_y
      - .offset:         104
        .size:           4
        .value_kind:     hidden_block_count_z
      - .offset:         108
        .size:           2
        .value_kind:     hidden_group_size_x
      - .offset:         110
        .size:           2
        .value_kind:     hidden_group_size_y
      - .offset:         112
        .size:           2
        .value_kind:     hidden_group_size_z
      - .offset:         114
        .size:           2
        .value_kind:     hidden_remainder_x
      - .offset:         116
        .size:           2
        .value_kind:     hidden_remainder_y
      - .offset:         118
        .size:           2
        .value_kind:     hidden_remainder_z
      - .offset:         136
        .size:           8
        .value_kind:     hidden_global_offset_x
      - .offset:         144
        .size:           8
        .value_kind:     hidden_global_offset_y
      - .offset:         152
        .size:           8
        .value_kind:     hidden_global_offset_z
      - .offset:         160
        .size:           2
        .value_kind:     hidden_grid_dims
    .group_segment_fixed_size: 8192
    .kernarg_segment_align: 8
    .kernarg_segment_size: 352
    .language:       OpenCL C
    .language_version:
      - 2
      - 0
    .max_flat_workgroup_size: 32
    .name:           _ZL38rocblas_trsm_small_left_device_sharedBILi32ELi32ELb0EffPKfPfEv13rocblas_fill_18rocblas_operation_17rocblas_diagonal_iiT3_T4_lilT5_lili
    .private_segment_fixed_size: 0
    .sgpr_count:     54
    .sgpr_spill_count: 0
    .symbol:         _ZL38rocblas_trsm_small_left_device_sharedBILi32ELi32ELb0EffPKfPfEv13rocblas_fill_18rocblas_operation_17rocblas_diagonal_iiT3_T4_lilT5_lili.kd
    .uniform_work_group_size: 1
    .uses_dynamic_stack: false
    .vgpr_count:     97
    .vgpr_spill_count: 0
    .wavefront_size: 64
  - .agpr_count:     0
    .args:
      - .offset:         0
        .size:           4
        .value_kind:     by_value
      - .offset:         4
        .size:           4
        .value_kind:     by_value
      - .offset:         8
        .size:           4
        .value_kind:     by_value
      - .offset:         12
        .size:           4
        .value_kind:     by_value
      - .offset:         16
        .size:           4
        .value_kind:     by_value
      - .offset:         20
        .size:           4
        .value_kind:     by_value
      - .address_space:  global
        .offset:         24
        .size:           8
        .value_kind:     global_buffer
      - .offset:         32
        .size:           8
        .value_kind:     by_value
      - .offset:         40
        .size:           4
        .value_kind:     by_value
      - .offset:         48
        .size:           8
        .value_kind:     by_value
      - .address_space:  global
        .offset:         56
        .size:           8
        .value_kind:     global_buffer
      - .offset:         64
        .size:           8
        .value_kind:     by_value
      - .offset:         72
        .size:           4
        .value_kind:     by_value
      - .offset:         80
        .size:           8
        .value_kind:     by_value
      - .offset:         88
        .size:           4
        .value_kind:     by_value
      - .offset:         96
        .size:           4
        .value_kind:     hidden_block_count_x
      - .offset:         100
        .size:           4
        .value_kind:     hidden_block_count_y
      - .offset:         104
        .size:           4
        .value_kind:     hidden_block_count_z
      - .offset:         108
        .size:           2
        .value_kind:     hidden_group_size_x
      - .offset:         110
        .size:           2
        .value_kind:     hidden_group_size_y
      - .offset:         112
        .size:           2
        .value_kind:     hidden_group_size_z
      - .offset:         114
        .size:           2
        .value_kind:     hidden_remainder_x
      - .offset:         116
        .size:           2
        .value_kind:     hidden_remainder_y
      - .offset:         118
        .size:           2
        .value_kind:     hidden_remainder_z
      - .offset:         136
        .size:           8
        .value_kind:     hidden_global_offset_x
      - .offset:         144
        .size:           8
        .value_kind:     hidden_global_offset_y
      - .offset:         152
        .size:           8
        .value_kind:     hidden_global_offset_z
      - .offset:         160
        .size:           2
        .value_kind:     hidden_grid_dims
    .group_segment_fixed_size: 4096
    .kernarg_segment_align: 8
    .kernarg_segment_size: 352
    .language:       OpenCL C
    .language_version:
      - 2
      - 0
    .max_flat_workgroup_size: 32
    .name:           _ZL30rocblas_trsm_small_left_deviceILi32ELi32ELb0EffPKfPfEv13rocblas_fill_18rocblas_operation_17rocblas_diagonal_iiT3_T4_lilT5_lili
    .private_segment_fixed_size: 0
    .sgpr_count:     48
    .sgpr_spill_count: 0
    .symbol:         _ZL30rocblas_trsm_small_left_deviceILi32ELi32ELb0EffPKfPfEv13rocblas_fill_18rocblas_operation_17rocblas_diagonal_iiT3_T4_lilT5_lili.kd
    .uniform_work_group_size: 1
    .uses_dynamic_stack: false
    .vgpr_count:     100
    .vgpr_spill_count: 0
    .wavefront_size: 64
  - .agpr_count:     0
    .args:
      - .offset:         0
        .size:           4
        .value_kind:     by_value
      - .offset:         4
        .size:           4
        .value_kind:     by_value
      - .offset:         8
        .size:           4
        .value_kind:     by_value
      - .offset:         12
        .size:           4
        .value_kind:     by_value
      - .offset:         16
        .size:           4
        .value_kind:     by_value
      - .offset:         20
        .size:           4
        .value_kind:     by_value
      - .address_space:  global
        .offset:         24
        .size:           8
        .value_kind:     global_buffer
      - .offset:         32
        .size:           8
        .value_kind:     by_value
      - .offset:         40
        .size:           4
        .value_kind:     by_value
      - .offset:         48
        .size:           8
        .value_kind:     by_value
      - .address_space:  global
        .offset:         56
        .size:           8
        .value_kind:     global_buffer
      - .offset:         64
        .size:           8
        .value_kind:     by_value
      - .offset:         72
        .size:           4
        .value_kind:     by_value
      - .offset:         80
        .size:           8
        .value_kind:     by_value
      - .offset:         88
        .size:           4
        .value_kind:     by_value
      - .offset:         96
        .size:           4
        .value_kind:     hidden_block_count_x
      - .offset:         100
        .size:           4
        .value_kind:     hidden_block_count_y
      - .offset:         104
        .size:           4
        .value_kind:     hidden_block_count_z
      - .offset:         108
        .size:           2
        .value_kind:     hidden_group_size_x
      - .offset:         110
        .size:           2
        .value_kind:     hidden_group_size_y
      - .offset:         112
        .size:           2
        .value_kind:     hidden_group_size_z
      - .offset:         114
        .size:           2
        .value_kind:     hidden_remainder_x
      - .offset:         116
        .size:           2
        .value_kind:     hidden_remainder_y
      - .offset:         118
        .size:           2
        .value_kind:     hidden_remainder_z
      - .offset:         136
        .size:           8
        .value_kind:     hidden_global_offset_x
      - .offset:         144
        .size:           8
        .value_kind:     hidden_global_offset_y
      - .offset:         152
        .size:           8
        .value_kind:     hidden_global_offset_z
      - .offset:         160
        .size:           2
        .value_kind:     hidden_grid_dims
    .group_segment_fixed_size: 8192
    .kernarg_segment_align: 8
    .kernarg_segment_size: 352
    .language:       OpenCL C
    .language_version:
      - 2
      - 0
    .max_flat_workgroup_size: 32
    .name:           _ZL38rocblas_trsm_small_left_device_sharedBILi32ELi32ELb1EffPKfPfEv13rocblas_fill_18rocblas_operation_17rocblas_diagonal_iiT3_T4_lilT5_lili
    .private_segment_fixed_size: 0
    .sgpr_count:     52
    .sgpr_spill_count: 0
    .symbol:         _ZL38rocblas_trsm_small_left_device_sharedBILi32ELi32ELb1EffPKfPfEv13rocblas_fill_18rocblas_operation_17rocblas_diagonal_iiT3_T4_lilT5_lili.kd
    .uniform_work_group_size: 1
    .uses_dynamic_stack: false
    .vgpr_count:     160
    .vgpr_spill_count: 0
    .wavefront_size: 64
  - .agpr_count:     0
    .args:
      - .offset:         0
        .size:           4
        .value_kind:     by_value
      - .offset:         4
        .size:           4
        .value_kind:     by_value
      - .offset:         8
        .size:           4
        .value_kind:     by_value
      - .offset:         12
        .size:           4
        .value_kind:     by_value
      - .offset:         16
        .size:           4
        .value_kind:     by_value
      - .offset:         20
        .size:           4
        .value_kind:     by_value
      - .address_space:  global
        .offset:         24
        .size:           8
        .value_kind:     global_buffer
      - .offset:         32
        .size:           8
        .value_kind:     by_value
      - .offset:         40
        .size:           4
        .value_kind:     by_value
      - .offset:         48
        .size:           8
        .value_kind:     by_value
      - .address_space:  global
        .offset:         56
        .size:           8
        .value_kind:     global_buffer
      - .offset:         64
        .size:           8
        .value_kind:     by_value
      - .offset:         72
        .size:           4
        .value_kind:     by_value
      - .offset:         80
        .size:           8
        .value_kind:     by_value
      - .offset:         88
        .size:           4
        .value_kind:     by_value
      - .offset:         96
        .size:           4
        .value_kind:     hidden_block_count_x
      - .offset:         100
        .size:           4
        .value_kind:     hidden_block_count_y
      - .offset:         104
        .size:           4
        .value_kind:     hidden_block_count_z
      - .offset:         108
        .size:           2
        .value_kind:     hidden_group_size_x
      - .offset:         110
        .size:           2
        .value_kind:     hidden_group_size_y
      - .offset:         112
        .size:           2
        .value_kind:     hidden_group_size_z
      - .offset:         114
        .size:           2
        .value_kind:     hidden_remainder_x
      - .offset:         116
        .size:           2
        .value_kind:     hidden_remainder_y
      - .offset:         118
        .size:           2
        .value_kind:     hidden_remainder_z
      - .offset:         136
        .size:           8
        .value_kind:     hidden_global_offset_x
      - .offset:         144
        .size:           8
        .value_kind:     hidden_global_offset_y
      - .offset:         152
        .size:           8
        .value_kind:     hidden_global_offset_z
      - .offset:         160
        .size:           2
        .value_kind:     hidden_grid_dims
    .group_segment_fixed_size: 4096
    .kernarg_segment_align: 8
    .kernarg_segment_size: 352
    .language:       OpenCL C
    .language_version:
      - 2
      - 0
    .max_flat_workgroup_size: 32
    .name:           _ZL30rocblas_trsm_small_left_deviceILi32ELi32ELb1EffPKfPfEv13rocblas_fill_18rocblas_operation_17rocblas_diagonal_iiT3_T4_lilT5_lili
    .private_segment_fixed_size: 0
    .sgpr_count:     47
    .sgpr_spill_count: 0
    .symbol:         _ZL30rocblas_trsm_small_left_deviceILi32ELi32ELb1EffPKfPfEv13rocblas_fill_18rocblas_operation_17rocblas_diagonal_iiT3_T4_lilT5_lili.kd
    .uniform_work_group_size: 1
    .uses_dynamic_stack: false
    .vgpr_count:     124
    .vgpr_spill_count: 0
    .wavefront_size: 64
  - .agpr_count:     0
    .args:
      - .offset:         0
        .size:           4
        .value_kind:     by_value
      - .offset:         4
        .size:           4
        .value_kind:     by_value
      - .offset:         8
        .size:           4
        .value_kind:     by_value
      - .offset:         12
        .size:           4
        .value_kind:     by_value
      - .offset:         16
        .size:           4
        .value_kind:     by_value
      - .offset:         20
        .size:           4
        .value_kind:     by_value
      - .address_space:  global
        .offset:         24
        .size:           8
        .value_kind:     global_buffer
      - .offset:         32
        .size:           8
        .value_kind:     by_value
      - .offset:         40
        .size:           4
        .value_kind:     by_value
      - .offset:         48
        .size:           8
        .value_kind:     by_value
      - .address_space:  global
        .offset:         56
        .size:           8
        .value_kind:     global_buffer
      - .offset:         64
        .size:           8
        .value_kind:     by_value
      - .offset:         72
        .size:           4
        .value_kind:     by_value
      - .offset:         80
        .size:           8
        .value_kind:     by_value
      - .offset:         88
        .size:           4
        .value_kind:     by_value
      - .offset:         96
        .size:           4
        .value_kind:     hidden_block_count_x
      - .offset:         100
        .size:           4
        .value_kind:     hidden_block_count_y
      - .offset:         104
        .size:           4
        .value_kind:     hidden_block_count_z
      - .offset:         108
        .size:           2
        .value_kind:     hidden_group_size_x
      - .offset:         110
        .size:           2
        .value_kind:     hidden_group_size_y
      - .offset:         112
        .size:           2
        .value_kind:     hidden_group_size_z
      - .offset:         114
        .size:           2
        .value_kind:     hidden_remainder_x
      - .offset:         116
        .size:           2
        .value_kind:     hidden_remainder_y
      - .offset:         118
        .size:           2
        .value_kind:     hidden_remainder_z
      - .offset:         136
        .size:           8
        .value_kind:     hidden_global_offset_x
      - .offset:         144
        .size:           8
        .value_kind:     hidden_global_offset_y
      - .offset:         152
        .size:           8
        .value_kind:     hidden_global_offset_z
      - .offset:         160
        .size:           2
        .value_kind:     hidden_grid_dims
    .group_segment_fixed_size: 8192
    .kernarg_segment_align: 8
    .kernarg_segment_size: 352
    .language:       OpenCL C
    .language_version:
      - 2
      - 0
    .max_flat_workgroup_size: 32
    .name:           _ZL31rocblas_trsm_small_right_deviceIffPKfPfLi32EEv13rocblas_fill_18rocblas_operation_17rocblas_diagonal_iiT0_T1_lilT2_lili
    .private_segment_fixed_size: 0
    .sgpr_count:     48
    .sgpr_spill_count: 0
    .symbol:         _ZL31rocblas_trsm_small_right_deviceIffPKfPfLi32EEv13rocblas_fill_18rocblas_operation_17rocblas_diagonal_iiT0_T1_lilT2_lili.kd
    .uniform_work_group_size: 1
    .uses_dynamic_stack: false
    .vgpr_count:     62
    .vgpr_spill_count: 0
    .wavefront_size: 64
  - .agpr_count:     0
    .args:
      - .offset:         0
        .size:           4
        .value_kind:     by_value
      - .offset:         4
        .size:           4
        .value_kind:     by_value
      - .offset:         8
        .size:           4
        .value_kind:     by_value
      - .offset:         12
        .size:           4
        .value_kind:     by_value
      - .offset:         16
        .size:           4
        .value_kind:     by_value
      - .offset:         20
        .size:           4
        .value_kind:     by_value
      - .address_space:  global
        .offset:         24
        .size:           8
        .value_kind:     global_buffer
      - .offset:         32
        .size:           8
        .value_kind:     by_value
      - .offset:         40
        .size:           4
        .value_kind:     by_value
      - .offset:         48
        .size:           8
        .value_kind:     by_value
      - .address_space:  global
        .offset:         56
        .size:           8
        .value_kind:     global_buffer
      - .offset:         64
        .size:           8
        .value_kind:     by_value
      - .offset:         72
        .size:           4
        .value_kind:     by_value
      - .offset:         80
        .size:           8
        .value_kind:     by_value
      - .offset:         88
        .size:           4
        .value_kind:     by_value
      - .offset:         96
        .size:           4
        .value_kind:     hidden_block_count_x
      - .offset:         100
        .size:           4
        .value_kind:     hidden_block_count_y
      - .offset:         104
        .size:           4
        .value_kind:     hidden_block_count_z
      - .offset:         108
        .size:           2
        .value_kind:     hidden_group_size_x
      - .offset:         110
        .size:           2
        .value_kind:     hidden_group_size_y
      - .offset:         112
        .size:           2
        .value_kind:     hidden_group_size_z
      - .offset:         114
        .size:           2
        .value_kind:     hidden_remainder_x
      - .offset:         116
        .size:           2
        .value_kind:     hidden_remainder_y
      - .offset:         118
        .size:           2
        .value_kind:     hidden_remainder_z
      - .offset:         136
        .size:           8
        .value_kind:     hidden_global_offset_x
      - .offset:         144
        .size:           8
        .value_kind:     hidden_global_offset_y
      - .offset:         152
        .size:           8
        .value_kind:     hidden_global_offset_z
      - .offset:         160
        .size:           2
        .value_kind:     hidden_grid_dims
    .group_segment_fixed_size: 32768
    .kernarg_segment_align: 8
    .kernarg_segment_size: 352
    .language:       OpenCL C
    .language_version:
      - 2
      - 0
    .max_flat_workgroup_size: 64
    .name:           _ZL38rocblas_trsm_small_left_device_sharedBILi64ELi32ELb0EffPKfPfEv13rocblas_fill_18rocblas_operation_17rocblas_diagonal_iiT3_T4_lilT5_lili
    .private_segment_fixed_size: 0
    .sgpr_count:     56
    .sgpr_spill_count: 0
    .symbol:         _ZL38rocblas_trsm_small_left_device_sharedBILi64ELi32ELb0EffPKfPfEv13rocblas_fill_18rocblas_operation_17rocblas_diagonal_iiT3_T4_lilT5_lili.kd
    .uniform_work_group_size: 1
    .uses_dynamic_stack: false
    .vgpr_count:     106
    .vgpr_spill_count: 0
    .wavefront_size: 64
  - .agpr_count:     0
    .args:
      - .offset:         0
        .size:           4
        .value_kind:     by_value
      - .offset:         4
        .size:           4
        .value_kind:     by_value
      - .offset:         8
        .size:           4
        .value_kind:     by_value
      - .offset:         12
        .size:           4
        .value_kind:     by_value
      - .offset:         16
        .size:           4
        .value_kind:     by_value
      - .offset:         20
        .size:           4
        .value_kind:     by_value
      - .address_space:  global
        .offset:         24
        .size:           8
        .value_kind:     global_buffer
      - .offset:         32
        .size:           8
        .value_kind:     by_value
      - .offset:         40
        .size:           4
        .value_kind:     by_value
      - .offset:         48
        .size:           8
        .value_kind:     by_value
      - .address_space:  global
        .offset:         56
        .size:           8
        .value_kind:     global_buffer
      - .offset:         64
        .size:           8
        .value_kind:     by_value
      - .offset:         72
        .size:           4
        .value_kind:     by_value
      - .offset:         80
        .size:           8
        .value_kind:     by_value
      - .offset:         88
        .size:           4
        .value_kind:     by_value
      - .offset:         96
        .size:           4
        .value_kind:     hidden_block_count_x
      - .offset:         100
        .size:           4
        .value_kind:     hidden_block_count_y
      - .offset:         104
        .size:           4
        .value_kind:     hidden_block_count_z
      - .offset:         108
        .size:           2
        .value_kind:     hidden_group_size_x
      - .offset:         110
        .size:           2
        .value_kind:     hidden_group_size_y
      - .offset:         112
        .size:           2
        .value_kind:     hidden_group_size_z
      - .offset:         114
        .size:           2
        .value_kind:     hidden_remainder_x
      - .offset:         116
        .size:           2
        .value_kind:     hidden_remainder_y
      - .offset:         118
        .size:           2
        .value_kind:     hidden_remainder_z
      - .offset:         136
        .size:           8
        .value_kind:     hidden_global_offset_x
      - .offset:         144
        .size:           8
        .value_kind:     hidden_global_offset_y
      - .offset:         152
        .size:           8
        .value_kind:     hidden_global_offset_z
      - .offset:         160
        .size:           2
        .value_kind:     hidden_grid_dims
    .group_segment_fixed_size: 16384
    .kernarg_segment_align: 8
    .kernarg_segment_size: 352
    .language:       OpenCL C
    .language_version:
      - 2
      - 0
    .max_flat_workgroup_size: 64
    .name:           _ZL30rocblas_trsm_small_left_deviceILi64ELi32ELb0EffPKfPfEv13rocblas_fill_18rocblas_operation_17rocblas_diagonal_iiT3_T4_lilT5_lili
    .private_segment_fixed_size: 0
    .sgpr_count:     50
    .sgpr_spill_count: 0
    .symbol:         _ZL30rocblas_trsm_small_left_deviceILi64ELi32ELb0EffPKfPfEv13rocblas_fill_18rocblas_operation_17rocblas_diagonal_iiT3_T4_lilT5_lili.kd
    .uniform_work_group_size: 1
    .uses_dynamic_stack: false
    .vgpr_count:     108
    .vgpr_spill_count: 0
    .wavefront_size: 64
  - .agpr_count:     0
    .args:
      - .offset:         0
        .size:           4
        .value_kind:     by_value
      - .offset:         4
        .size:           4
        .value_kind:     by_value
      - .offset:         8
        .size:           4
        .value_kind:     by_value
      - .offset:         12
        .size:           4
        .value_kind:     by_value
      - .offset:         16
        .size:           4
        .value_kind:     by_value
      - .offset:         20
        .size:           4
        .value_kind:     by_value
      - .address_space:  global
        .offset:         24
        .size:           8
        .value_kind:     global_buffer
      - .offset:         32
        .size:           8
        .value_kind:     by_value
      - .offset:         40
        .size:           4
        .value_kind:     by_value
      - .offset:         48
        .size:           8
        .value_kind:     by_value
      - .address_space:  global
        .offset:         56
        .size:           8
        .value_kind:     global_buffer
      - .offset:         64
        .size:           8
        .value_kind:     by_value
      - .offset:         72
        .size:           4
        .value_kind:     by_value
      - .offset:         80
        .size:           8
        .value_kind:     by_value
      - .offset:         88
        .size:           4
        .value_kind:     by_value
      - .offset:         96
        .size:           4
        .value_kind:     hidden_block_count_x
      - .offset:         100
        .size:           4
        .value_kind:     hidden_block_count_y
      - .offset:         104
        .size:           4
        .value_kind:     hidden_block_count_z
      - .offset:         108
        .size:           2
        .value_kind:     hidden_group_size_x
      - .offset:         110
        .size:           2
        .value_kind:     hidden_group_size_y
      - .offset:         112
        .size:           2
        .value_kind:     hidden_group_size_z
      - .offset:         114
        .size:           2
        .value_kind:     hidden_remainder_x
      - .offset:         116
        .size:           2
        .value_kind:     hidden_remainder_y
      - .offset:         118
        .size:           2
        .value_kind:     hidden_remainder_z
      - .offset:         136
        .size:           8
        .value_kind:     hidden_global_offset_x
      - .offset:         144
        .size:           8
        .value_kind:     hidden_global_offset_y
      - .offset:         152
        .size:           8
        .value_kind:     hidden_global_offset_z
      - .offset:         160
        .size:           2
        .value_kind:     hidden_grid_dims
    .group_segment_fixed_size: 32768
    .kernarg_segment_align: 8
    .kernarg_segment_size: 352
    .language:       OpenCL C
    .language_version:
      - 2
      - 0
    .max_flat_workgroup_size: 64
    .name:           _ZL38rocblas_trsm_small_left_device_sharedBILi64ELi32ELb1EffPKfPfEv13rocblas_fill_18rocblas_operation_17rocblas_diagonal_iiT3_T4_lilT5_lili
    .private_segment_fixed_size: 0
    .sgpr_count:     54
    .sgpr_spill_count: 0
    .symbol:         _ZL38rocblas_trsm_small_left_device_sharedBILi64ELi32ELb1EffPKfPfEv13rocblas_fill_18rocblas_operation_17rocblas_diagonal_iiT3_T4_lilT5_lili.kd
    .uniform_work_group_size: 1
    .uses_dynamic_stack: false
    .vgpr_count:     205
    .vgpr_spill_count: 0
    .wavefront_size: 64
  - .agpr_count:     0
    .args:
      - .offset:         0
        .size:           4
        .value_kind:     by_value
      - .offset:         4
        .size:           4
        .value_kind:     by_value
      - .offset:         8
        .size:           4
        .value_kind:     by_value
      - .offset:         12
        .size:           4
        .value_kind:     by_value
      - .offset:         16
        .size:           4
        .value_kind:     by_value
      - .offset:         20
        .size:           4
        .value_kind:     by_value
      - .address_space:  global
        .offset:         24
        .size:           8
        .value_kind:     global_buffer
      - .offset:         32
        .size:           8
        .value_kind:     by_value
      - .offset:         40
        .size:           4
        .value_kind:     by_value
      - .offset:         48
        .size:           8
        .value_kind:     by_value
      - .address_space:  global
        .offset:         56
        .size:           8
        .value_kind:     global_buffer
      - .offset:         64
        .size:           8
        .value_kind:     by_value
      - .offset:         72
        .size:           4
        .value_kind:     by_value
      - .offset:         80
        .size:           8
        .value_kind:     by_value
      - .offset:         88
        .size:           4
        .value_kind:     by_value
      - .offset:         96
        .size:           4
        .value_kind:     hidden_block_count_x
      - .offset:         100
        .size:           4
        .value_kind:     hidden_block_count_y
      - .offset:         104
        .size:           4
        .value_kind:     hidden_block_count_z
      - .offset:         108
        .size:           2
        .value_kind:     hidden_group_size_x
      - .offset:         110
        .size:           2
        .value_kind:     hidden_group_size_y
      - .offset:         112
        .size:           2
        .value_kind:     hidden_group_size_z
      - .offset:         114
        .size:           2
        .value_kind:     hidden_remainder_x
      - .offset:         116
        .size:           2
        .value_kind:     hidden_remainder_y
      - .offset:         118
        .size:           2
        .value_kind:     hidden_remainder_z
      - .offset:         136
        .size:           8
        .value_kind:     hidden_global_offset_x
      - .offset:         144
        .size:           8
        .value_kind:     hidden_global_offset_y
      - .offset:         152
        .size:           8
        .value_kind:     hidden_global_offset_z
      - .offset:         160
        .size:           2
        .value_kind:     hidden_grid_dims
    .group_segment_fixed_size: 16384
    .kernarg_segment_align: 8
    .kernarg_segment_size: 352
    .language:       OpenCL C
    .language_version:
      - 2
      - 0
    .max_flat_workgroup_size: 64
    .name:           _ZL30rocblas_trsm_small_left_deviceILi64ELi32ELb1EffPKfPfEv13rocblas_fill_18rocblas_operation_17rocblas_diagonal_iiT3_T4_lilT5_lili
    .private_segment_fixed_size: 0
    .sgpr_count:     47
    .sgpr_spill_count: 0
    .symbol:         _ZL30rocblas_trsm_small_left_deviceILi64ELi32ELb1EffPKfPfEv13rocblas_fill_18rocblas_operation_17rocblas_diagonal_iiT3_T4_lilT5_lili.kd
    .uniform_work_group_size: 1
    .uses_dynamic_stack: false
    .vgpr_count:     171
    .vgpr_spill_count: 0
    .wavefront_size: 64
  - .agpr_count:     0
    .args:
      - .offset:         0
        .size:           4
        .value_kind:     by_value
      - .offset:         4
        .size:           4
        .value_kind:     by_value
      - .offset:         8
        .size:           4
        .value_kind:     by_value
      - .offset:         12
        .size:           4
        .value_kind:     by_value
      - .offset:         16
        .size:           4
        .value_kind:     by_value
      - .offset:         20
        .size:           4
        .value_kind:     by_value
      - .address_space:  global
        .offset:         24
        .size:           8
        .value_kind:     global_buffer
      - .offset:         32
        .size:           8
        .value_kind:     by_value
      - .offset:         40
        .size:           4
        .value_kind:     by_value
      - .offset:         48
        .size:           8
        .value_kind:     by_value
      - .address_space:  global
        .offset:         56
        .size:           8
        .value_kind:     global_buffer
      - .offset:         64
        .size:           8
        .value_kind:     by_value
      - .offset:         72
        .size:           4
        .value_kind:     by_value
      - .offset:         80
        .size:           8
        .value_kind:     by_value
      - .offset:         88
        .size:           4
        .value_kind:     by_value
      - .offset:         96
        .size:           4
        .value_kind:     hidden_block_count_x
      - .offset:         100
        .size:           4
        .value_kind:     hidden_block_count_y
      - .offset:         104
        .size:           4
        .value_kind:     hidden_block_count_z
      - .offset:         108
        .size:           2
        .value_kind:     hidden_group_size_x
      - .offset:         110
        .size:           2
        .value_kind:     hidden_group_size_y
      - .offset:         112
        .size:           2
        .value_kind:     hidden_group_size_z
      - .offset:         114
        .size:           2
        .value_kind:     hidden_remainder_x
      - .offset:         116
        .size:           2
        .value_kind:     hidden_remainder_y
      - .offset:         118
        .size:           2
        .value_kind:     hidden_remainder_z
      - .offset:         136
        .size:           8
        .value_kind:     hidden_global_offset_x
      - .offset:         144
        .size:           8
        .value_kind:     hidden_global_offset_y
      - .offset:         152
        .size:           8
        .value_kind:     hidden_global_offset_z
      - .offset:         160
        .size:           2
        .value_kind:     hidden_grid_dims
    .group_segment_fixed_size: 32768
    .kernarg_segment_align: 8
    .kernarg_segment_size: 352
    .language:       OpenCL C
    .language_version:
      - 2
      - 0
    .max_flat_workgroup_size: 64
    .name:           _ZL31rocblas_trsm_small_right_deviceIffPKfPfLi64EEv13rocblas_fill_18rocblas_operation_17rocblas_diagonal_iiT0_T1_lilT2_lili
    .private_segment_fixed_size: 0
    .sgpr_count:     48
    .sgpr_spill_count: 0
    .symbol:         _ZL31rocblas_trsm_small_right_deviceIffPKfPfLi64EEv13rocblas_fill_18rocblas_operation_17rocblas_diagonal_iiT0_T1_lilT2_lili.kd
    .uniform_work_group_size: 1
    .uses_dynamic_stack: false
    .vgpr_count:     62
    .vgpr_spill_count: 0
    .wavefront_size: 64
  - .agpr_count:     0
    .args:
      - .offset:         0
        .size:           4
        .value_kind:     by_value
      - .offset:         8
        .size:           8
        .value_kind:     by_value
      - .offset:         16
        .size:           8
        .value_kind:     by_value
      - .offset:         24
        .size:           4
        .value_kind:     by_value
      - .address_space:  global
        .offset:         32
        .size:           8
        .value_kind:     global_buffer
      - .offset:         40
        .size:           8
        .value_kind:     by_value
      - .offset:         48
        .size:           8
        .value_kind:     by_value
      - .offset:         56
        .size:           8
        .value_kind:     by_value
      - .address_space:  global
        .offset:         64
        .size:           8
        .value_kind:     global_buffer
      - .offset:         72
        .size:           8
        .value_kind:     by_value
      - .offset:         80
        .size:           8
        .value_kind:     by_value
      - .offset:         88
        .size:           8
        .value_kind:     by_value
      - .offset:         96
        .size:           4
        .value_kind:     by_value
      - .offset:         100
        .size:           1
        .value_kind:     by_value
      - .offset:         104
        .size:           4
        .value_kind:     hidden_block_count_x
      - .offset:         108
        .size:           4
        .value_kind:     hidden_block_count_y
      - .offset:         112
        .size:           4
        .value_kind:     hidden_block_count_z
      - .offset:         116
        .size:           2
        .value_kind:     hidden_group_size_x
      - .offset:         118
        .size:           2
        .value_kind:     hidden_group_size_y
      - .offset:         120
        .size:           2
        .value_kind:     hidden_group_size_z
      - .offset:         122
        .size:           2
        .value_kind:     hidden_remainder_x
      - .offset:         124
        .size:           2
        .value_kind:     hidden_remainder_y
      - .offset:         126
        .size:           2
        .value_kind:     hidden_remainder_z
      - .offset:         144
        .size:           8
        .value_kind:     hidden_global_offset_x
      - .offset:         152
        .size:           8
        .value_kind:     hidden_global_offset_y
      - .offset:         160
        .size:           8
        .value_kind:     hidden_global_offset_z
      - .offset:         168
        .size:           2
        .value_kind:     hidden_grid_dims
      - .offset:         224
        .size:           4
        .value_kind:     hidden_dynamic_lds_size
    .group_segment_fixed_size: 0
    .kernarg_segment_align: 8
    .kernarg_segment_size: 360
    .language:       OpenCL C
    .language_version:
      - 2
      - 0
    .max_flat_workgroup_size: 1024
    .name:           _ZL39rocblas_trsm_block_forward_substitutionIffPKfPfLb0ELb0ELb0EEv18rocblas_operation_llT0_T1_lllT2_lllib
    .private_segment_fixed_size: 0
    .sgpr_count:     46
    .sgpr_spill_count: 0
    .symbol:         _ZL39rocblas_trsm_block_forward_substitutionIffPKfPfLb0ELb0ELb0EEv18rocblas_operation_llT0_T1_lllT2_lllib.kd
    .uniform_work_group_size: 1
    .uses_dynamic_stack: false
    .vgpr_count:     17
    .vgpr_spill_count: 0
    .wavefront_size: 64
  - .agpr_count:     0
    .args:
      - .offset:         0
        .size:           4
        .value_kind:     by_value
      - .offset:         8
        .size:           8
        .value_kind:     by_value
      - .offset:         16
        .size:           8
        .value_kind:     by_value
      - .offset:         24
        .size:           4
        .value_kind:     by_value
      - .address_space:  global
        .offset:         32
        .size:           8
        .value_kind:     global_buffer
      - .offset:         40
        .size:           8
        .value_kind:     by_value
      - .offset:         48
        .size:           8
        .value_kind:     by_value
      - .offset:         56
        .size:           8
        .value_kind:     by_value
      - .address_space:  global
        .offset:         64
        .size:           8
        .value_kind:     global_buffer
      - .offset:         72
        .size:           8
        .value_kind:     by_value
      - .offset:         80
        .size:           8
        .value_kind:     by_value
      - .offset:         88
        .size:           8
        .value_kind:     by_value
      - .offset:         96
        .size:           4
        .value_kind:     by_value
      - .offset:         100
        .size:           1
        .value_kind:     by_value
      - .offset:         104
        .size:           4
        .value_kind:     hidden_block_count_x
      - .offset:         108
        .size:           4
        .value_kind:     hidden_block_count_y
      - .offset:         112
        .size:           4
        .value_kind:     hidden_block_count_z
      - .offset:         116
        .size:           2
        .value_kind:     hidden_group_size_x
      - .offset:         118
        .size:           2
        .value_kind:     hidden_group_size_y
      - .offset:         120
        .size:           2
        .value_kind:     hidden_group_size_z
      - .offset:         122
        .size:           2
        .value_kind:     hidden_remainder_x
      - .offset:         124
        .size:           2
        .value_kind:     hidden_remainder_y
      - .offset:         126
        .size:           2
        .value_kind:     hidden_remainder_z
      - .offset:         144
        .size:           8
        .value_kind:     hidden_global_offset_x
      - .offset:         152
        .size:           8
        .value_kind:     hidden_global_offset_y
      - .offset:         160
        .size:           8
        .value_kind:     hidden_global_offset_z
      - .offset:         168
        .size:           2
        .value_kind:     hidden_grid_dims
      - .offset:         224
        .size:           4
        .value_kind:     hidden_dynamic_lds_size
    .group_segment_fixed_size: 0
    .kernarg_segment_align: 8
    .kernarg_segment_size: 360
    .language:       OpenCL C
    .language_version:
      - 2
      - 0
    .max_flat_workgroup_size: 1024
    .name:           _ZL40rocblas_trsm_block_backward_substitutionIffPKfPfLb0ELb0ELb0EEv18rocblas_operation_llT0_T1_lllT2_lllib
    .private_segment_fixed_size: 0
    .sgpr_count:     50
    .sgpr_spill_count: 0
    .symbol:         _ZL40rocblas_trsm_block_backward_substitutionIffPKfPfLb0ELb0ELb0EEv18rocblas_operation_llT0_T1_lllT2_lllib.kd
    .uniform_work_group_size: 1
    .uses_dynamic_stack: false
    .vgpr_count:     17
    .vgpr_spill_count: 0
    .wavefront_size: 64
  - .agpr_count:     0
    .args:
      - .offset:         0
        .size:           4
        .value_kind:     by_value
      - .offset:         8
        .size:           8
        .value_kind:     by_value
      - .offset:         16
        .size:           8
        .value_kind:     by_value
      - .offset:         24
        .size:           4
        .value_kind:     by_value
      - .address_space:  global
        .offset:         32
        .size:           8
        .value_kind:     global_buffer
      - .offset:         40
        .size:           8
        .value_kind:     by_value
      - .offset:         48
        .size:           8
        .value_kind:     by_value
      - .offset:         56
        .size:           8
        .value_kind:     by_value
      - .address_space:  global
        .offset:         64
        .size:           8
        .value_kind:     global_buffer
      - .offset:         72
        .size:           8
        .value_kind:     by_value
      - .offset:         80
        .size:           8
        .value_kind:     by_value
      - .offset:         88
        .size:           8
        .value_kind:     by_value
      - .offset:         96
        .size:           4
        .value_kind:     by_value
      - .offset:         100
        .size:           1
        .value_kind:     by_value
      - .offset:         104
        .size:           4
        .value_kind:     hidden_block_count_x
      - .offset:         108
        .size:           4
        .value_kind:     hidden_block_count_y
      - .offset:         112
        .size:           4
        .value_kind:     hidden_block_count_z
      - .offset:         116
        .size:           2
        .value_kind:     hidden_group_size_x
      - .offset:         118
        .size:           2
        .value_kind:     hidden_group_size_y
      - .offset:         120
        .size:           2
        .value_kind:     hidden_group_size_z
      - .offset:         122
        .size:           2
        .value_kind:     hidden_remainder_x
      - .offset:         124
        .size:           2
        .value_kind:     hidden_remainder_y
      - .offset:         126
        .size:           2
        .value_kind:     hidden_remainder_z
      - .offset:         144
        .size:           8
        .value_kind:     hidden_global_offset_x
      - .offset:         152
        .size:           8
        .value_kind:     hidden_global_offset_y
      - .offset:         160
        .size:           8
        .value_kind:     hidden_global_offset_z
      - .offset:         168
        .size:           2
        .value_kind:     hidden_grid_dims
      - .offset:         224
        .size:           4
        .value_kind:     hidden_dynamic_lds_size
    .group_segment_fixed_size: 0
    .kernarg_segment_align: 8
    .kernarg_segment_size: 360
    .language:       OpenCL C
    .language_version:
      - 2
      - 0
    .max_flat_workgroup_size: 1024
    .name:           _ZL39rocblas_trsm_block_forward_substitutionIffPKfPfLb0ELb0ELb1EEv18rocblas_operation_llT0_T1_lllT2_lllib
    .private_segment_fixed_size: 0
    .sgpr_count:     36
    .sgpr_spill_count: 0
    .symbol:         _ZL39rocblas_trsm_block_forward_substitutionIffPKfPfLb0ELb0ELb1EEv18rocblas_operation_llT0_T1_lllT2_lllib.kd
    .uniform_work_group_size: 1
    .uses_dynamic_stack: false
    .vgpr_count:     12
    .vgpr_spill_count: 0
    .wavefront_size: 64
  - .agpr_count:     0
    .args:
      - .offset:         0
        .size:           4
        .value_kind:     by_value
      - .offset:         8
        .size:           8
        .value_kind:     by_value
      - .offset:         16
        .size:           8
        .value_kind:     by_value
      - .offset:         24
        .size:           4
        .value_kind:     by_value
      - .address_space:  global
        .offset:         32
        .size:           8
        .value_kind:     global_buffer
      - .offset:         40
        .size:           8
        .value_kind:     by_value
      - .offset:         48
        .size:           8
        .value_kind:     by_value
      - .offset:         56
        .size:           8
        .value_kind:     by_value
      - .address_space:  global
        .offset:         64
        .size:           8
        .value_kind:     global_buffer
      - .offset:         72
        .size:           8
        .value_kind:     by_value
      - .offset:         80
        .size:           8
        .value_kind:     by_value
      - .offset:         88
        .size:           8
        .value_kind:     by_value
      - .offset:         96
        .size:           4
        .value_kind:     by_value
      - .offset:         100
        .size:           1
        .value_kind:     by_value
      - .offset:         104
        .size:           4
        .value_kind:     hidden_block_count_x
      - .offset:         108
        .size:           4
        .value_kind:     hidden_block_count_y
      - .offset:         112
        .size:           4
        .value_kind:     hidden_block_count_z
      - .offset:         116
        .size:           2
        .value_kind:     hidden_group_size_x
      - .offset:         118
        .size:           2
        .value_kind:     hidden_group_size_y
      - .offset:         120
        .size:           2
        .value_kind:     hidden_group_size_z
      - .offset:         122
        .size:           2
        .value_kind:     hidden_remainder_x
      - .offset:         124
        .size:           2
        .value_kind:     hidden_remainder_y
      - .offset:         126
        .size:           2
        .value_kind:     hidden_remainder_z
      - .offset:         144
        .size:           8
        .value_kind:     hidden_global_offset_x
      - .offset:         152
        .size:           8
        .value_kind:     hidden_global_offset_y
      - .offset:         160
        .size:           8
        .value_kind:     hidden_global_offset_z
      - .offset:         168
        .size:           2
        .value_kind:     hidden_grid_dims
      - .offset:         224
        .size:           4
        .value_kind:     hidden_dynamic_lds_size
    .group_segment_fixed_size: 0
    .kernarg_segment_align: 8
    .kernarg_segment_size: 360
    .language:       OpenCL C
    .language_version:
      - 2
      - 0
    .max_flat_workgroup_size: 1024
    .name:           _ZL40rocblas_trsm_block_backward_substitutionIffPKfPfLb0ELb0ELb1EEv18rocblas_operation_llT0_T1_lllT2_lllib
    .private_segment_fixed_size: 0
    .sgpr_count:     36
    .sgpr_spill_count: 0
    .symbol:         _ZL40rocblas_trsm_block_backward_substitutionIffPKfPfLb0ELb0ELb1EEv18rocblas_operation_llT0_T1_lllT2_lllib.kd
    .uniform_work_group_size: 1
    .uses_dynamic_stack: false
    .vgpr_count:     12
    .vgpr_spill_count: 0
    .wavefront_size: 64
  - .agpr_count:     0
    .args:
      - .offset:         0
        .size:           4
        .value_kind:     by_value
      - .offset:         8
        .size:           8
        .value_kind:     by_value
      - .offset:         16
        .size:           8
        .value_kind:     by_value
      - .offset:         24
        .size:           4
        .value_kind:     by_value
      - .address_space:  global
        .offset:         32
        .size:           8
        .value_kind:     global_buffer
      - .offset:         40
        .size:           8
        .value_kind:     by_value
      - .offset:         48
        .size:           8
        .value_kind:     by_value
      - .offset:         56
        .size:           8
        .value_kind:     by_value
      - .address_space:  global
        .offset:         64
        .size:           8
        .value_kind:     global_buffer
      - .offset:         72
        .size:           8
        .value_kind:     by_value
      - .offset:         80
        .size:           8
        .value_kind:     by_value
      - .offset:         88
        .size:           8
        .value_kind:     by_value
      - .offset:         96
        .size:           4
        .value_kind:     by_value
      - .offset:         100
        .size:           1
        .value_kind:     by_value
      - .offset:         104
        .size:           4
        .value_kind:     hidden_block_count_x
      - .offset:         108
        .size:           4
        .value_kind:     hidden_block_count_y
      - .offset:         112
        .size:           4
        .value_kind:     hidden_block_count_z
      - .offset:         116
        .size:           2
        .value_kind:     hidden_group_size_x
      - .offset:         118
        .size:           2
        .value_kind:     hidden_group_size_y
      - .offset:         120
        .size:           2
        .value_kind:     hidden_group_size_z
      - .offset:         122
        .size:           2
        .value_kind:     hidden_remainder_x
      - .offset:         124
        .size:           2
        .value_kind:     hidden_remainder_y
      - .offset:         126
        .size:           2
        .value_kind:     hidden_remainder_z
      - .offset:         144
        .size:           8
        .value_kind:     hidden_global_offset_x
      - .offset:         152
        .size:           8
        .value_kind:     hidden_global_offset_y
      - .offset:         160
        .size:           8
        .value_kind:     hidden_global_offset_z
      - .offset:         168
        .size:           2
        .value_kind:     hidden_grid_dims
      - .offset:         224
        .size:           4
        .value_kind:     hidden_dynamic_lds_size
    .group_segment_fixed_size: 0
    .kernarg_segment_align: 8
    .kernarg_segment_size: 360
    .language:       OpenCL C
    .language_version:
      - 2
      - 0
    .max_flat_workgroup_size: 1024
    .name:           _ZL39rocblas_trsm_block_forward_substitutionIffPKfPfLb0ELb1ELb0EEv18rocblas_operation_llT0_T1_lllT2_lllib
    .private_segment_fixed_size: 0
    .sgpr_count:     46
    .sgpr_spill_count: 0
    .symbol:         _ZL39rocblas_trsm_block_forward_substitutionIffPKfPfLb0ELb1ELb0EEv18rocblas_operation_llT0_T1_lllT2_lllib.kd
    .uniform_work_group_size: 1
    .uses_dynamic_stack: false
    .vgpr_count:     17
    .vgpr_spill_count: 0
    .wavefront_size: 64
  - .agpr_count:     0
    .args:
      - .offset:         0
        .size:           4
        .value_kind:     by_value
      - .offset:         8
        .size:           8
        .value_kind:     by_value
      - .offset:         16
        .size:           8
        .value_kind:     by_value
      - .offset:         24
        .size:           4
        .value_kind:     by_value
      - .address_space:  global
        .offset:         32
        .size:           8
        .value_kind:     global_buffer
      - .offset:         40
        .size:           8
        .value_kind:     by_value
      - .offset:         48
        .size:           8
        .value_kind:     by_value
      - .offset:         56
        .size:           8
        .value_kind:     by_value
      - .address_space:  global
        .offset:         64
        .size:           8
        .value_kind:     global_buffer
      - .offset:         72
        .size:           8
        .value_kind:     by_value
      - .offset:         80
        .size:           8
        .value_kind:     by_value
      - .offset:         88
        .size:           8
        .value_kind:     by_value
      - .offset:         96
        .size:           4
        .value_kind:     by_value
      - .offset:         100
        .size:           1
        .value_kind:     by_value
      - .offset:         104
        .size:           4
        .value_kind:     hidden_block_count_x
      - .offset:         108
        .size:           4
        .value_kind:     hidden_block_count_y
      - .offset:         112
        .size:           4
        .value_kind:     hidden_block_count_z
      - .offset:         116
        .size:           2
        .value_kind:     hidden_group_size_x
      - .offset:         118
        .size:           2
        .value_kind:     hidden_group_size_y
      - .offset:         120
        .size:           2
        .value_kind:     hidden_group_size_z
      - .offset:         122
        .size:           2
        .value_kind:     hidden_remainder_x
      - .offset:         124
        .size:           2
        .value_kind:     hidden_remainder_y
      - .offset:         126
        .size:           2
        .value_kind:     hidden_remainder_z
      - .offset:         144
        .size:           8
        .value_kind:     hidden_global_offset_x
      - .offset:         152
        .size:           8
        .value_kind:     hidden_global_offset_y
      - .offset:         160
        .size:           8
        .value_kind:     hidden_global_offset_z
      - .offset:         168
        .size:           2
        .value_kind:     hidden_grid_dims
      - .offset:         224
        .size:           4
        .value_kind:     hidden_dynamic_lds_size
    .group_segment_fixed_size: 0
    .kernarg_segment_align: 8
    .kernarg_segment_size: 360
    .language:       OpenCL C
    .language_version:
      - 2
      - 0
    .max_flat_workgroup_size: 1024
    .name:           _ZL40rocblas_trsm_block_backward_substitutionIffPKfPfLb0ELb1ELb0EEv18rocblas_operation_llT0_T1_lllT2_lllib
    .private_segment_fixed_size: 0
    .sgpr_count:     50
    .sgpr_spill_count: 0
    .symbol:         _ZL40rocblas_trsm_block_backward_substitutionIffPKfPfLb0ELb1ELb0EEv18rocblas_operation_llT0_T1_lllT2_lllib.kd
    .uniform_work_group_size: 1
    .uses_dynamic_stack: false
    .vgpr_count:     17
    .vgpr_spill_count: 0
    .wavefront_size: 64
  - .agpr_count:     0
    .args:
      - .offset:         0
        .size:           4
        .value_kind:     by_value
      - .offset:         8
        .size:           8
        .value_kind:     by_value
      - .offset:         16
        .size:           8
        .value_kind:     by_value
      - .offset:         24
        .size:           4
        .value_kind:     by_value
      - .address_space:  global
        .offset:         32
        .size:           8
        .value_kind:     global_buffer
      - .offset:         40
        .size:           8
        .value_kind:     by_value
      - .offset:         48
        .size:           8
        .value_kind:     by_value
      - .offset:         56
        .size:           8
        .value_kind:     by_value
      - .address_space:  global
        .offset:         64
        .size:           8
        .value_kind:     global_buffer
      - .offset:         72
        .size:           8
        .value_kind:     by_value
      - .offset:         80
        .size:           8
        .value_kind:     by_value
      - .offset:         88
        .size:           8
        .value_kind:     by_value
      - .offset:         96
        .size:           4
        .value_kind:     by_value
      - .offset:         100
        .size:           1
        .value_kind:     by_value
      - .offset:         104
        .size:           4
        .value_kind:     hidden_block_count_x
      - .offset:         108
        .size:           4
        .value_kind:     hidden_block_count_y
      - .offset:         112
        .size:           4
        .value_kind:     hidden_block_count_z
      - .offset:         116
        .size:           2
        .value_kind:     hidden_group_size_x
      - .offset:         118
        .size:           2
        .value_kind:     hidden_group_size_y
      - .offset:         120
        .size:           2
        .value_kind:     hidden_group_size_z
      - .offset:         122
        .size:           2
        .value_kind:     hidden_remainder_x
      - .offset:         124
        .size:           2
        .value_kind:     hidden_remainder_y
      - .offset:         126
        .size:           2
        .value_kind:     hidden_remainder_z
      - .offset:         144
        .size:           8
        .value_kind:     hidden_global_offset_x
      - .offset:         152
        .size:           8
        .value_kind:     hidden_global_offset_y
      - .offset:         160
        .size:           8
        .value_kind:     hidden_global_offset_z
      - .offset:         168
        .size:           2
        .value_kind:     hidden_grid_dims
      - .offset:         224
        .size:           4
        .value_kind:     hidden_dynamic_lds_size
    .group_segment_fixed_size: 0
    .kernarg_segment_align: 8
    .kernarg_segment_size: 360
    .language:       OpenCL C
    .language_version:
      - 2
      - 0
    .max_flat_workgroup_size: 1024
    .name:           _ZL39rocblas_trsm_block_forward_substitutionIffPKfPfLb0ELb1ELb1EEv18rocblas_operation_llT0_T1_lllT2_lllib
    .private_segment_fixed_size: 0
    .sgpr_count:     36
    .sgpr_spill_count: 0
    .symbol:         _ZL39rocblas_trsm_block_forward_substitutionIffPKfPfLb0ELb1ELb1EEv18rocblas_operation_llT0_T1_lllT2_lllib.kd
    .uniform_work_group_size: 1
    .uses_dynamic_stack: false
    .vgpr_count:     12
    .vgpr_spill_count: 0
    .wavefront_size: 64
  - .agpr_count:     0
    .args:
      - .offset:         0
        .size:           4
        .value_kind:     by_value
      - .offset:         8
        .size:           8
        .value_kind:     by_value
      - .offset:         16
        .size:           8
        .value_kind:     by_value
      - .offset:         24
        .size:           4
        .value_kind:     by_value
      - .address_space:  global
        .offset:         32
        .size:           8
        .value_kind:     global_buffer
      - .offset:         40
        .size:           8
        .value_kind:     by_value
      - .offset:         48
        .size:           8
        .value_kind:     by_value
      - .offset:         56
        .size:           8
        .value_kind:     by_value
      - .address_space:  global
        .offset:         64
        .size:           8
        .value_kind:     global_buffer
      - .offset:         72
        .size:           8
        .value_kind:     by_value
      - .offset:         80
        .size:           8
        .value_kind:     by_value
      - .offset:         88
        .size:           8
        .value_kind:     by_value
      - .offset:         96
        .size:           4
        .value_kind:     by_value
      - .offset:         100
        .size:           1
        .value_kind:     by_value
      - .offset:         104
        .size:           4
        .value_kind:     hidden_block_count_x
      - .offset:         108
        .size:           4
        .value_kind:     hidden_block_count_y
      - .offset:         112
        .size:           4
        .value_kind:     hidden_block_count_z
      - .offset:         116
        .size:           2
        .value_kind:     hidden_group_size_x
      - .offset:         118
        .size:           2
        .value_kind:     hidden_group_size_y
      - .offset:         120
        .size:           2
        .value_kind:     hidden_group_size_z
      - .offset:         122
        .size:           2
        .value_kind:     hidden_remainder_x
      - .offset:         124
        .size:           2
        .value_kind:     hidden_remainder_y
      - .offset:         126
        .size:           2
        .value_kind:     hidden_remainder_z
      - .offset:         144
        .size:           8
        .value_kind:     hidden_global_offset_x
      - .offset:         152
        .size:           8
        .value_kind:     hidden_global_offset_y
      - .offset:         160
        .size:           8
        .value_kind:     hidden_global_offset_z
      - .offset:         168
        .size:           2
        .value_kind:     hidden_grid_dims
      - .offset:         224
        .size:           4
        .value_kind:     hidden_dynamic_lds_size
    .group_segment_fixed_size: 0
    .kernarg_segment_align: 8
    .kernarg_segment_size: 360
    .language:       OpenCL C
    .language_version:
      - 2
      - 0
    .max_flat_workgroup_size: 1024
    .name:           _ZL40rocblas_trsm_block_backward_substitutionIffPKfPfLb0ELb1ELb1EEv18rocblas_operation_llT0_T1_lllT2_lllib
    .private_segment_fixed_size: 0
    .sgpr_count:     36
    .sgpr_spill_count: 0
    .symbol:         _ZL40rocblas_trsm_block_backward_substitutionIffPKfPfLb0ELb1ELb1EEv18rocblas_operation_llT0_T1_lllT2_lllib.kd
    .uniform_work_group_size: 1
    .uses_dynamic_stack: false
    .vgpr_count:     12
    .vgpr_spill_count: 0
    .wavefront_size: 64
  - .agpr_count:     0
    .args:
      - .offset:         0
        .size:           4
        .value_kind:     by_value
      - .offset:         8
        .size:           8
        .value_kind:     by_value
      - .offset:         16
        .size:           8
        .value_kind:     by_value
      - .offset:         24
        .size:           4
        .value_kind:     by_value
      - .address_space:  global
        .offset:         32
        .size:           8
        .value_kind:     global_buffer
      - .offset:         40
        .size:           8
        .value_kind:     by_value
      - .offset:         48
        .size:           8
        .value_kind:     by_value
      - .offset:         56
        .size:           8
        .value_kind:     by_value
      - .address_space:  global
        .offset:         64
        .size:           8
        .value_kind:     global_buffer
      - .offset:         72
        .size:           8
        .value_kind:     by_value
      - .offset:         80
        .size:           8
        .value_kind:     by_value
      - .offset:         88
        .size:           8
        .value_kind:     by_value
      - .offset:         96
        .size:           4
        .value_kind:     by_value
      - .offset:         100
        .size:           1
        .value_kind:     by_value
      - .offset:         104
        .size:           4
        .value_kind:     hidden_block_count_x
      - .offset:         108
        .size:           4
        .value_kind:     hidden_block_count_y
      - .offset:         112
        .size:           4
        .value_kind:     hidden_block_count_z
      - .offset:         116
        .size:           2
        .value_kind:     hidden_group_size_x
      - .offset:         118
        .size:           2
        .value_kind:     hidden_group_size_y
      - .offset:         120
        .size:           2
        .value_kind:     hidden_group_size_z
      - .offset:         122
        .size:           2
        .value_kind:     hidden_remainder_x
      - .offset:         124
        .size:           2
        .value_kind:     hidden_remainder_y
      - .offset:         126
        .size:           2
        .value_kind:     hidden_remainder_z
      - .offset:         144
        .size:           8
        .value_kind:     hidden_global_offset_x
      - .offset:         152
        .size:           8
        .value_kind:     hidden_global_offset_y
      - .offset:         160
        .size:           8
        .value_kind:     hidden_global_offset_z
      - .offset:         168
        .size:           2
        .value_kind:     hidden_grid_dims
      - .offset:         224
        .size:           4
        .value_kind:     hidden_dynamic_lds_size
    .group_segment_fixed_size: 0
    .kernarg_segment_align: 8
    .kernarg_segment_size: 360
    .language:       OpenCL C
    .language_version:
      - 2
      - 0
    .max_flat_workgroup_size: 1024
    .name:           _ZL39rocblas_trsm_block_forward_substitutionIffPKfPfLb1ELb1ELb0EEv18rocblas_operation_llT0_T1_lllT2_lllib
    .private_segment_fixed_size: 0
    .sgpr_count:     46
    .sgpr_spill_count: 0
    .symbol:         _ZL39rocblas_trsm_block_forward_substitutionIffPKfPfLb1ELb1ELb0EEv18rocblas_operation_llT0_T1_lllT2_lllib.kd
    .uniform_work_group_size: 1
    .uses_dynamic_stack: false
    .vgpr_count:     17
    .vgpr_spill_count: 0
    .wavefront_size: 64
  - .agpr_count:     0
    .args:
      - .offset:         0
        .size:           4
        .value_kind:     by_value
      - .offset:         8
        .size:           8
        .value_kind:     by_value
      - .offset:         16
        .size:           8
        .value_kind:     by_value
      - .offset:         24
        .size:           4
        .value_kind:     by_value
      - .address_space:  global
        .offset:         32
        .size:           8
        .value_kind:     global_buffer
      - .offset:         40
        .size:           8
        .value_kind:     by_value
      - .offset:         48
        .size:           8
        .value_kind:     by_value
      - .offset:         56
        .size:           8
        .value_kind:     by_value
      - .address_space:  global
        .offset:         64
        .size:           8
        .value_kind:     global_buffer
      - .offset:         72
        .size:           8
        .value_kind:     by_value
      - .offset:         80
        .size:           8
        .value_kind:     by_value
      - .offset:         88
        .size:           8
        .value_kind:     by_value
      - .offset:         96
        .size:           4
        .value_kind:     by_value
      - .offset:         100
        .size:           1
        .value_kind:     by_value
      - .offset:         104
        .size:           4
        .value_kind:     hidden_block_count_x
      - .offset:         108
        .size:           4
        .value_kind:     hidden_block_count_y
      - .offset:         112
        .size:           4
        .value_kind:     hidden_block_count_z
      - .offset:         116
        .size:           2
        .value_kind:     hidden_group_size_x
      - .offset:         118
        .size:           2
        .value_kind:     hidden_group_size_y
      - .offset:         120
        .size:           2
        .value_kind:     hidden_group_size_z
      - .offset:         122
        .size:           2
        .value_kind:     hidden_remainder_x
      - .offset:         124
        .size:           2
        .value_kind:     hidden_remainder_y
      - .offset:         126
        .size:           2
        .value_kind:     hidden_remainder_z
      - .offset:         144
        .size:           8
        .value_kind:     hidden_global_offset_x
      - .offset:         152
        .size:           8
        .value_kind:     hidden_global_offset_y
      - .offset:         160
        .size:           8
        .value_kind:     hidden_global_offset_z
      - .offset:         168
        .size:           2
        .value_kind:     hidden_grid_dims
      - .offset:         224
        .size:           4
        .value_kind:     hidden_dynamic_lds_size
    .group_segment_fixed_size: 0
    .kernarg_segment_align: 8
    .kernarg_segment_size: 360
    .language:       OpenCL C
    .language_version:
      - 2
      - 0
    .max_flat_workgroup_size: 1024
    .name:           _ZL40rocblas_trsm_block_backward_substitutionIffPKfPfLb1ELb1ELb0EEv18rocblas_operation_llT0_T1_lllT2_lllib
    .private_segment_fixed_size: 0
    .sgpr_count:     50
    .sgpr_spill_count: 0
    .symbol:         _ZL40rocblas_trsm_block_backward_substitutionIffPKfPfLb1ELb1ELb0EEv18rocblas_operation_llT0_T1_lllT2_lllib.kd
    .uniform_work_group_size: 1
    .uses_dynamic_stack: false
    .vgpr_count:     17
    .vgpr_spill_count: 0
    .wavefront_size: 64
  - .agpr_count:     0
    .args:
      - .offset:         0
        .size:           4
        .value_kind:     by_value
      - .offset:         8
        .size:           8
        .value_kind:     by_value
      - .offset:         16
        .size:           8
        .value_kind:     by_value
      - .offset:         24
        .size:           4
        .value_kind:     by_value
      - .address_space:  global
        .offset:         32
        .size:           8
        .value_kind:     global_buffer
      - .offset:         40
        .size:           8
        .value_kind:     by_value
      - .offset:         48
        .size:           8
        .value_kind:     by_value
      - .offset:         56
        .size:           8
        .value_kind:     by_value
      - .address_space:  global
        .offset:         64
        .size:           8
        .value_kind:     global_buffer
      - .offset:         72
        .size:           8
        .value_kind:     by_value
      - .offset:         80
        .size:           8
        .value_kind:     by_value
      - .offset:         88
        .size:           8
        .value_kind:     by_value
      - .offset:         96
        .size:           4
        .value_kind:     by_value
      - .offset:         100
        .size:           1
        .value_kind:     by_value
      - .offset:         104
        .size:           4
        .value_kind:     hidden_block_count_x
      - .offset:         108
        .size:           4
        .value_kind:     hidden_block_count_y
      - .offset:         112
        .size:           4
        .value_kind:     hidden_block_count_z
      - .offset:         116
        .size:           2
        .value_kind:     hidden_group_size_x
      - .offset:         118
        .size:           2
        .value_kind:     hidden_group_size_y
      - .offset:         120
        .size:           2
        .value_kind:     hidden_group_size_z
      - .offset:         122
        .size:           2
        .value_kind:     hidden_remainder_x
      - .offset:         124
        .size:           2
        .value_kind:     hidden_remainder_y
      - .offset:         126
        .size:           2
        .value_kind:     hidden_remainder_z
      - .offset:         144
        .size:           8
        .value_kind:     hidden_global_offset_x
      - .offset:         152
        .size:           8
        .value_kind:     hidden_global_offset_y
      - .offset:         160
        .size:           8
        .value_kind:     hidden_global_offset_z
      - .offset:         168
        .size:           2
        .value_kind:     hidden_grid_dims
      - .offset:         224
        .size:           4
        .value_kind:     hidden_dynamic_lds_size
    .group_segment_fixed_size: 0
    .kernarg_segment_align: 8
    .kernarg_segment_size: 360
    .language:       OpenCL C
    .language_version:
      - 2
      - 0
    .max_flat_workgroup_size: 1024
    .name:           _ZL39rocblas_trsm_block_forward_substitutionIffPKfPfLb1ELb1ELb1EEv18rocblas_operation_llT0_T1_lllT2_lllib
    .private_segment_fixed_size: 0
    .sgpr_count:     36
    .sgpr_spill_count: 0
    .symbol:         _ZL39rocblas_trsm_block_forward_substitutionIffPKfPfLb1ELb1ELb1EEv18rocblas_operation_llT0_T1_lllT2_lllib.kd
    .uniform_work_group_size: 1
    .uses_dynamic_stack: false
    .vgpr_count:     12
    .vgpr_spill_count: 0
    .wavefront_size: 64
  - .agpr_count:     0
    .args:
      - .offset:         0
        .size:           4
        .value_kind:     by_value
      - .offset:         8
        .size:           8
        .value_kind:     by_value
      - .offset:         16
        .size:           8
        .value_kind:     by_value
      - .offset:         24
        .size:           4
        .value_kind:     by_value
      - .address_space:  global
        .offset:         32
        .size:           8
        .value_kind:     global_buffer
      - .offset:         40
        .size:           8
        .value_kind:     by_value
      - .offset:         48
        .size:           8
        .value_kind:     by_value
      - .offset:         56
        .size:           8
        .value_kind:     by_value
      - .address_space:  global
        .offset:         64
        .size:           8
        .value_kind:     global_buffer
      - .offset:         72
        .size:           8
        .value_kind:     by_value
      - .offset:         80
        .size:           8
        .value_kind:     by_value
      - .offset:         88
        .size:           8
        .value_kind:     by_value
      - .offset:         96
        .size:           4
        .value_kind:     by_value
      - .offset:         100
        .size:           1
        .value_kind:     by_value
      - .offset:         104
        .size:           4
        .value_kind:     hidden_block_count_x
      - .offset:         108
        .size:           4
        .value_kind:     hidden_block_count_y
      - .offset:         112
        .size:           4
        .value_kind:     hidden_block_count_z
      - .offset:         116
        .size:           2
        .value_kind:     hidden_group_size_x
      - .offset:         118
        .size:           2
        .value_kind:     hidden_group_size_y
      - .offset:         120
        .size:           2
        .value_kind:     hidden_group_size_z
      - .offset:         122
        .size:           2
        .value_kind:     hidden_remainder_x
      - .offset:         124
        .size:           2
        .value_kind:     hidden_remainder_y
      - .offset:         126
        .size:           2
        .value_kind:     hidden_remainder_z
      - .offset:         144
        .size:           8
        .value_kind:     hidden_global_offset_x
      - .offset:         152
        .size:           8
        .value_kind:     hidden_global_offset_y
      - .offset:         160
        .size:           8
        .value_kind:     hidden_global_offset_z
      - .offset:         168
        .size:           2
        .value_kind:     hidden_grid_dims
      - .offset:         224
        .size:           4
        .value_kind:     hidden_dynamic_lds_size
    .group_segment_fixed_size: 0
    .kernarg_segment_align: 8
    .kernarg_segment_size: 360
    .language:       OpenCL C
    .language_version:
      - 2
      - 0
    .max_flat_workgroup_size: 1024
    .name:           _ZL40rocblas_trsm_block_backward_substitutionIffPKfPfLb1ELb1ELb1EEv18rocblas_operation_llT0_T1_lllT2_lllib
    .private_segment_fixed_size: 0
    .sgpr_count:     36
    .sgpr_spill_count: 0
    .symbol:         _ZL40rocblas_trsm_block_backward_substitutionIffPKfPfLb1ELb1ELb1EEv18rocblas_operation_llT0_T1_lllT2_lllib.kd
    .uniform_work_group_size: 1
    .uses_dynamic_stack: false
    .vgpr_count:     12
    .vgpr_spill_count: 0
    .wavefront_size: 64
  - .agpr_count:     0
    .args:
      - .offset:         0
        .size:           4
        .value_kind:     by_value
      - .offset:         8
        .size:           8
        .value_kind:     by_value
      - .offset:         16
        .size:           8
        .value_kind:     by_value
      - .offset:         24
        .size:           4
        .value_kind:     by_value
      - .address_space:  global
        .offset:         32
        .size:           8
        .value_kind:     global_buffer
      - .offset:         40
        .size:           8
        .value_kind:     by_value
      - .offset:         48
        .size:           8
        .value_kind:     by_value
      - .offset:         56
        .size:           8
        .value_kind:     by_value
      - .address_space:  global
        .offset:         64
        .size:           8
        .value_kind:     global_buffer
      - .offset:         72
        .size:           8
        .value_kind:     by_value
      - .offset:         80
        .size:           8
        .value_kind:     by_value
      - .offset:         88
        .size:           8
        .value_kind:     by_value
      - .offset:         96
        .size:           4
        .value_kind:     by_value
      - .offset:         100
        .size:           1
        .value_kind:     by_value
      - .offset:         104
        .size:           4
        .value_kind:     hidden_block_count_x
      - .offset:         108
        .size:           4
        .value_kind:     hidden_block_count_y
      - .offset:         112
        .size:           4
        .value_kind:     hidden_block_count_z
      - .offset:         116
        .size:           2
        .value_kind:     hidden_group_size_x
      - .offset:         118
        .size:           2
        .value_kind:     hidden_group_size_y
      - .offset:         120
        .size:           2
        .value_kind:     hidden_group_size_z
      - .offset:         122
        .size:           2
        .value_kind:     hidden_remainder_x
      - .offset:         124
        .size:           2
        .value_kind:     hidden_remainder_y
      - .offset:         126
        .size:           2
        .value_kind:     hidden_remainder_z
      - .offset:         144
        .size:           8
        .value_kind:     hidden_global_offset_x
      - .offset:         152
        .size:           8
        .value_kind:     hidden_global_offset_y
      - .offset:         160
        .size:           8
        .value_kind:     hidden_global_offset_z
      - .offset:         168
        .size:           2
        .value_kind:     hidden_grid_dims
      - .offset:         224
        .size:           4
        .value_kind:     hidden_dynamic_lds_size
    .group_segment_fixed_size: 0
    .kernarg_segment_align: 8
    .kernarg_segment_size: 360
    .language:       OpenCL C
    .language_version:
      - 2
      - 0
    .max_flat_workgroup_size: 1024
    .name:           _ZL39rocblas_trsm_block_forward_substitutionIffPKfPfLb1ELb0ELb0EEv18rocblas_operation_llT0_T1_lllT2_lllib
    .private_segment_fixed_size: 0
    .sgpr_count:     46
    .sgpr_spill_count: 0
    .symbol:         _ZL39rocblas_trsm_block_forward_substitutionIffPKfPfLb1ELb0ELb0EEv18rocblas_operation_llT0_T1_lllT2_lllib.kd
    .uniform_work_group_size: 1
    .uses_dynamic_stack: false
    .vgpr_count:     17
    .vgpr_spill_count: 0
    .wavefront_size: 64
  - .agpr_count:     0
    .args:
      - .offset:         0
        .size:           4
        .value_kind:     by_value
      - .offset:         8
        .size:           8
        .value_kind:     by_value
      - .offset:         16
        .size:           8
        .value_kind:     by_value
      - .offset:         24
        .size:           4
        .value_kind:     by_value
      - .address_space:  global
        .offset:         32
        .size:           8
        .value_kind:     global_buffer
      - .offset:         40
        .size:           8
        .value_kind:     by_value
      - .offset:         48
        .size:           8
        .value_kind:     by_value
      - .offset:         56
        .size:           8
        .value_kind:     by_value
      - .address_space:  global
        .offset:         64
        .size:           8
        .value_kind:     global_buffer
      - .offset:         72
        .size:           8
        .value_kind:     by_value
      - .offset:         80
        .size:           8
        .value_kind:     by_value
      - .offset:         88
        .size:           8
        .value_kind:     by_value
      - .offset:         96
        .size:           4
        .value_kind:     by_value
      - .offset:         100
        .size:           1
        .value_kind:     by_value
      - .offset:         104
        .size:           4
        .value_kind:     hidden_block_count_x
      - .offset:         108
        .size:           4
        .value_kind:     hidden_block_count_y
      - .offset:         112
        .size:           4
        .value_kind:     hidden_block_count_z
      - .offset:         116
        .size:           2
        .value_kind:     hidden_group_size_x
      - .offset:         118
        .size:           2
        .value_kind:     hidden_group_size_y
      - .offset:         120
        .size:           2
        .value_kind:     hidden_group_size_z
      - .offset:         122
        .size:           2
        .value_kind:     hidden_remainder_x
      - .offset:         124
        .size:           2
        .value_kind:     hidden_remainder_y
      - .offset:         126
        .size:           2
        .value_kind:     hidden_remainder_z
      - .offset:         144
        .size:           8
        .value_kind:     hidden_global_offset_x
      - .offset:         152
        .size:           8
        .value_kind:     hidden_global_offset_y
      - .offset:         160
        .size:           8
        .value_kind:     hidden_global_offset_z
      - .offset:         168
        .size:           2
        .value_kind:     hidden_grid_dims
      - .offset:         224
        .size:           4
        .value_kind:     hidden_dynamic_lds_size
    .group_segment_fixed_size: 0
    .kernarg_segment_align: 8
    .kernarg_segment_size: 360
    .language:       OpenCL C
    .language_version:
      - 2
      - 0
    .max_flat_workgroup_size: 1024
    .name:           _ZL40rocblas_trsm_block_backward_substitutionIffPKfPfLb1ELb0ELb0EEv18rocblas_operation_llT0_T1_lllT2_lllib
    .private_segment_fixed_size: 0
    .sgpr_count:     50
    .sgpr_spill_count: 0
    .symbol:         _ZL40rocblas_trsm_block_backward_substitutionIffPKfPfLb1ELb0ELb0EEv18rocblas_operation_llT0_T1_lllT2_lllib.kd
    .uniform_work_group_size: 1
    .uses_dynamic_stack: false
    .vgpr_count:     17
    .vgpr_spill_count: 0
    .wavefront_size: 64
  - .agpr_count:     0
    .args:
      - .offset:         0
        .size:           4
        .value_kind:     by_value
      - .offset:         8
        .size:           8
        .value_kind:     by_value
      - .offset:         16
        .size:           8
        .value_kind:     by_value
      - .offset:         24
        .size:           4
        .value_kind:     by_value
      - .address_space:  global
        .offset:         32
        .size:           8
        .value_kind:     global_buffer
      - .offset:         40
        .size:           8
        .value_kind:     by_value
      - .offset:         48
        .size:           8
        .value_kind:     by_value
      - .offset:         56
        .size:           8
        .value_kind:     by_value
      - .address_space:  global
        .offset:         64
        .size:           8
        .value_kind:     global_buffer
      - .offset:         72
        .size:           8
        .value_kind:     by_value
      - .offset:         80
        .size:           8
        .value_kind:     by_value
      - .offset:         88
        .size:           8
        .value_kind:     by_value
      - .offset:         96
        .size:           4
        .value_kind:     by_value
      - .offset:         100
        .size:           1
        .value_kind:     by_value
      - .offset:         104
        .size:           4
        .value_kind:     hidden_block_count_x
      - .offset:         108
        .size:           4
        .value_kind:     hidden_block_count_y
      - .offset:         112
        .size:           4
        .value_kind:     hidden_block_count_z
      - .offset:         116
        .size:           2
        .value_kind:     hidden_group_size_x
      - .offset:         118
        .size:           2
        .value_kind:     hidden_group_size_y
      - .offset:         120
        .size:           2
        .value_kind:     hidden_group_size_z
      - .offset:         122
        .size:           2
        .value_kind:     hidden_remainder_x
      - .offset:         124
        .size:           2
        .value_kind:     hidden_remainder_y
      - .offset:         126
        .size:           2
        .value_kind:     hidden_remainder_z
      - .offset:         144
        .size:           8
        .value_kind:     hidden_global_offset_x
      - .offset:         152
        .size:           8
        .value_kind:     hidden_global_offset_y
      - .offset:         160
        .size:           8
        .value_kind:     hidden_global_offset_z
      - .offset:         168
        .size:           2
        .value_kind:     hidden_grid_dims
      - .offset:         224
        .size:           4
        .value_kind:     hidden_dynamic_lds_size
    .group_segment_fixed_size: 0
    .kernarg_segment_align: 8
    .kernarg_segment_size: 360
    .language:       OpenCL C
    .language_version:
      - 2
      - 0
    .max_flat_workgroup_size: 1024
    .name:           _ZL39rocblas_trsm_block_forward_substitutionIffPKfPfLb1ELb0ELb1EEv18rocblas_operation_llT0_T1_lllT2_lllib
    .private_segment_fixed_size: 0
    .sgpr_count:     36
    .sgpr_spill_count: 0
    .symbol:         _ZL39rocblas_trsm_block_forward_substitutionIffPKfPfLb1ELb0ELb1EEv18rocblas_operation_llT0_T1_lllT2_lllib.kd
    .uniform_work_group_size: 1
    .uses_dynamic_stack: false
    .vgpr_count:     12
    .vgpr_spill_count: 0
    .wavefront_size: 64
  - .agpr_count:     0
    .args:
      - .offset:         0
        .size:           4
        .value_kind:     by_value
      - .offset:         8
        .size:           8
        .value_kind:     by_value
      - .offset:         16
        .size:           8
        .value_kind:     by_value
      - .offset:         24
        .size:           4
        .value_kind:     by_value
      - .address_space:  global
        .offset:         32
        .size:           8
        .value_kind:     global_buffer
      - .offset:         40
        .size:           8
        .value_kind:     by_value
      - .offset:         48
        .size:           8
        .value_kind:     by_value
      - .offset:         56
        .size:           8
        .value_kind:     by_value
      - .address_space:  global
        .offset:         64
        .size:           8
        .value_kind:     global_buffer
      - .offset:         72
        .size:           8
        .value_kind:     by_value
      - .offset:         80
        .size:           8
        .value_kind:     by_value
      - .offset:         88
        .size:           8
        .value_kind:     by_value
      - .offset:         96
        .size:           4
        .value_kind:     by_value
      - .offset:         100
        .size:           1
        .value_kind:     by_value
      - .offset:         104
        .size:           4
        .value_kind:     hidden_block_count_x
      - .offset:         108
        .size:           4
        .value_kind:     hidden_block_count_y
      - .offset:         112
        .size:           4
        .value_kind:     hidden_block_count_z
      - .offset:         116
        .size:           2
        .value_kind:     hidden_group_size_x
      - .offset:         118
        .size:           2
        .value_kind:     hidden_group_size_y
      - .offset:         120
        .size:           2
        .value_kind:     hidden_group_size_z
      - .offset:         122
        .size:           2
        .value_kind:     hidden_remainder_x
      - .offset:         124
        .size:           2
        .value_kind:     hidden_remainder_y
      - .offset:         126
        .size:           2
        .value_kind:     hidden_remainder_z
      - .offset:         144
        .size:           8
        .value_kind:     hidden_global_offset_x
      - .offset:         152
        .size:           8
        .value_kind:     hidden_global_offset_y
      - .offset:         160
        .size:           8
        .value_kind:     hidden_global_offset_z
      - .offset:         168
        .size:           2
        .value_kind:     hidden_grid_dims
      - .offset:         224
        .size:           4
        .value_kind:     hidden_dynamic_lds_size
    .group_segment_fixed_size: 0
    .kernarg_segment_align: 8
    .kernarg_segment_size: 360
    .language:       OpenCL C
    .language_version:
      - 2
      - 0
    .max_flat_workgroup_size: 1024
    .name:           _ZL40rocblas_trsm_block_backward_substitutionIffPKfPfLb1ELb0ELb1EEv18rocblas_operation_llT0_T1_lllT2_lllib
    .private_segment_fixed_size: 0
    .sgpr_count:     36
    .sgpr_spill_count: 0
    .symbol:         _ZL40rocblas_trsm_block_backward_substitutionIffPKfPfLb1ELb0ELb1EEv18rocblas_operation_llT0_T1_lllT2_lllib.kd
    .uniform_work_group_size: 1
    .uses_dynamic_stack: false
    .vgpr_count:     12
    .vgpr_spill_count: 0
    .wavefront_size: 64
  - .agpr_count:     0
    .args:
      - .address_space:  global
        .offset:         0
        .size:           8
        .value_kind:     global_buffer
      - .offset:         8
        .size:           8
        .value_kind:     by_value
      - .address_space:  global
        .offset:         16
        .size:           8
        .value_kind:     global_buffer
    .group_segment_fixed_size: 0
    .kernarg_segment_align: 8
    .kernarg_segment_size: 24
    .language:       OpenCL C
    .language_version:
      - 2
      - 0
    .max_flat_workgroup_size: 128
    .name:           _ZL26setup_batched_array_kernelILi128EfEvPT0_lPS1_
    .private_segment_fixed_size: 0
    .sgpr_count:     13
    .sgpr_spill_count: 0
    .symbol:         _ZL26setup_batched_array_kernelILi128EfEvPT0_lPS1_.kd
    .uniform_work_group_size: 1
    .uses_dynamic_stack: false
    .vgpr_count:     3
    .vgpr_spill_count: 0
    .wavefront_size: 64
  - .agpr_count:     0
    .args:
      - .offset:         0
        .size:           4
        .value_kind:     by_value
      - .offset:         4
        .size:           4
        .value_kind:     by_value
      - .address_space:  global
        .offset:         8
        .size:           8
        .value_kind:     global_buffer
      - .offset:         16
        .size:           8
        .value_kind:     by_value
      - .offset:         24
        .size:           4
        .value_kind:     by_value
      - .offset:         32
        .size:           8
        .value_kind:     by_value
      - .address_space:  global
        .offset:         40
        .size:           8
        .value_kind:     global_buffer
      - .offset:         48
        .size:           8
        .value_kind:     by_value
      - .offset:         56
        .size:           8
        .value_kind:     by_value
      - .offset:         64
        .size:           4
        .value_kind:     by_value
    .group_segment_fixed_size: 4096
    .kernarg_segment_align: 8
    .kernarg_segment_size: 68
    .language:       OpenCL C
    .language_version:
      - 2
      - 0
    .max_flat_workgroup_size: 256
    .name:           _ZL25rocblas_trtri_trsm_kernelILi128ELi16ELi8EfPKfPfEv13rocblas_fill_17rocblas_diagonal_T3_lilT4_lli
    .private_segment_fixed_size: 0
    .sgpr_count:     36
    .sgpr_spill_count: 0
    .symbol:         _ZL25rocblas_trtri_trsm_kernelILi128ELi16ELi8EfPKfPfEv13rocblas_fill_17rocblas_diagonal_T3_lilT4_lli.kd
    .uniform_work_group_size: 1
    .uses_dynamic_stack: false
    .vgpr_count:     28
    .vgpr_spill_count: 0
    .wavefront_size: 64
  - .agpr_count:     0
    .args:
      - .address_space:  global
        .offset:         0
        .size:           8
        .value_kind:     global_buffer
      - .offset:         8
        .size:           4
        .value_kind:     by_value
      - .offset:         12
        .size:           4
        .value_kind:     by_value
      - .offset:         16
        .size:           8
        .value_kind:     by_value
      - .offset:         24
        .size:           4
        .value_kind:     by_value
      - .offset:         32
        .size:           8
        .value_kind:     by_value
      - .address_space:  global
        .offset:         40
        .size:           8
        .value_kind:     global_buffer
      - .offset:         48
        .size:           8
        .value_kind:     by_value
      - .offset:         56
        .size:           8
        .value_kind:     by_value
      - .offset:         64
        .size:           4
        .value_kind:     by_value
      - .offset:         68
        .size:           4
        .value_kind:     by_value
      - .offset:         72
        .size:           4
        .value_kind:     hidden_block_count_x
      - .offset:         76
        .size:           4
        .value_kind:     hidden_block_count_y
      - .offset:         80
        .size:           4
        .value_kind:     hidden_block_count_z
      - .offset:         84
        .size:           2
        .value_kind:     hidden_group_size_x
      - .offset:         86
        .size:           2
        .value_kind:     hidden_group_size_y
      - .offset:         88
        .size:           2
        .value_kind:     hidden_group_size_z
      - .offset:         90
        .size:           2
        .value_kind:     hidden_remainder_x
      - .offset:         92
        .size:           2
        .value_kind:     hidden_remainder_y
      - .offset:         94
        .size:           2
        .value_kind:     hidden_remainder_z
      - .offset:         112
        .size:           8
        .value_kind:     hidden_global_offset_x
      - .offset:         120
        .size:           8
        .value_kind:     hidden_global_offset_y
      - .offset:         128
        .size:           8
        .value_kind:     hidden_global_offset_z
      - .offset:         136
        .size:           2
        .value_kind:     hidden_grid_dims
    .group_segment_fixed_size: 0
    .kernarg_segment_align: 8
    .kernarg_segment_size: 328
    .language:       OpenCL C
    .language_version:
      - 2
      - 0
    .max_flat_workgroup_size: 128
    .name:           _ZL18rocblas_trtri_fillILi128EfPfEvP15_rocblas_handle13rocblas_fill_ililT1_llii
    .private_segment_fixed_size: 0
    .sgpr_count:     32
    .sgpr_spill_count: 0
    .symbol:         _ZL18rocblas_trtri_fillILi128EfPfEvP15_rocblas_handle13rocblas_fill_ililT1_llii.kd
    .uniform_work_group_size: 1
    .uses_dynamic_stack: false
    .vgpr_count:     26
    .vgpr_spill_count: 0
    .wavefront_size: 64
  - .agpr_count:     0
    .args:
      - .offset:         0
        .size:           4
        .value_kind:     by_value
      - .offset:         4
        .size:           4
        .value_kind:     by_value
      - .offset:         8
        .size:           4
        .value_kind:     by_value
      - .address_space:  global
        .offset:         16
        .size:           8
        .value_kind:     global_buffer
      - .offset:         24
        .size:           4
        .value_kind:     by_value
      - .offset:         32
        .size:           8
        .value_kind:     by_value
      - .address_space:  global
        .offset:         40
        .size:           8
        .value_kind:     global_buffer
      - .offset:         48
        .size:           4
        .value_kind:     by_value
      - .offset:         56
        .size:           8
        .value_kind:     by_value
      - .offset:         64
        .size:           8
        .value_kind:     by_value
      - .offset:         72
        .size:           8
        .value_kind:     by_value
      - .offset:         80
        .size:           4
        .value_kind:     by_value
      - .offset:         88
        .size:           4
        .value_kind:     hidden_block_count_x
      - .offset:         92
        .size:           4
        .value_kind:     hidden_block_count_y
      - .offset:         96
        .size:           4
        .value_kind:     hidden_block_count_z
      - .offset:         100
        .size:           2
        .value_kind:     hidden_group_size_x
      - .offset:         102
        .size:           2
        .value_kind:     hidden_group_size_y
      - .offset:         104
        .size:           2
        .value_kind:     hidden_group_size_z
      - .offset:         106
        .size:           2
        .value_kind:     hidden_remainder_x
      - .offset:         108
        .size:           2
        .value_kind:     hidden_remainder_y
      - .offset:         110
        .size:           2
        .value_kind:     hidden_remainder_z
      - .offset:         128
        .size:           8
        .value_kind:     hidden_global_offset_x
      - .offset:         136
        .size:           8
        .value_kind:     hidden_global_offset_y
      - .offset:         144
        .size:           8
        .value_kind:     hidden_global_offset_z
      - .offset:         152
        .size:           2
        .value_kind:     hidden_grid_dims
    .group_segment_fixed_size: 0
    .kernarg_segment_align: 8
    .kernarg_segment_size: 344
    .language:       OpenCL C
    .language_version:
      - 2
      - 0
    .max_flat_workgroup_size: 1024
    .name:           _ZL24rocblas_copy_matrix_trsmILi128ELi8EfPKfPfEviiiT2_ilT3_illli
    .private_segment_fixed_size: 0
    .sgpr_count:     27
    .sgpr_spill_count: 0
    .symbol:         _ZL24rocblas_copy_matrix_trsmILi128ELi8EfPKfPfEviiiT2_ilT3_illli.kd
    .uniform_work_group_size: 1
    .uses_dynamic_stack: false
    .vgpr_count:     10
    .vgpr_spill_count: 0
    .wavefront_size: 64
  - .agpr_count:     0
    .args:
      - .offset:         0
        .size:           8
        .value_kind:     by_value
      - .offset:         8
        .size:           8
        .value_kind:     by_value
      - .offset:         16
        .size:           4
        .value_kind:     by_value
      - .address_space:  global
        .offset:         24
        .size:           8
        .value_kind:     global_buffer
      - .offset:         32
        .size:           8
        .value_kind:     by_value
      - .offset:         40
        .size:           8
        .value_kind:     by_value
      - .offset:         48
        .size:           8
        .value_kind:     by_value
      - .offset:         56
        .size:           8
        .value_kind:     by_value
      - .offset:         64
        .size:           4
        .value_kind:     by_value
    .group_segment_fixed_size: 0
    .kernarg_segment_align: 8
    .kernarg_segment_size: 68
    .language:       OpenCL C
    .language_version:
      - 2
      - 0
    .max_flat_workgroup_size: 1024
    .name:           _ZL23rocblas_set_matrix_trsmILi128ELi8EdPdEvlliT2_llT1_li
    .private_segment_fixed_size: 0
    .sgpr_count:     16
    .sgpr_spill_count: 0
    .symbol:         _ZL23rocblas_set_matrix_trsmILi128ELi8EdPdEvlliT2_llT1_li.kd
    .uniform_work_group_size: 1
    .uses_dynamic_stack: false
    .vgpr_count:     8
    .vgpr_spill_count: 0
    .wavefront_size: 64
  - .agpr_count:     0
    .args:
      - .offset:         0
        .size:           4
        .value_kind:     by_value
      - .offset:         4
        .size:           4
        .value_kind:     by_value
      - .offset:         8
        .size:           4
        .value_kind:     by_value
      - .offset:         12
        .size:           4
        .value_kind:     by_value
      - .offset:         16
        .size:           4
        .value_kind:     by_value
      - .offset:         24
        .size:           8
        .value_kind:     by_value
      - .address_space:  global
        .offset:         32
        .size:           8
        .value_kind:     global_buffer
      - .offset:         40
        .size:           8
        .value_kind:     by_value
      - .offset:         48
        .size:           4
        .value_kind:     by_value
      - .offset:         56
        .size:           8
        .value_kind:     by_value
      - .address_space:  global
        .offset:         64
        .size:           8
        .value_kind:     global_buffer
      - .offset:         72
        .size:           8
        .value_kind:     by_value
      - .offset:         80
        .size:           4
        .value_kind:     by_value
      - .offset:         88
        .size:           8
        .value_kind:     by_value
      - .offset:         96
        .size:           4
        .value_kind:     by_value
      - .offset:         104
        .size:           4
        .value_kind:     hidden_block_count_x
      - .offset:         108
        .size:           4
        .value_kind:     hidden_block_count_y
      - .offset:         112
        .size:           4
        .value_kind:     hidden_block_count_z
      - .offset:         116
        .size:           2
        .value_kind:     hidden_group_size_x
      - .offset:         118
        .size:           2
        .value_kind:     hidden_group_size_y
      - .offset:         120
        .size:           2
        .value_kind:     hidden_group_size_z
      - .offset:         122
        .size:           2
        .value_kind:     hidden_remainder_x
      - .offset:         124
        .size:           2
        .value_kind:     hidden_remainder_y
      - .offset:         126
        .size:           2
        .value_kind:     hidden_remainder_z
      - .offset:         144
        .size:           8
        .value_kind:     hidden_global_offset_x
      - .offset:         152
        .size:           8
        .value_kind:     hidden_global_offset_y
      - .offset:         160
        .size:           8
        .value_kind:     hidden_global_offset_z
      - .offset:         168
        .size:           2
        .value_kind:     hidden_grid_dims
    .group_segment_fixed_size: 256
    .kernarg_segment_align: 8
    .kernarg_segment_size: 360
    .language:       OpenCL C
    .language_version:
      - 2
      - 0
    .max_flat_workgroup_size: 4
    .name:           _ZL38rocblas_trsm_small_left_device_sharedBILi4ELi4ELb0EddPKdPdEv13rocblas_fill_18rocblas_operation_17rocblas_diagonal_iiT3_T4_lilT5_lili
    .private_segment_fixed_size: 0
    .sgpr_count:     41
    .sgpr_spill_count: 0
    .symbol:         _ZL38rocblas_trsm_small_left_device_sharedBILi4ELi4ELb0EddPKdPdEv13rocblas_fill_18rocblas_operation_17rocblas_diagonal_iiT3_T4_lilT5_lili.kd
    .uniform_work_group_size: 1
    .uses_dynamic_stack: false
    .vgpr_count:     25
    .vgpr_spill_count: 0
    .wavefront_size: 64
  - .agpr_count:     0
    .args:
      - .offset:         0
        .size:           4
        .value_kind:     by_value
      - .offset:         4
        .size:           4
        .value_kind:     by_value
      - .offset:         8
        .size:           4
        .value_kind:     by_value
      - .offset:         12
        .size:           4
        .value_kind:     by_value
      - .offset:         16
        .size:           4
        .value_kind:     by_value
      - .offset:         24
        .size:           8
        .value_kind:     by_value
      - .address_space:  global
        .offset:         32
        .size:           8
        .value_kind:     global_buffer
      - .offset:         40
        .size:           8
        .value_kind:     by_value
      - .offset:         48
        .size:           4
        .value_kind:     by_value
      - .offset:         56
        .size:           8
        .value_kind:     by_value
      - .address_space:  global
        .offset:         64
        .size:           8
        .value_kind:     global_buffer
      - .offset:         72
        .size:           8
        .value_kind:     by_value
      - .offset:         80
        .size:           4
        .value_kind:     by_value
      - .offset:         88
        .size:           8
        .value_kind:     by_value
      - .offset:         96
        .size:           4
        .value_kind:     by_value
      - .offset:         104
        .size:           4
        .value_kind:     hidden_block_count_x
      - .offset:         108
        .size:           4
        .value_kind:     hidden_block_count_y
      - .offset:         112
        .size:           4
        .value_kind:     hidden_block_count_z
      - .offset:         116
        .size:           2
        .value_kind:     hidden_group_size_x
      - .offset:         118
        .size:           2
        .value_kind:     hidden_group_size_y
      - .offset:         120
        .size:           2
        .value_kind:     hidden_group_size_z
      - .offset:         122
        .size:           2
        .value_kind:     hidden_remainder_x
      - .offset:         124
        .size:           2
        .value_kind:     hidden_remainder_y
      - .offset:         126
        .size:           2
        .value_kind:     hidden_remainder_z
      - .offset:         144
        .size:           8
        .value_kind:     hidden_global_offset_x
      - .offset:         152
        .size:           8
        .value_kind:     hidden_global_offset_y
      - .offset:         160
        .size:           8
        .value_kind:     hidden_global_offset_z
      - .offset:         168
        .size:           2
        .value_kind:     hidden_grid_dims
    .group_segment_fixed_size: 128
    .kernarg_segment_align: 8
    .kernarg_segment_size: 360
    .language:       OpenCL C
    .language_version:
      - 2
      - 0
    .max_flat_workgroup_size: 4
    .name:           _ZL30rocblas_trsm_small_left_deviceILi4ELi4ELb0EddPKdPdEv13rocblas_fill_18rocblas_operation_17rocblas_diagonal_iiT3_T4_lilT5_lili
    .private_segment_fixed_size: 0
    .sgpr_count:     41
    .sgpr_spill_count: 0
    .symbol:         _ZL30rocblas_trsm_small_left_deviceILi4ELi4ELb0EddPKdPdEv13rocblas_fill_18rocblas_operation_17rocblas_diagonal_iiT3_T4_lilT5_lili.kd
    .uniform_work_group_size: 1
    .uses_dynamic_stack: false
    .vgpr_count:     36
    .vgpr_spill_count: 0
    .wavefront_size: 64
  - .agpr_count:     0
    .args:
      - .offset:         0
        .size:           4
        .value_kind:     by_value
      - .offset:         4
        .size:           4
        .value_kind:     by_value
      - .offset:         8
        .size:           4
        .value_kind:     by_value
      - .offset:         12
        .size:           4
        .value_kind:     by_value
      - .offset:         16
        .size:           4
        .value_kind:     by_value
      - .offset:         24
        .size:           8
        .value_kind:     by_value
      - .address_space:  global
        .offset:         32
        .size:           8
        .value_kind:     global_buffer
      - .offset:         40
        .size:           8
        .value_kind:     by_value
      - .offset:         48
        .size:           4
        .value_kind:     by_value
      - .offset:         56
        .size:           8
        .value_kind:     by_value
      - .address_space:  global
        .offset:         64
        .size:           8
        .value_kind:     global_buffer
      - .offset:         72
        .size:           8
        .value_kind:     by_value
      - .offset:         80
        .size:           4
        .value_kind:     by_value
      - .offset:         88
        .size:           8
        .value_kind:     by_value
      - .offset:         96
        .size:           4
        .value_kind:     by_value
      - .offset:         104
        .size:           4
        .value_kind:     hidden_block_count_x
      - .offset:         108
        .size:           4
        .value_kind:     hidden_block_count_y
      - .offset:         112
        .size:           4
        .value_kind:     hidden_block_count_z
      - .offset:         116
        .size:           2
        .value_kind:     hidden_group_size_x
      - .offset:         118
        .size:           2
        .value_kind:     hidden_group_size_y
      - .offset:         120
        .size:           2
        .value_kind:     hidden_group_size_z
      - .offset:         122
        .size:           2
        .value_kind:     hidden_remainder_x
      - .offset:         124
        .size:           2
        .value_kind:     hidden_remainder_y
      - .offset:         126
        .size:           2
        .value_kind:     hidden_remainder_z
      - .offset:         144
        .size:           8
        .value_kind:     hidden_global_offset_x
      - .offset:         152
        .size:           8
        .value_kind:     hidden_global_offset_y
      - .offset:         160
        .size:           8
        .value_kind:     hidden_global_offset_z
      - .offset:         168
        .size:           2
        .value_kind:     hidden_grid_dims
    .group_segment_fixed_size: 256
    .kernarg_segment_align: 8
    .kernarg_segment_size: 360
    .language:       OpenCL C
    .language_version:
      - 2
      - 0
    .max_flat_workgroup_size: 4
    .name:           _ZL38rocblas_trsm_small_left_device_sharedBILi4ELi4ELb1EddPKdPdEv13rocblas_fill_18rocblas_operation_17rocblas_diagonal_iiT3_T4_lilT5_lili
    .private_segment_fixed_size: 0
    .sgpr_count:     41
    .sgpr_spill_count: 0
    .symbol:         _ZL38rocblas_trsm_small_left_device_sharedBILi4ELi4ELb1EddPKdPdEv13rocblas_fill_18rocblas_operation_17rocblas_diagonal_iiT3_T4_lilT5_lili.kd
    .uniform_work_group_size: 1
    .uses_dynamic_stack: false
    .vgpr_count:     27
    .vgpr_spill_count: 0
    .wavefront_size: 64
  - .agpr_count:     0
    .args:
      - .offset:         0
        .size:           4
        .value_kind:     by_value
      - .offset:         4
        .size:           4
        .value_kind:     by_value
      - .offset:         8
        .size:           4
        .value_kind:     by_value
      - .offset:         12
        .size:           4
        .value_kind:     by_value
      - .offset:         16
        .size:           4
        .value_kind:     by_value
      - .offset:         24
        .size:           8
        .value_kind:     by_value
      - .address_space:  global
        .offset:         32
        .size:           8
        .value_kind:     global_buffer
      - .offset:         40
        .size:           8
        .value_kind:     by_value
      - .offset:         48
        .size:           4
        .value_kind:     by_value
      - .offset:         56
        .size:           8
        .value_kind:     by_value
      - .address_space:  global
        .offset:         64
        .size:           8
        .value_kind:     global_buffer
      - .offset:         72
        .size:           8
        .value_kind:     by_value
      - .offset:         80
        .size:           4
        .value_kind:     by_value
      - .offset:         88
        .size:           8
        .value_kind:     by_value
      - .offset:         96
        .size:           4
        .value_kind:     by_value
      - .offset:         104
        .size:           4
        .value_kind:     hidden_block_count_x
      - .offset:         108
        .size:           4
        .value_kind:     hidden_block_count_y
      - .offset:         112
        .size:           4
        .value_kind:     hidden_block_count_z
      - .offset:         116
        .size:           2
        .value_kind:     hidden_group_size_x
      - .offset:         118
        .size:           2
        .value_kind:     hidden_group_size_y
      - .offset:         120
        .size:           2
        .value_kind:     hidden_group_size_z
      - .offset:         122
        .size:           2
        .value_kind:     hidden_remainder_x
      - .offset:         124
        .size:           2
        .value_kind:     hidden_remainder_y
      - .offset:         126
        .size:           2
        .value_kind:     hidden_remainder_z
      - .offset:         144
        .size:           8
        .value_kind:     hidden_global_offset_x
      - .offset:         152
        .size:           8
        .value_kind:     hidden_global_offset_y
      - .offset:         160
        .size:           8
        .value_kind:     hidden_global_offset_z
      - .offset:         168
        .size:           2
        .value_kind:     hidden_grid_dims
    .group_segment_fixed_size: 128
    .kernarg_segment_align: 8
    .kernarg_segment_size: 360
    .language:       OpenCL C
    .language_version:
      - 2
      - 0
    .max_flat_workgroup_size: 4
    .name:           _ZL30rocblas_trsm_small_left_deviceILi4ELi4ELb1EddPKdPdEv13rocblas_fill_18rocblas_operation_17rocblas_diagonal_iiT3_T4_lilT5_lili
    .private_segment_fixed_size: 0
    .sgpr_count:     41
    .sgpr_spill_count: 0
    .symbol:         _ZL30rocblas_trsm_small_left_deviceILi4ELi4ELb1EddPKdPdEv13rocblas_fill_18rocblas_operation_17rocblas_diagonal_iiT3_T4_lilT5_lili.kd
    .uniform_work_group_size: 1
    .uses_dynamic_stack: false
    .vgpr_count:     36
    .vgpr_spill_count: 0
    .wavefront_size: 64
  - .agpr_count:     0
    .args:
      - .offset:         0
        .size:           4
        .value_kind:     by_value
      - .offset:         4
        .size:           4
        .value_kind:     by_value
      - .offset:         8
        .size:           4
        .value_kind:     by_value
      - .offset:         12
        .size:           4
        .value_kind:     by_value
      - .offset:         16
        .size:           4
        .value_kind:     by_value
      - .offset:         24
        .size:           8
        .value_kind:     by_value
      - .address_space:  global
        .offset:         32
        .size:           8
        .value_kind:     global_buffer
      - .offset:         40
        .size:           8
        .value_kind:     by_value
      - .offset:         48
        .size:           4
        .value_kind:     by_value
      - .offset:         56
        .size:           8
        .value_kind:     by_value
      - .address_space:  global
        .offset:         64
        .size:           8
        .value_kind:     global_buffer
      - .offset:         72
        .size:           8
        .value_kind:     by_value
      - .offset:         80
        .size:           4
        .value_kind:     by_value
      - .offset:         88
        .size:           8
        .value_kind:     by_value
      - .offset:         96
        .size:           4
        .value_kind:     by_value
      - .offset:         104
        .size:           4
        .value_kind:     hidden_block_count_x
      - .offset:         108
        .size:           4
        .value_kind:     hidden_block_count_y
      - .offset:         112
        .size:           4
        .value_kind:     hidden_block_count_z
      - .offset:         116
        .size:           2
        .value_kind:     hidden_group_size_x
      - .offset:         118
        .size:           2
        .value_kind:     hidden_group_size_y
      - .offset:         120
        .size:           2
        .value_kind:     hidden_group_size_z
      - .offset:         122
        .size:           2
        .value_kind:     hidden_remainder_x
      - .offset:         124
        .size:           2
        .value_kind:     hidden_remainder_y
      - .offset:         126
        .size:           2
        .value_kind:     hidden_remainder_z
      - .offset:         144
        .size:           8
        .value_kind:     hidden_global_offset_x
      - .offset:         152
        .size:           8
        .value_kind:     hidden_global_offset_y
      - .offset:         160
        .size:           8
        .value_kind:     hidden_global_offset_z
      - .offset:         168
        .size:           2
        .value_kind:     hidden_grid_dims
    .group_segment_fixed_size: 256
    .kernarg_segment_align: 8
    .kernarg_segment_size: 360
    .language:       OpenCL C
    .language_version:
      - 2
      - 0
    .max_flat_workgroup_size: 4
    .name:           _ZL31rocblas_trsm_small_right_deviceIddPKdPdLi4EEv13rocblas_fill_18rocblas_operation_17rocblas_diagonal_iiT0_T1_lilT2_lili
    .private_segment_fixed_size: 0
    .sgpr_count:     42
    .sgpr_spill_count: 0
    .symbol:         _ZL31rocblas_trsm_small_right_deviceIddPKdPdLi4EEv13rocblas_fill_18rocblas_operation_17rocblas_diagonal_iiT0_T1_lilT2_lili.kd
    .uniform_work_group_size: 1
    .uses_dynamic_stack: false
    .vgpr_count:     31
    .vgpr_spill_count: 0
    .wavefront_size: 64
  - .agpr_count:     0
    .args:
      - .offset:         0
        .size:           4
        .value_kind:     by_value
      - .offset:         4
        .size:           4
        .value_kind:     by_value
      - .offset:         8
        .size:           4
        .value_kind:     by_value
      - .offset:         12
        .size:           4
        .value_kind:     by_value
      - .offset:         16
        .size:           4
        .value_kind:     by_value
      - .offset:         24
        .size:           8
        .value_kind:     by_value
      - .address_space:  global
        .offset:         32
        .size:           8
        .value_kind:     global_buffer
      - .offset:         40
        .size:           8
        .value_kind:     by_value
      - .offset:         48
        .size:           4
        .value_kind:     by_value
      - .offset:         56
        .size:           8
        .value_kind:     by_value
      - .address_space:  global
        .offset:         64
        .size:           8
        .value_kind:     global_buffer
      - .offset:         72
        .size:           8
        .value_kind:     by_value
      - .offset:         80
        .size:           4
        .value_kind:     by_value
      - .offset:         88
        .size:           8
        .value_kind:     by_value
      - .offset:         96
        .size:           4
        .value_kind:     by_value
      - .offset:         104
        .size:           4
        .value_kind:     hidden_block_count_x
      - .offset:         108
        .size:           4
        .value_kind:     hidden_block_count_y
      - .offset:         112
        .size:           4
        .value_kind:     hidden_block_count_z
      - .offset:         116
        .size:           2
        .value_kind:     hidden_group_size_x
      - .offset:         118
        .size:           2
        .value_kind:     hidden_group_size_y
      - .offset:         120
        .size:           2
        .value_kind:     hidden_group_size_z
      - .offset:         122
        .size:           2
        .value_kind:     hidden_remainder_x
      - .offset:         124
        .size:           2
        .value_kind:     hidden_remainder_y
      - .offset:         126
        .size:           2
        .value_kind:     hidden_remainder_z
      - .offset:         144
        .size:           8
        .value_kind:     hidden_global_offset_x
      - .offset:         152
        .size:           8
        .value_kind:     hidden_global_offset_y
      - .offset:         160
        .size:           8
        .value_kind:     hidden_global_offset_z
      - .offset:         168
        .size:           2
        .value_kind:     hidden_grid_dims
    .group_segment_fixed_size: 1024
    .kernarg_segment_align: 8
    .kernarg_segment_size: 360
    .language:       OpenCL C
    .language_version:
      - 2
      - 0
    .max_flat_workgroup_size: 8
    .name:           _ZL38rocblas_trsm_small_left_device_sharedBILi8ELi8ELb0EddPKdPdEv13rocblas_fill_18rocblas_operation_17rocblas_diagonal_iiT3_T4_lilT5_lili
    .private_segment_fixed_size: 0
    .sgpr_count:     41
    .sgpr_spill_count: 0
    .symbol:         _ZL38rocblas_trsm_small_left_device_sharedBILi8ELi8ELb0EddPKdPdEv13rocblas_fill_18rocblas_operation_17rocblas_diagonal_iiT3_T4_lilT5_lili.kd
    .uniform_work_group_size: 1
    .uses_dynamic_stack: false
    .vgpr_count:     54
    .vgpr_spill_count: 0
    .wavefront_size: 64
  - .agpr_count:     0
    .args:
      - .offset:         0
        .size:           4
        .value_kind:     by_value
      - .offset:         4
        .size:           4
        .value_kind:     by_value
      - .offset:         8
        .size:           4
        .value_kind:     by_value
      - .offset:         12
        .size:           4
        .value_kind:     by_value
      - .offset:         16
        .size:           4
        .value_kind:     by_value
      - .offset:         24
        .size:           8
        .value_kind:     by_value
      - .address_space:  global
        .offset:         32
        .size:           8
        .value_kind:     global_buffer
      - .offset:         40
        .size:           8
        .value_kind:     by_value
      - .offset:         48
        .size:           4
        .value_kind:     by_value
      - .offset:         56
        .size:           8
        .value_kind:     by_value
      - .address_space:  global
        .offset:         64
        .size:           8
        .value_kind:     global_buffer
      - .offset:         72
        .size:           8
        .value_kind:     by_value
      - .offset:         80
        .size:           4
        .value_kind:     by_value
      - .offset:         88
        .size:           8
        .value_kind:     by_value
      - .offset:         96
        .size:           4
        .value_kind:     by_value
      - .offset:         104
        .size:           4
        .value_kind:     hidden_block_count_x
      - .offset:         108
        .size:           4
        .value_kind:     hidden_block_count_y
      - .offset:         112
        .size:           4
        .value_kind:     hidden_block_count_z
      - .offset:         116
        .size:           2
        .value_kind:     hidden_group_size_x
      - .offset:         118
        .size:           2
        .value_kind:     hidden_group_size_y
      - .offset:         120
        .size:           2
        .value_kind:     hidden_group_size_z
      - .offset:         122
        .size:           2
        .value_kind:     hidden_remainder_x
      - .offset:         124
        .size:           2
        .value_kind:     hidden_remainder_y
      - .offset:         126
        .size:           2
        .value_kind:     hidden_remainder_z
      - .offset:         144
        .size:           8
        .value_kind:     hidden_global_offset_x
      - .offset:         152
        .size:           8
        .value_kind:     hidden_global_offset_y
      - .offset:         160
        .size:           8
        .value_kind:     hidden_global_offset_z
      - .offset:         168
        .size:           2
        .value_kind:     hidden_grid_dims
    .group_segment_fixed_size: 512
    .kernarg_segment_align: 8
    .kernarg_segment_size: 360
    .language:       OpenCL C
    .language_version:
      - 2
      - 0
    .max_flat_workgroup_size: 8
    .name:           _ZL30rocblas_trsm_small_left_deviceILi8ELi8ELb0EddPKdPdEv13rocblas_fill_18rocblas_operation_17rocblas_diagonal_iiT3_T4_lilT5_lili
    .private_segment_fixed_size: 0
    .sgpr_count:     41
    .sgpr_spill_count: 0
    .symbol:         _ZL30rocblas_trsm_small_left_deviceILi8ELi8ELb0EddPKdPdEv13rocblas_fill_18rocblas_operation_17rocblas_diagonal_iiT3_T4_lilT5_lili.kd
    .uniform_work_group_size: 1
    .uses_dynamic_stack: false
    .vgpr_count:     60
    .vgpr_spill_count: 0
    .wavefront_size: 64
  - .agpr_count:     0
    .args:
      - .offset:         0
        .size:           4
        .value_kind:     by_value
      - .offset:         4
        .size:           4
        .value_kind:     by_value
      - .offset:         8
        .size:           4
        .value_kind:     by_value
      - .offset:         12
        .size:           4
        .value_kind:     by_value
      - .offset:         16
        .size:           4
        .value_kind:     by_value
      - .offset:         24
        .size:           8
        .value_kind:     by_value
      - .address_space:  global
        .offset:         32
        .size:           8
        .value_kind:     global_buffer
      - .offset:         40
        .size:           8
        .value_kind:     by_value
      - .offset:         48
        .size:           4
        .value_kind:     by_value
      - .offset:         56
        .size:           8
        .value_kind:     by_value
      - .address_space:  global
        .offset:         64
        .size:           8
        .value_kind:     global_buffer
      - .offset:         72
        .size:           8
        .value_kind:     by_value
      - .offset:         80
        .size:           4
        .value_kind:     by_value
      - .offset:         88
        .size:           8
        .value_kind:     by_value
      - .offset:         96
        .size:           4
        .value_kind:     by_value
      - .offset:         104
        .size:           4
        .value_kind:     hidden_block_count_x
      - .offset:         108
        .size:           4
        .value_kind:     hidden_block_count_y
      - .offset:         112
        .size:           4
        .value_kind:     hidden_block_count_z
      - .offset:         116
        .size:           2
        .value_kind:     hidden_group_size_x
      - .offset:         118
        .size:           2
        .value_kind:     hidden_group_size_y
      - .offset:         120
        .size:           2
        .value_kind:     hidden_group_size_z
      - .offset:         122
        .size:           2
        .value_kind:     hidden_remainder_x
      - .offset:         124
        .size:           2
        .value_kind:     hidden_remainder_y
      - .offset:         126
        .size:           2
        .value_kind:     hidden_remainder_z
      - .offset:         144
        .size:           8
        .value_kind:     hidden_global_offset_x
      - .offset:         152
        .size:           8
        .value_kind:     hidden_global_offset_y
      - .offset:         160
        .size:           8
        .value_kind:     hidden_global_offset_z
      - .offset:         168
        .size:           2
        .value_kind:     hidden_grid_dims
    .group_segment_fixed_size: 1024
    .kernarg_segment_align: 8
    .kernarg_segment_size: 360
    .language:       OpenCL C
    .language_version:
      - 2
      - 0
    .max_flat_workgroup_size: 8
    .name:           _ZL38rocblas_trsm_small_left_device_sharedBILi8ELi8ELb1EddPKdPdEv13rocblas_fill_18rocblas_operation_17rocblas_diagonal_iiT3_T4_lilT5_lili
    .private_segment_fixed_size: 0
    .sgpr_count:     41
    .sgpr_spill_count: 0
    .symbol:         _ZL38rocblas_trsm_small_left_device_sharedBILi8ELi8ELb1EddPKdPdEv13rocblas_fill_18rocblas_operation_17rocblas_diagonal_iiT3_T4_lilT5_lili.kd
    .uniform_work_group_size: 1
    .uses_dynamic_stack: false
    .vgpr_count:     54
    .vgpr_spill_count: 0
    .wavefront_size: 64
  - .agpr_count:     0
    .args:
      - .offset:         0
        .size:           4
        .value_kind:     by_value
      - .offset:         4
        .size:           4
        .value_kind:     by_value
      - .offset:         8
        .size:           4
        .value_kind:     by_value
      - .offset:         12
        .size:           4
        .value_kind:     by_value
      - .offset:         16
        .size:           4
        .value_kind:     by_value
      - .offset:         24
        .size:           8
        .value_kind:     by_value
      - .address_space:  global
        .offset:         32
        .size:           8
        .value_kind:     global_buffer
      - .offset:         40
        .size:           8
        .value_kind:     by_value
      - .offset:         48
        .size:           4
        .value_kind:     by_value
      - .offset:         56
        .size:           8
        .value_kind:     by_value
      - .address_space:  global
        .offset:         64
        .size:           8
        .value_kind:     global_buffer
      - .offset:         72
        .size:           8
        .value_kind:     by_value
      - .offset:         80
        .size:           4
        .value_kind:     by_value
      - .offset:         88
        .size:           8
        .value_kind:     by_value
      - .offset:         96
        .size:           4
        .value_kind:     by_value
      - .offset:         104
        .size:           4
        .value_kind:     hidden_block_count_x
      - .offset:         108
        .size:           4
        .value_kind:     hidden_block_count_y
      - .offset:         112
        .size:           4
        .value_kind:     hidden_block_count_z
      - .offset:         116
        .size:           2
        .value_kind:     hidden_group_size_x
      - .offset:         118
        .size:           2
        .value_kind:     hidden_group_size_y
      - .offset:         120
        .size:           2
        .value_kind:     hidden_group_size_z
      - .offset:         122
        .size:           2
        .value_kind:     hidden_remainder_x
      - .offset:         124
        .size:           2
        .value_kind:     hidden_remainder_y
      - .offset:         126
        .size:           2
        .value_kind:     hidden_remainder_z
      - .offset:         144
        .size:           8
        .value_kind:     hidden_global_offset_x
      - .offset:         152
        .size:           8
        .value_kind:     hidden_global_offset_y
      - .offset:         160
        .size:           8
        .value_kind:     hidden_global_offset_z
      - .offset:         168
        .size:           2
        .value_kind:     hidden_grid_dims
    .group_segment_fixed_size: 512
    .kernarg_segment_align: 8
    .kernarg_segment_size: 360
    .language:       OpenCL C
    .language_version:
      - 2
      - 0
    .max_flat_workgroup_size: 8
    .name:           _ZL30rocblas_trsm_small_left_deviceILi8ELi8ELb1EddPKdPdEv13rocblas_fill_18rocblas_operation_17rocblas_diagonal_iiT3_T4_lilT5_lili
    .private_segment_fixed_size: 0
    .sgpr_count:     41
    .sgpr_spill_count: 0
    .symbol:         _ZL30rocblas_trsm_small_left_deviceILi8ELi8ELb1EddPKdPdEv13rocblas_fill_18rocblas_operation_17rocblas_diagonal_iiT3_T4_lilT5_lili.kd
    .uniform_work_group_size: 1
    .uses_dynamic_stack: false
    .vgpr_count:     65
    .vgpr_spill_count: 0
    .wavefront_size: 64
  - .agpr_count:     0
    .args:
      - .offset:         0
        .size:           4
        .value_kind:     by_value
      - .offset:         4
        .size:           4
        .value_kind:     by_value
      - .offset:         8
        .size:           4
        .value_kind:     by_value
      - .offset:         12
        .size:           4
        .value_kind:     by_value
      - .offset:         16
        .size:           4
        .value_kind:     by_value
      - .offset:         24
        .size:           8
        .value_kind:     by_value
      - .address_space:  global
        .offset:         32
        .size:           8
        .value_kind:     global_buffer
      - .offset:         40
        .size:           8
        .value_kind:     by_value
      - .offset:         48
        .size:           4
        .value_kind:     by_value
      - .offset:         56
        .size:           8
        .value_kind:     by_value
      - .address_space:  global
        .offset:         64
        .size:           8
        .value_kind:     global_buffer
      - .offset:         72
        .size:           8
        .value_kind:     by_value
      - .offset:         80
        .size:           4
        .value_kind:     by_value
      - .offset:         88
        .size:           8
        .value_kind:     by_value
      - .offset:         96
        .size:           4
        .value_kind:     by_value
      - .offset:         104
        .size:           4
        .value_kind:     hidden_block_count_x
      - .offset:         108
        .size:           4
        .value_kind:     hidden_block_count_y
      - .offset:         112
        .size:           4
        .value_kind:     hidden_block_count_z
      - .offset:         116
        .size:           2
        .value_kind:     hidden_group_size_x
      - .offset:         118
        .size:           2
        .value_kind:     hidden_group_size_y
      - .offset:         120
        .size:           2
        .value_kind:     hidden_group_size_z
      - .offset:         122
        .size:           2
        .value_kind:     hidden_remainder_x
      - .offset:         124
        .size:           2
        .value_kind:     hidden_remainder_y
      - .offset:         126
        .size:           2
        .value_kind:     hidden_remainder_z
      - .offset:         144
        .size:           8
        .value_kind:     hidden_global_offset_x
      - .offset:         152
        .size:           8
        .value_kind:     hidden_global_offset_y
      - .offset:         160
        .size:           8
        .value_kind:     hidden_global_offset_z
      - .offset:         168
        .size:           2
        .value_kind:     hidden_grid_dims
    .group_segment_fixed_size: 1024
    .kernarg_segment_align: 8
    .kernarg_segment_size: 360
    .language:       OpenCL C
    .language_version:
      - 2
      - 0
    .max_flat_workgroup_size: 8
    .name:           _ZL31rocblas_trsm_small_right_deviceIddPKdPdLi8EEv13rocblas_fill_18rocblas_operation_17rocblas_diagonal_iiT0_T1_lilT2_lili
    .private_segment_fixed_size: 0
    .sgpr_count:     42
    .sgpr_spill_count: 0
    .symbol:         _ZL31rocblas_trsm_small_right_deviceIddPKdPdLi8EEv13rocblas_fill_18rocblas_operation_17rocblas_diagonal_iiT0_T1_lilT2_lili.kd
    .uniform_work_group_size: 1
    .uses_dynamic_stack: false
    .vgpr_count:     56
    .vgpr_spill_count: 0
    .wavefront_size: 64
  - .agpr_count:     0
    .args:
      - .offset:         0
        .size:           4
        .value_kind:     by_value
      - .offset:         4
        .size:           4
        .value_kind:     by_value
      - .offset:         8
        .size:           4
        .value_kind:     by_value
      - .offset:         12
        .size:           4
        .value_kind:     by_value
      - .offset:         16
        .size:           4
        .value_kind:     by_value
      - .offset:         24
        .size:           8
        .value_kind:     by_value
      - .address_space:  global
        .offset:         32
        .size:           8
        .value_kind:     global_buffer
      - .offset:         40
        .size:           8
        .value_kind:     by_value
      - .offset:         48
        .size:           4
        .value_kind:     by_value
      - .offset:         56
        .size:           8
        .value_kind:     by_value
      - .address_space:  global
        .offset:         64
        .size:           8
        .value_kind:     global_buffer
      - .offset:         72
        .size:           8
        .value_kind:     by_value
      - .offset:         80
        .size:           4
        .value_kind:     by_value
      - .offset:         88
        .size:           8
        .value_kind:     by_value
      - .offset:         96
        .size:           4
        .value_kind:     by_value
      - .offset:         104
        .size:           4
        .value_kind:     hidden_block_count_x
      - .offset:         108
        .size:           4
        .value_kind:     hidden_block_count_y
      - .offset:         112
        .size:           4
        .value_kind:     hidden_block_count_z
      - .offset:         116
        .size:           2
        .value_kind:     hidden_group_size_x
      - .offset:         118
        .size:           2
        .value_kind:     hidden_group_size_y
      - .offset:         120
        .size:           2
        .value_kind:     hidden_group_size_z
      - .offset:         122
        .size:           2
        .value_kind:     hidden_remainder_x
      - .offset:         124
        .size:           2
        .value_kind:     hidden_remainder_y
      - .offset:         126
        .size:           2
        .value_kind:     hidden_remainder_z
      - .offset:         144
        .size:           8
        .value_kind:     hidden_global_offset_x
      - .offset:         152
        .size:           8
        .value_kind:     hidden_global_offset_y
      - .offset:         160
        .size:           8
        .value_kind:     hidden_global_offset_z
      - .offset:         168
        .size:           2
        .value_kind:     hidden_grid_dims
    .group_segment_fixed_size: 2304
    .kernarg_segment_align: 8
    .kernarg_segment_size: 360
    .language:       OpenCL C
    .language_version:
      - 2
      - 0
    .max_flat_workgroup_size: 12
    .name:           _ZL38rocblas_trsm_small_left_device_sharedBILi12ELi12ELb0EddPKdPdEv13rocblas_fill_18rocblas_operation_17rocblas_diagonal_iiT3_T4_lilT5_lili
    .private_segment_fixed_size: 0
    .sgpr_count:     41
    .sgpr_spill_count: 0
    .symbol:         _ZL38rocblas_trsm_small_left_device_sharedBILi12ELi12ELb0EddPKdPdEv13rocblas_fill_18rocblas_operation_17rocblas_diagonal_iiT3_T4_lilT5_lili.kd
    .uniform_work_group_size: 1
    .uses_dynamic_stack: false
    .vgpr_count:     64
    .vgpr_spill_count: 0
    .wavefront_size: 64
  - .agpr_count:     0
    .args:
      - .offset:         0
        .size:           4
        .value_kind:     by_value
      - .offset:         4
        .size:           4
        .value_kind:     by_value
      - .offset:         8
        .size:           4
        .value_kind:     by_value
      - .offset:         12
        .size:           4
        .value_kind:     by_value
      - .offset:         16
        .size:           4
        .value_kind:     by_value
      - .offset:         24
        .size:           8
        .value_kind:     by_value
      - .address_space:  global
        .offset:         32
        .size:           8
        .value_kind:     global_buffer
      - .offset:         40
        .size:           8
        .value_kind:     by_value
      - .offset:         48
        .size:           4
        .value_kind:     by_value
      - .offset:         56
        .size:           8
        .value_kind:     by_value
      - .address_space:  global
        .offset:         64
        .size:           8
        .value_kind:     global_buffer
      - .offset:         72
        .size:           8
        .value_kind:     by_value
      - .offset:         80
        .size:           4
        .value_kind:     by_value
      - .offset:         88
        .size:           8
        .value_kind:     by_value
      - .offset:         96
        .size:           4
        .value_kind:     by_value
      - .offset:         104
        .size:           4
        .value_kind:     hidden_block_count_x
      - .offset:         108
        .size:           4
        .value_kind:     hidden_block_count_y
      - .offset:         112
        .size:           4
        .value_kind:     hidden_block_count_z
      - .offset:         116
        .size:           2
        .value_kind:     hidden_group_size_x
      - .offset:         118
        .size:           2
        .value_kind:     hidden_group_size_y
      - .offset:         120
        .size:           2
        .value_kind:     hidden_group_size_z
      - .offset:         122
        .size:           2
        .value_kind:     hidden_remainder_x
      - .offset:         124
        .size:           2
        .value_kind:     hidden_remainder_y
      - .offset:         126
        .size:           2
        .value_kind:     hidden_remainder_z
      - .offset:         144
        .size:           8
        .value_kind:     hidden_global_offset_x
      - .offset:         152
        .size:           8
        .value_kind:     hidden_global_offset_y
      - .offset:         160
        .size:           8
        .value_kind:     hidden_global_offset_z
      - .offset:         168
        .size:           2
        .value_kind:     hidden_grid_dims
    .group_segment_fixed_size: 1152
    .kernarg_segment_align: 8
    .kernarg_segment_size: 360
    .language:       OpenCL C
    .language_version:
      - 2
      - 0
    .max_flat_workgroup_size: 12
    .name:           _ZL30rocblas_trsm_small_left_deviceILi12ELi12ELb0EddPKdPdEv13rocblas_fill_18rocblas_operation_17rocblas_diagonal_iiT3_T4_lilT5_lili
    .private_segment_fixed_size: 0
    .sgpr_count:     41
    .sgpr_spill_count: 0
    .symbol:         _ZL30rocblas_trsm_small_left_deviceILi12ELi12ELb0EddPKdPdEv13rocblas_fill_18rocblas_operation_17rocblas_diagonal_iiT3_T4_lilT5_lili.kd
    .uniform_work_group_size: 1
    .uses_dynamic_stack: false
    .vgpr_count:     64
    .vgpr_spill_count: 0
    .wavefront_size: 64
  - .agpr_count:     0
    .args:
      - .offset:         0
        .size:           4
        .value_kind:     by_value
      - .offset:         4
        .size:           4
        .value_kind:     by_value
      - .offset:         8
        .size:           4
        .value_kind:     by_value
      - .offset:         12
        .size:           4
        .value_kind:     by_value
      - .offset:         16
        .size:           4
        .value_kind:     by_value
      - .offset:         24
        .size:           8
        .value_kind:     by_value
      - .address_space:  global
        .offset:         32
        .size:           8
        .value_kind:     global_buffer
      - .offset:         40
        .size:           8
        .value_kind:     by_value
      - .offset:         48
        .size:           4
        .value_kind:     by_value
      - .offset:         56
        .size:           8
        .value_kind:     by_value
      - .address_space:  global
        .offset:         64
        .size:           8
        .value_kind:     global_buffer
      - .offset:         72
        .size:           8
        .value_kind:     by_value
      - .offset:         80
        .size:           4
        .value_kind:     by_value
      - .offset:         88
        .size:           8
        .value_kind:     by_value
      - .offset:         96
        .size:           4
        .value_kind:     by_value
      - .offset:         104
        .size:           4
        .value_kind:     hidden_block_count_x
      - .offset:         108
        .size:           4
        .value_kind:     hidden_block_count_y
      - .offset:         112
        .size:           4
        .value_kind:     hidden_block_count_z
      - .offset:         116
        .size:           2
        .value_kind:     hidden_group_size_x
      - .offset:         118
        .size:           2
        .value_kind:     hidden_group_size_y
      - .offset:         120
        .size:           2
        .value_kind:     hidden_group_size_z
      - .offset:         122
        .size:           2
        .value_kind:     hidden_remainder_x
      - .offset:         124
        .size:           2
        .value_kind:     hidden_remainder_y
      - .offset:         126
        .size:           2
        .value_kind:     hidden_remainder_z
      - .offset:         144
        .size:           8
        .value_kind:     hidden_global_offset_x
      - .offset:         152
        .size:           8
        .value_kind:     hidden_global_offset_y
      - .offset:         160
        .size:           8
        .value_kind:     hidden_global_offset_z
      - .offset:         168
        .size:           2
        .value_kind:     hidden_grid_dims
    .group_segment_fixed_size: 2304
    .kernarg_segment_align: 8
    .kernarg_segment_size: 360
    .language:       OpenCL C
    .language_version:
      - 2
      - 0
    .max_flat_workgroup_size: 12
    .name:           _ZL38rocblas_trsm_small_left_device_sharedBILi12ELi12ELb1EddPKdPdEv13rocblas_fill_18rocblas_operation_17rocblas_diagonal_iiT3_T4_lilT5_lili
    .private_segment_fixed_size: 0
    .sgpr_count:     41
    .sgpr_spill_count: 0
    .symbol:         _ZL38rocblas_trsm_small_left_device_sharedBILi12ELi12ELb1EddPKdPdEv13rocblas_fill_18rocblas_operation_17rocblas_diagonal_iiT3_T4_lilT5_lili.kd
    .uniform_work_group_size: 1
    .uses_dynamic_stack: false
    .vgpr_count:     61
    .vgpr_spill_count: 0
    .wavefront_size: 64
  - .agpr_count:     0
    .args:
      - .offset:         0
        .size:           4
        .value_kind:     by_value
      - .offset:         4
        .size:           4
        .value_kind:     by_value
      - .offset:         8
        .size:           4
        .value_kind:     by_value
      - .offset:         12
        .size:           4
        .value_kind:     by_value
      - .offset:         16
        .size:           4
        .value_kind:     by_value
      - .offset:         24
        .size:           8
        .value_kind:     by_value
      - .address_space:  global
        .offset:         32
        .size:           8
        .value_kind:     global_buffer
      - .offset:         40
        .size:           8
        .value_kind:     by_value
      - .offset:         48
        .size:           4
        .value_kind:     by_value
      - .offset:         56
        .size:           8
        .value_kind:     by_value
      - .address_space:  global
        .offset:         64
        .size:           8
        .value_kind:     global_buffer
      - .offset:         72
        .size:           8
        .value_kind:     by_value
      - .offset:         80
        .size:           4
        .value_kind:     by_value
      - .offset:         88
        .size:           8
        .value_kind:     by_value
      - .offset:         96
        .size:           4
        .value_kind:     by_value
      - .offset:         104
        .size:           4
        .value_kind:     hidden_block_count_x
      - .offset:         108
        .size:           4
        .value_kind:     hidden_block_count_y
      - .offset:         112
        .size:           4
        .value_kind:     hidden_block_count_z
      - .offset:         116
        .size:           2
        .value_kind:     hidden_group_size_x
      - .offset:         118
        .size:           2
        .value_kind:     hidden_group_size_y
      - .offset:         120
        .size:           2
        .value_kind:     hidden_group_size_z
      - .offset:         122
        .size:           2
        .value_kind:     hidden_remainder_x
      - .offset:         124
        .size:           2
        .value_kind:     hidden_remainder_y
      - .offset:         126
        .size:           2
        .value_kind:     hidden_remainder_z
      - .offset:         144
        .size:           8
        .value_kind:     hidden_global_offset_x
      - .offset:         152
        .size:           8
        .value_kind:     hidden_global_offset_y
      - .offset:         160
        .size:           8
        .value_kind:     hidden_global_offset_z
      - .offset:         168
        .size:           2
        .value_kind:     hidden_grid_dims
    .group_segment_fixed_size: 1152
    .kernarg_segment_align: 8
    .kernarg_segment_size: 360
    .language:       OpenCL C
    .language_version:
      - 2
      - 0
    .max_flat_workgroup_size: 12
    .name:           _ZL30rocblas_trsm_small_left_deviceILi12ELi12ELb1EddPKdPdEv13rocblas_fill_18rocblas_operation_17rocblas_diagonal_iiT3_T4_lilT5_lili
    .private_segment_fixed_size: 0
    .sgpr_count:     41
    .sgpr_spill_count: 0
    .symbol:         _ZL30rocblas_trsm_small_left_deviceILi12ELi12ELb1EddPKdPdEv13rocblas_fill_18rocblas_operation_17rocblas_diagonal_iiT3_T4_lilT5_lili.kd
    .uniform_work_group_size: 1
    .uses_dynamic_stack: false
    .vgpr_count:     64
    .vgpr_spill_count: 0
    .wavefront_size: 64
  - .agpr_count:     0
    .args:
      - .offset:         0
        .size:           4
        .value_kind:     by_value
      - .offset:         4
        .size:           4
        .value_kind:     by_value
      - .offset:         8
        .size:           4
        .value_kind:     by_value
      - .offset:         12
        .size:           4
        .value_kind:     by_value
      - .offset:         16
        .size:           4
        .value_kind:     by_value
      - .offset:         24
        .size:           8
        .value_kind:     by_value
      - .address_space:  global
        .offset:         32
        .size:           8
        .value_kind:     global_buffer
      - .offset:         40
        .size:           8
        .value_kind:     by_value
      - .offset:         48
        .size:           4
        .value_kind:     by_value
      - .offset:         56
        .size:           8
        .value_kind:     by_value
      - .address_space:  global
        .offset:         64
        .size:           8
        .value_kind:     global_buffer
      - .offset:         72
        .size:           8
        .value_kind:     by_value
      - .offset:         80
        .size:           4
        .value_kind:     by_value
      - .offset:         88
        .size:           8
        .value_kind:     by_value
      - .offset:         96
        .size:           4
        .value_kind:     by_value
      - .offset:         104
        .size:           4
        .value_kind:     hidden_block_count_x
      - .offset:         108
        .size:           4
        .value_kind:     hidden_block_count_y
      - .offset:         112
        .size:           4
        .value_kind:     hidden_block_count_z
      - .offset:         116
        .size:           2
        .value_kind:     hidden_group_size_x
      - .offset:         118
        .size:           2
        .value_kind:     hidden_group_size_y
      - .offset:         120
        .size:           2
        .value_kind:     hidden_group_size_z
      - .offset:         122
        .size:           2
        .value_kind:     hidden_remainder_x
      - .offset:         124
        .size:           2
        .value_kind:     hidden_remainder_y
      - .offset:         126
        .size:           2
        .value_kind:     hidden_remainder_z
      - .offset:         144
        .size:           8
        .value_kind:     hidden_global_offset_x
      - .offset:         152
        .size:           8
        .value_kind:     hidden_global_offset_y
      - .offset:         160
        .size:           8
        .value_kind:     hidden_global_offset_z
      - .offset:         168
        .size:           2
        .value_kind:     hidden_grid_dims
    .group_segment_fixed_size: 2304
    .kernarg_segment_align: 8
    .kernarg_segment_size: 360
    .language:       OpenCL C
    .language_version:
      - 2
      - 0
    .max_flat_workgroup_size: 12
    .name:           _ZL31rocblas_trsm_small_right_deviceIddPKdPdLi12EEv13rocblas_fill_18rocblas_operation_17rocblas_diagonal_iiT0_T1_lilT2_lili
    .private_segment_fixed_size: 0
    .sgpr_count:     42
    .sgpr_spill_count: 0
    .symbol:         _ZL31rocblas_trsm_small_right_deviceIddPKdPdLi12EEv13rocblas_fill_18rocblas_operation_17rocblas_diagonal_iiT0_T1_lilT2_lili.kd
    .uniform_work_group_size: 1
    .uses_dynamic_stack: false
    .vgpr_count:     56
    .vgpr_spill_count: 0
    .wavefront_size: 64
  - .agpr_count:     0
    .args:
      - .offset:         0
        .size:           4
        .value_kind:     by_value
      - .offset:         4
        .size:           4
        .value_kind:     by_value
      - .offset:         8
        .size:           4
        .value_kind:     by_value
      - .offset:         12
        .size:           4
        .value_kind:     by_value
      - .offset:         16
        .size:           4
        .value_kind:     by_value
      - .offset:         24
        .size:           8
        .value_kind:     by_value
      - .address_space:  global
        .offset:         32
        .size:           8
        .value_kind:     global_buffer
      - .offset:         40
        .size:           8
        .value_kind:     by_value
      - .offset:         48
        .size:           4
        .value_kind:     by_value
      - .offset:         56
        .size:           8
        .value_kind:     by_value
      - .address_space:  global
        .offset:         64
        .size:           8
        .value_kind:     global_buffer
      - .offset:         72
        .size:           8
        .value_kind:     by_value
      - .offset:         80
        .size:           4
        .value_kind:     by_value
      - .offset:         88
        .size:           8
        .value_kind:     by_value
      - .offset:         96
        .size:           4
        .value_kind:     by_value
      - .offset:         104
        .size:           4
        .value_kind:     hidden_block_count_x
      - .offset:         108
        .size:           4
        .value_kind:     hidden_block_count_y
      - .offset:         112
        .size:           4
        .value_kind:     hidden_block_count_z
      - .offset:         116
        .size:           2
        .value_kind:     hidden_group_size_x
      - .offset:         118
        .size:           2
        .value_kind:     hidden_group_size_y
      - .offset:         120
        .size:           2
        .value_kind:     hidden_group_size_z
      - .offset:         122
        .size:           2
        .value_kind:     hidden_remainder_x
      - .offset:         124
        .size:           2
        .value_kind:     hidden_remainder_y
      - .offset:         126
        .size:           2
        .value_kind:     hidden_remainder_z
      - .offset:         144
        .size:           8
        .value_kind:     hidden_global_offset_x
      - .offset:         152
        .size:           8
        .value_kind:     hidden_global_offset_y
      - .offset:         160
        .size:           8
        .value_kind:     hidden_global_offset_z
      - .offset:         168
        .size:           2
        .value_kind:     hidden_grid_dims
    .group_segment_fixed_size: 4096
    .kernarg_segment_align: 8
    .kernarg_segment_size: 360
    .language:       OpenCL C
    .language_version:
      - 2
      - 0
    .max_flat_workgroup_size: 16
    .name:           _ZL38rocblas_trsm_small_left_device_sharedBILi16ELi16ELb0EddPKdPdEv13rocblas_fill_18rocblas_operation_17rocblas_diagonal_iiT3_T4_lilT5_lili
    .private_segment_fixed_size: 0
    .sgpr_count:     41
    .sgpr_spill_count: 0
    .symbol:         _ZL38rocblas_trsm_small_left_device_sharedBILi16ELi16ELb0EddPKdPdEv13rocblas_fill_18rocblas_operation_17rocblas_diagonal_iiT3_T4_lilT5_lili.kd
    .uniform_work_group_size: 1
    .uses_dynamic_stack: false
    .vgpr_count:     88
    .vgpr_spill_count: 0
    .wavefront_size: 64
  - .agpr_count:     0
    .args:
      - .offset:         0
        .size:           4
        .value_kind:     by_value
      - .offset:         4
        .size:           4
        .value_kind:     by_value
      - .offset:         8
        .size:           4
        .value_kind:     by_value
      - .offset:         12
        .size:           4
        .value_kind:     by_value
      - .offset:         16
        .size:           4
        .value_kind:     by_value
      - .offset:         24
        .size:           8
        .value_kind:     by_value
      - .address_space:  global
        .offset:         32
        .size:           8
        .value_kind:     global_buffer
      - .offset:         40
        .size:           8
        .value_kind:     by_value
      - .offset:         48
        .size:           4
        .value_kind:     by_value
      - .offset:         56
        .size:           8
        .value_kind:     by_value
      - .address_space:  global
        .offset:         64
        .size:           8
        .value_kind:     global_buffer
      - .offset:         72
        .size:           8
        .value_kind:     by_value
      - .offset:         80
        .size:           4
        .value_kind:     by_value
      - .offset:         88
        .size:           8
        .value_kind:     by_value
      - .offset:         96
        .size:           4
        .value_kind:     by_value
      - .offset:         104
        .size:           4
        .value_kind:     hidden_block_count_x
      - .offset:         108
        .size:           4
        .value_kind:     hidden_block_count_y
      - .offset:         112
        .size:           4
        .value_kind:     hidden_block_count_z
      - .offset:         116
        .size:           2
        .value_kind:     hidden_group_size_x
      - .offset:         118
        .size:           2
        .value_kind:     hidden_group_size_y
      - .offset:         120
        .size:           2
        .value_kind:     hidden_group_size_z
      - .offset:         122
        .size:           2
        .value_kind:     hidden_remainder_x
      - .offset:         124
        .size:           2
        .value_kind:     hidden_remainder_y
      - .offset:         126
        .size:           2
        .value_kind:     hidden_remainder_z
      - .offset:         144
        .size:           8
        .value_kind:     hidden_global_offset_x
      - .offset:         152
        .size:           8
        .value_kind:     hidden_global_offset_y
      - .offset:         160
        .size:           8
        .value_kind:     hidden_global_offset_z
      - .offset:         168
        .size:           2
        .value_kind:     hidden_grid_dims
    .group_segment_fixed_size: 2048
    .kernarg_segment_align: 8
    .kernarg_segment_size: 360
    .language:       OpenCL C
    .language_version:
      - 2
      - 0
    .max_flat_workgroup_size: 16
    .name:           _ZL30rocblas_trsm_small_left_deviceILi16ELi16ELb0EddPKdPdEv13rocblas_fill_18rocblas_operation_17rocblas_diagonal_iiT3_T4_lilT5_lili
    .private_segment_fixed_size: 0
    .sgpr_count:     41
    .sgpr_spill_count: 0
    .symbol:         _ZL30rocblas_trsm_small_left_deviceILi16ELi16ELb0EddPKdPdEv13rocblas_fill_18rocblas_operation_17rocblas_diagonal_iiT3_T4_lilT5_lili.kd
    .uniform_work_group_size: 1
    .uses_dynamic_stack: false
    .vgpr_count:     68
    .vgpr_spill_count: 0
    .wavefront_size: 64
  - .agpr_count:     0
    .args:
      - .offset:         0
        .size:           4
        .value_kind:     by_value
      - .offset:         4
        .size:           4
        .value_kind:     by_value
      - .offset:         8
        .size:           4
        .value_kind:     by_value
      - .offset:         12
        .size:           4
        .value_kind:     by_value
      - .offset:         16
        .size:           4
        .value_kind:     by_value
      - .offset:         24
        .size:           8
        .value_kind:     by_value
      - .address_space:  global
        .offset:         32
        .size:           8
        .value_kind:     global_buffer
      - .offset:         40
        .size:           8
        .value_kind:     by_value
      - .offset:         48
        .size:           4
        .value_kind:     by_value
      - .offset:         56
        .size:           8
        .value_kind:     by_value
      - .address_space:  global
        .offset:         64
        .size:           8
        .value_kind:     global_buffer
      - .offset:         72
        .size:           8
        .value_kind:     by_value
      - .offset:         80
        .size:           4
        .value_kind:     by_value
      - .offset:         88
        .size:           8
        .value_kind:     by_value
      - .offset:         96
        .size:           4
        .value_kind:     by_value
      - .offset:         104
        .size:           4
        .value_kind:     hidden_block_count_x
      - .offset:         108
        .size:           4
        .value_kind:     hidden_block_count_y
      - .offset:         112
        .size:           4
        .value_kind:     hidden_block_count_z
      - .offset:         116
        .size:           2
        .value_kind:     hidden_group_size_x
      - .offset:         118
        .size:           2
        .value_kind:     hidden_group_size_y
      - .offset:         120
        .size:           2
        .value_kind:     hidden_group_size_z
      - .offset:         122
        .size:           2
        .value_kind:     hidden_remainder_x
      - .offset:         124
        .size:           2
        .value_kind:     hidden_remainder_y
      - .offset:         126
        .size:           2
        .value_kind:     hidden_remainder_z
      - .offset:         144
        .size:           8
        .value_kind:     hidden_global_offset_x
      - .offset:         152
        .size:           8
        .value_kind:     hidden_global_offset_y
      - .offset:         160
        .size:           8
        .value_kind:     hidden_global_offset_z
      - .offset:         168
        .size:           2
        .value_kind:     hidden_grid_dims
    .group_segment_fixed_size: 4096
    .kernarg_segment_align: 8
    .kernarg_segment_size: 360
    .language:       OpenCL C
    .language_version:
      - 2
      - 0
    .max_flat_workgroup_size: 16
    .name:           _ZL38rocblas_trsm_small_left_device_sharedBILi16ELi16ELb1EddPKdPdEv13rocblas_fill_18rocblas_operation_17rocblas_diagonal_iiT3_T4_lilT5_lili
    .private_segment_fixed_size: 0
    .sgpr_count:     41
    .sgpr_spill_count: 0
    .symbol:         _ZL38rocblas_trsm_small_left_device_sharedBILi16ELi16ELb1EddPKdPdEv13rocblas_fill_18rocblas_operation_17rocblas_diagonal_iiT3_T4_lilT5_lili.kd
    .uniform_work_group_size: 1
    .uses_dynamic_stack: false
    .vgpr_count:     116
    .vgpr_spill_count: 0
    .wavefront_size: 64
  - .agpr_count:     0
    .args:
      - .offset:         0
        .size:           4
        .value_kind:     by_value
      - .offset:         4
        .size:           4
        .value_kind:     by_value
      - .offset:         8
        .size:           4
        .value_kind:     by_value
      - .offset:         12
        .size:           4
        .value_kind:     by_value
      - .offset:         16
        .size:           4
        .value_kind:     by_value
      - .offset:         24
        .size:           8
        .value_kind:     by_value
      - .address_space:  global
        .offset:         32
        .size:           8
        .value_kind:     global_buffer
      - .offset:         40
        .size:           8
        .value_kind:     by_value
      - .offset:         48
        .size:           4
        .value_kind:     by_value
      - .offset:         56
        .size:           8
        .value_kind:     by_value
      - .address_space:  global
        .offset:         64
        .size:           8
        .value_kind:     global_buffer
      - .offset:         72
        .size:           8
        .value_kind:     by_value
      - .offset:         80
        .size:           4
        .value_kind:     by_value
      - .offset:         88
        .size:           8
        .value_kind:     by_value
      - .offset:         96
        .size:           4
        .value_kind:     by_value
      - .offset:         104
        .size:           4
        .value_kind:     hidden_block_count_x
      - .offset:         108
        .size:           4
        .value_kind:     hidden_block_count_y
      - .offset:         112
        .size:           4
        .value_kind:     hidden_block_count_z
      - .offset:         116
        .size:           2
        .value_kind:     hidden_group_size_x
      - .offset:         118
        .size:           2
        .value_kind:     hidden_group_size_y
      - .offset:         120
        .size:           2
        .value_kind:     hidden_group_size_z
      - .offset:         122
        .size:           2
        .value_kind:     hidden_remainder_x
      - .offset:         124
        .size:           2
        .value_kind:     hidden_remainder_y
      - .offset:         126
        .size:           2
        .value_kind:     hidden_remainder_z
      - .offset:         144
        .size:           8
        .value_kind:     hidden_global_offset_x
      - .offset:         152
        .size:           8
        .value_kind:     hidden_global_offset_y
      - .offset:         160
        .size:           8
        .value_kind:     hidden_global_offset_z
      - .offset:         168
        .size:           2
        .value_kind:     hidden_grid_dims
    .group_segment_fixed_size: 2048
    .kernarg_segment_align: 8
    .kernarg_segment_size: 360
    .language:       OpenCL C
    .language_version:
      - 2
      - 0
    .max_flat_workgroup_size: 16
    .name:           _ZL30rocblas_trsm_small_left_deviceILi16ELi16ELb1EddPKdPdEv13rocblas_fill_18rocblas_operation_17rocblas_diagonal_iiT3_T4_lilT5_lili
    .private_segment_fixed_size: 0
    .sgpr_count:     41
    .sgpr_spill_count: 0
    .symbol:         _ZL30rocblas_trsm_small_left_deviceILi16ELi16ELb1EddPKdPdEv13rocblas_fill_18rocblas_operation_17rocblas_diagonal_iiT3_T4_lilT5_lili.kd
    .uniform_work_group_size: 1
    .uses_dynamic_stack: false
    .vgpr_count:     116
    .vgpr_spill_count: 0
    .wavefront_size: 64
  - .agpr_count:     0
    .args:
      - .offset:         0
        .size:           4
        .value_kind:     by_value
      - .offset:         4
        .size:           4
        .value_kind:     by_value
      - .offset:         8
        .size:           4
        .value_kind:     by_value
      - .offset:         12
        .size:           4
        .value_kind:     by_value
      - .offset:         16
        .size:           4
        .value_kind:     by_value
      - .offset:         24
        .size:           8
        .value_kind:     by_value
      - .address_space:  global
        .offset:         32
        .size:           8
        .value_kind:     global_buffer
      - .offset:         40
        .size:           8
        .value_kind:     by_value
      - .offset:         48
        .size:           4
        .value_kind:     by_value
      - .offset:         56
        .size:           8
        .value_kind:     by_value
      - .address_space:  global
        .offset:         64
        .size:           8
        .value_kind:     global_buffer
      - .offset:         72
        .size:           8
        .value_kind:     by_value
      - .offset:         80
        .size:           4
        .value_kind:     by_value
      - .offset:         88
        .size:           8
        .value_kind:     by_value
      - .offset:         96
        .size:           4
        .value_kind:     by_value
      - .offset:         104
        .size:           4
        .value_kind:     hidden_block_count_x
      - .offset:         108
        .size:           4
        .value_kind:     hidden_block_count_y
      - .offset:         112
        .size:           4
        .value_kind:     hidden_block_count_z
      - .offset:         116
        .size:           2
        .value_kind:     hidden_group_size_x
      - .offset:         118
        .size:           2
        .value_kind:     hidden_group_size_y
      - .offset:         120
        .size:           2
        .value_kind:     hidden_group_size_z
      - .offset:         122
        .size:           2
        .value_kind:     hidden_remainder_x
      - .offset:         124
        .size:           2
        .value_kind:     hidden_remainder_y
      - .offset:         126
        .size:           2
        .value_kind:     hidden_remainder_z
      - .offset:         144
        .size:           8
        .value_kind:     hidden_global_offset_x
      - .offset:         152
        .size:           8
        .value_kind:     hidden_global_offset_y
      - .offset:         160
        .size:           8
        .value_kind:     hidden_global_offset_z
      - .offset:         168
        .size:           2
        .value_kind:     hidden_grid_dims
    .group_segment_fixed_size: 4096
    .kernarg_segment_align: 8
    .kernarg_segment_size: 360
    .language:       OpenCL C
    .language_version:
      - 2
      - 0
    .max_flat_workgroup_size: 16
    .name:           _ZL31rocblas_trsm_small_right_deviceIddPKdPdLi16EEv13rocblas_fill_18rocblas_operation_17rocblas_diagonal_iiT0_T1_lilT2_lili
    .private_segment_fixed_size: 0
    .sgpr_count:     42
    .sgpr_spill_count: 0
    .symbol:         _ZL31rocblas_trsm_small_right_deviceIddPKdPdLi16EEv13rocblas_fill_18rocblas_operation_17rocblas_diagonal_iiT0_T1_lilT2_lili.kd
    .uniform_work_group_size: 1
    .uses_dynamic_stack: false
    .vgpr_count:     56
    .vgpr_spill_count: 0
    .wavefront_size: 64
  - .agpr_count:     0
    .args:
      - .offset:         0
        .size:           4
        .value_kind:     by_value
      - .offset:         4
        .size:           4
        .value_kind:     by_value
      - .offset:         8
        .size:           4
        .value_kind:     by_value
      - .offset:         12
        .size:           4
        .value_kind:     by_value
      - .offset:         16
        .size:           4
        .value_kind:     by_value
      - .offset:         24
        .size:           8
        .value_kind:     by_value
      - .address_space:  global
        .offset:         32
        .size:           8
        .value_kind:     global_buffer
      - .offset:         40
        .size:           8
        .value_kind:     by_value
      - .offset:         48
        .size:           4
        .value_kind:     by_value
      - .offset:         56
        .size:           8
        .value_kind:     by_value
      - .address_space:  global
        .offset:         64
        .size:           8
        .value_kind:     global_buffer
      - .offset:         72
        .size:           8
        .value_kind:     by_value
      - .offset:         80
        .size:           4
        .value_kind:     by_value
      - .offset:         88
        .size:           8
        .value_kind:     by_value
      - .offset:         96
        .size:           4
        .value_kind:     by_value
      - .offset:         104
        .size:           4
        .value_kind:     hidden_block_count_x
      - .offset:         108
        .size:           4
        .value_kind:     hidden_block_count_y
      - .offset:         112
        .size:           4
        .value_kind:     hidden_block_count_z
      - .offset:         116
        .size:           2
        .value_kind:     hidden_group_size_x
      - .offset:         118
        .size:           2
        .value_kind:     hidden_group_size_y
      - .offset:         120
        .size:           2
        .value_kind:     hidden_group_size_z
      - .offset:         122
        .size:           2
        .value_kind:     hidden_remainder_x
      - .offset:         124
        .size:           2
        .value_kind:     hidden_remainder_y
      - .offset:         126
        .size:           2
        .value_kind:     hidden_remainder_z
      - .offset:         144
        .size:           8
        .value_kind:     hidden_global_offset_x
      - .offset:         152
        .size:           8
        .value_kind:     hidden_global_offset_y
      - .offset:         160
        .size:           8
        .value_kind:     hidden_global_offset_z
      - .offset:         168
        .size:           2
        .value_kind:     hidden_grid_dims
    .group_segment_fixed_size: 6400
    .kernarg_segment_align: 8
    .kernarg_segment_size: 360
    .language:       OpenCL C
    .language_version:
      - 2
      - 0
    .max_flat_workgroup_size: 20
    .name:           _ZL38rocblas_trsm_small_left_device_sharedBILi20ELi20ELb0EddPKdPdEv13rocblas_fill_18rocblas_operation_17rocblas_diagonal_iiT3_T4_lilT5_lili
    .private_segment_fixed_size: 0
    .sgpr_count:     44
    .sgpr_spill_count: 0
    .symbol:         _ZL38rocblas_trsm_small_left_device_sharedBILi20ELi20ELb0EddPKdPdEv13rocblas_fill_18rocblas_operation_17rocblas_diagonal_iiT3_T4_lilT5_lili.kd
    .uniform_work_group_size: 1
    .uses_dynamic_stack: false
    .vgpr_count:     114
    .vgpr_spill_count: 0
    .wavefront_size: 64
  - .agpr_count:     0
    .args:
      - .offset:         0
        .size:           4
        .value_kind:     by_value
      - .offset:         4
        .size:           4
        .value_kind:     by_value
      - .offset:         8
        .size:           4
        .value_kind:     by_value
      - .offset:         12
        .size:           4
        .value_kind:     by_value
      - .offset:         16
        .size:           4
        .value_kind:     by_value
      - .offset:         24
        .size:           8
        .value_kind:     by_value
      - .address_space:  global
        .offset:         32
        .size:           8
        .value_kind:     global_buffer
      - .offset:         40
        .size:           8
        .value_kind:     by_value
      - .offset:         48
        .size:           4
        .value_kind:     by_value
      - .offset:         56
        .size:           8
        .value_kind:     by_value
      - .address_space:  global
        .offset:         64
        .size:           8
        .value_kind:     global_buffer
      - .offset:         72
        .size:           8
        .value_kind:     by_value
      - .offset:         80
        .size:           4
        .value_kind:     by_value
      - .offset:         88
        .size:           8
        .value_kind:     by_value
      - .offset:         96
        .size:           4
        .value_kind:     by_value
      - .offset:         104
        .size:           4
        .value_kind:     hidden_block_count_x
      - .offset:         108
        .size:           4
        .value_kind:     hidden_block_count_y
      - .offset:         112
        .size:           4
        .value_kind:     hidden_block_count_z
      - .offset:         116
        .size:           2
        .value_kind:     hidden_group_size_x
      - .offset:         118
        .size:           2
        .value_kind:     hidden_group_size_y
      - .offset:         120
        .size:           2
        .value_kind:     hidden_group_size_z
      - .offset:         122
        .size:           2
        .value_kind:     hidden_remainder_x
      - .offset:         124
        .size:           2
        .value_kind:     hidden_remainder_y
      - .offset:         126
        .size:           2
        .value_kind:     hidden_remainder_z
      - .offset:         144
        .size:           8
        .value_kind:     hidden_global_offset_x
      - .offset:         152
        .size:           8
        .value_kind:     hidden_global_offset_y
      - .offset:         160
        .size:           8
        .value_kind:     hidden_global_offset_z
      - .offset:         168
        .size:           2
        .value_kind:     hidden_grid_dims
    .group_segment_fixed_size: 3200
    .kernarg_segment_align: 8
    .kernarg_segment_size: 360
    .language:       OpenCL C
    .language_version:
      - 2
      - 0
    .max_flat_workgroup_size: 20
    .name:           _ZL30rocblas_trsm_small_left_deviceILi20ELi20ELb0EddPKdPdEv13rocblas_fill_18rocblas_operation_17rocblas_diagonal_iiT3_T4_lilT5_lili
    .private_segment_fixed_size: 0
    .sgpr_count:     41
    .sgpr_spill_count: 0
    .symbol:         _ZL30rocblas_trsm_small_left_deviceILi20ELi20ELb0EddPKdPdEv13rocblas_fill_18rocblas_operation_17rocblas_diagonal_iiT3_T4_lilT5_lili.kd
    .uniform_work_group_size: 1
    .uses_dynamic_stack: false
    .vgpr_count:     92
    .vgpr_spill_count: 0
    .wavefront_size: 64
  - .agpr_count:     0
    .args:
      - .offset:         0
        .size:           4
        .value_kind:     by_value
      - .offset:         4
        .size:           4
        .value_kind:     by_value
      - .offset:         8
        .size:           4
        .value_kind:     by_value
      - .offset:         12
        .size:           4
        .value_kind:     by_value
      - .offset:         16
        .size:           4
        .value_kind:     by_value
      - .offset:         24
        .size:           8
        .value_kind:     by_value
      - .address_space:  global
        .offset:         32
        .size:           8
        .value_kind:     global_buffer
      - .offset:         40
        .size:           8
        .value_kind:     by_value
      - .offset:         48
        .size:           4
        .value_kind:     by_value
      - .offset:         56
        .size:           8
        .value_kind:     by_value
      - .address_space:  global
        .offset:         64
        .size:           8
        .value_kind:     global_buffer
      - .offset:         72
        .size:           8
        .value_kind:     by_value
      - .offset:         80
        .size:           4
        .value_kind:     by_value
      - .offset:         88
        .size:           8
        .value_kind:     by_value
      - .offset:         96
        .size:           4
        .value_kind:     by_value
      - .offset:         104
        .size:           4
        .value_kind:     hidden_block_count_x
      - .offset:         108
        .size:           4
        .value_kind:     hidden_block_count_y
      - .offset:         112
        .size:           4
        .value_kind:     hidden_block_count_z
      - .offset:         116
        .size:           2
        .value_kind:     hidden_group_size_x
      - .offset:         118
        .size:           2
        .value_kind:     hidden_group_size_y
      - .offset:         120
        .size:           2
        .value_kind:     hidden_group_size_z
      - .offset:         122
        .size:           2
        .value_kind:     hidden_remainder_x
      - .offset:         124
        .size:           2
        .value_kind:     hidden_remainder_y
      - .offset:         126
        .size:           2
        .value_kind:     hidden_remainder_z
      - .offset:         144
        .size:           8
        .value_kind:     hidden_global_offset_x
      - .offset:         152
        .size:           8
        .value_kind:     hidden_global_offset_y
      - .offset:         160
        .size:           8
        .value_kind:     hidden_global_offset_z
      - .offset:         168
        .size:           2
        .value_kind:     hidden_grid_dims
    .group_segment_fixed_size: 6400
    .kernarg_segment_align: 8
    .kernarg_segment_size: 360
    .language:       OpenCL C
    .language_version:
      - 2
      - 0
    .max_flat_workgroup_size: 20
    .name:           _ZL38rocblas_trsm_small_left_device_sharedBILi20ELi20ELb1EddPKdPdEv13rocblas_fill_18rocblas_operation_17rocblas_diagonal_iiT3_T4_lilT5_lili
    .private_segment_fixed_size: 0
    .sgpr_count:     43
    .sgpr_spill_count: 0
    .symbol:         _ZL38rocblas_trsm_small_left_device_sharedBILi20ELi20ELb1EddPKdPdEv13rocblas_fill_18rocblas_operation_17rocblas_diagonal_iiT3_T4_lilT5_lili.kd
    .uniform_work_group_size: 1
    .uses_dynamic_stack: false
    .vgpr_count:     142
    .vgpr_spill_count: 0
    .wavefront_size: 64
  - .agpr_count:     0
    .args:
      - .offset:         0
        .size:           4
        .value_kind:     by_value
      - .offset:         4
        .size:           4
        .value_kind:     by_value
      - .offset:         8
        .size:           4
        .value_kind:     by_value
      - .offset:         12
        .size:           4
        .value_kind:     by_value
      - .offset:         16
        .size:           4
        .value_kind:     by_value
      - .offset:         24
        .size:           8
        .value_kind:     by_value
      - .address_space:  global
        .offset:         32
        .size:           8
        .value_kind:     global_buffer
      - .offset:         40
        .size:           8
        .value_kind:     by_value
      - .offset:         48
        .size:           4
        .value_kind:     by_value
      - .offset:         56
        .size:           8
        .value_kind:     by_value
      - .address_space:  global
        .offset:         64
        .size:           8
        .value_kind:     global_buffer
      - .offset:         72
        .size:           8
        .value_kind:     by_value
      - .offset:         80
        .size:           4
        .value_kind:     by_value
      - .offset:         88
        .size:           8
        .value_kind:     by_value
      - .offset:         96
        .size:           4
        .value_kind:     by_value
      - .offset:         104
        .size:           4
        .value_kind:     hidden_block_count_x
      - .offset:         108
        .size:           4
        .value_kind:     hidden_block_count_y
      - .offset:         112
        .size:           4
        .value_kind:     hidden_block_count_z
      - .offset:         116
        .size:           2
        .value_kind:     hidden_group_size_x
      - .offset:         118
        .size:           2
        .value_kind:     hidden_group_size_y
      - .offset:         120
        .size:           2
        .value_kind:     hidden_group_size_z
      - .offset:         122
        .size:           2
        .value_kind:     hidden_remainder_x
      - .offset:         124
        .size:           2
        .value_kind:     hidden_remainder_y
      - .offset:         126
        .size:           2
        .value_kind:     hidden_remainder_z
      - .offset:         144
        .size:           8
        .value_kind:     hidden_global_offset_x
      - .offset:         152
        .size:           8
        .value_kind:     hidden_global_offset_y
      - .offset:         160
        .size:           8
        .value_kind:     hidden_global_offset_z
      - .offset:         168
        .size:           2
        .value_kind:     hidden_grid_dims
    .group_segment_fixed_size: 3200
    .kernarg_segment_align: 8
    .kernarg_segment_size: 360
    .language:       OpenCL C
    .language_version:
      - 2
      - 0
    .max_flat_workgroup_size: 20
    .name:           _ZL30rocblas_trsm_small_left_deviceILi20ELi20ELb1EddPKdPdEv13rocblas_fill_18rocblas_operation_17rocblas_diagonal_iiT3_T4_lilT5_lili
    .private_segment_fixed_size: 0
    .sgpr_count:     41
    .sgpr_spill_count: 0
    .symbol:         _ZL30rocblas_trsm_small_left_deviceILi20ELi20ELb1EddPKdPdEv13rocblas_fill_18rocblas_operation_17rocblas_diagonal_iiT3_T4_lilT5_lili.kd
    .uniform_work_group_size: 1
    .uses_dynamic_stack: false
    .vgpr_count:     93
    .vgpr_spill_count: 0
    .wavefront_size: 64
  - .agpr_count:     0
    .args:
      - .offset:         0
        .size:           4
        .value_kind:     by_value
      - .offset:         4
        .size:           4
        .value_kind:     by_value
      - .offset:         8
        .size:           4
        .value_kind:     by_value
      - .offset:         12
        .size:           4
        .value_kind:     by_value
      - .offset:         16
        .size:           4
        .value_kind:     by_value
      - .offset:         24
        .size:           8
        .value_kind:     by_value
      - .address_space:  global
        .offset:         32
        .size:           8
        .value_kind:     global_buffer
      - .offset:         40
        .size:           8
        .value_kind:     by_value
      - .offset:         48
        .size:           4
        .value_kind:     by_value
      - .offset:         56
        .size:           8
        .value_kind:     by_value
      - .address_space:  global
        .offset:         64
        .size:           8
        .value_kind:     global_buffer
      - .offset:         72
        .size:           8
        .value_kind:     by_value
      - .offset:         80
        .size:           4
        .value_kind:     by_value
      - .offset:         88
        .size:           8
        .value_kind:     by_value
      - .offset:         96
        .size:           4
        .value_kind:     by_value
      - .offset:         104
        .size:           4
        .value_kind:     hidden_block_count_x
      - .offset:         108
        .size:           4
        .value_kind:     hidden_block_count_y
      - .offset:         112
        .size:           4
        .value_kind:     hidden_block_count_z
      - .offset:         116
        .size:           2
        .value_kind:     hidden_group_size_x
      - .offset:         118
        .size:           2
        .value_kind:     hidden_group_size_y
      - .offset:         120
        .size:           2
        .value_kind:     hidden_group_size_z
      - .offset:         122
        .size:           2
        .value_kind:     hidden_remainder_x
      - .offset:         124
        .size:           2
        .value_kind:     hidden_remainder_y
      - .offset:         126
        .size:           2
        .value_kind:     hidden_remainder_z
      - .offset:         144
        .size:           8
        .value_kind:     hidden_global_offset_x
      - .offset:         152
        .size:           8
        .value_kind:     hidden_global_offset_y
      - .offset:         160
        .size:           8
        .value_kind:     hidden_global_offset_z
      - .offset:         168
        .size:           2
        .value_kind:     hidden_grid_dims
    .group_segment_fixed_size: 6400
    .kernarg_segment_align: 8
    .kernarg_segment_size: 360
    .language:       OpenCL C
    .language_version:
      - 2
      - 0
    .max_flat_workgroup_size: 20
    .name:           _ZL31rocblas_trsm_small_right_deviceIddPKdPdLi20EEv13rocblas_fill_18rocblas_operation_17rocblas_diagonal_iiT0_T1_lilT2_lili
    .private_segment_fixed_size: 0
    .sgpr_count:     42
    .sgpr_spill_count: 0
    .symbol:         _ZL31rocblas_trsm_small_right_deviceIddPKdPdLi20EEv13rocblas_fill_18rocblas_operation_17rocblas_diagonal_iiT0_T1_lilT2_lili.kd
    .uniform_work_group_size: 1
    .uses_dynamic_stack: false
    .vgpr_count:     56
    .vgpr_spill_count: 0
    .wavefront_size: 64
  - .agpr_count:     0
    .args:
      - .offset:         0
        .size:           4
        .value_kind:     by_value
      - .offset:         4
        .size:           4
        .value_kind:     by_value
      - .offset:         8
        .size:           4
        .value_kind:     by_value
      - .offset:         12
        .size:           4
        .value_kind:     by_value
      - .offset:         16
        .size:           4
        .value_kind:     by_value
      - .offset:         24
        .size:           8
        .value_kind:     by_value
      - .address_space:  global
        .offset:         32
        .size:           8
        .value_kind:     global_buffer
      - .offset:         40
        .size:           8
        .value_kind:     by_value
      - .offset:         48
        .size:           4
        .value_kind:     by_value
      - .offset:         56
        .size:           8
        .value_kind:     by_value
      - .address_space:  global
        .offset:         64
        .size:           8
        .value_kind:     global_buffer
      - .offset:         72
        .size:           8
        .value_kind:     by_value
      - .offset:         80
        .size:           4
        .value_kind:     by_value
      - .offset:         88
        .size:           8
        .value_kind:     by_value
      - .offset:         96
        .size:           4
        .value_kind:     by_value
      - .offset:         104
        .size:           4
        .value_kind:     hidden_block_count_x
      - .offset:         108
        .size:           4
        .value_kind:     hidden_block_count_y
      - .offset:         112
        .size:           4
        .value_kind:     hidden_block_count_z
      - .offset:         116
        .size:           2
        .value_kind:     hidden_group_size_x
      - .offset:         118
        .size:           2
        .value_kind:     hidden_group_size_y
      - .offset:         120
        .size:           2
        .value_kind:     hidden_group_size_z
      - .offset:         122
        .size:           2
        .value_kind:     hidden_remainder_x
      - .offset:         124
        .size:           2
        .value_kind:     hidden_remainder_y
      - .offset:         126
        .size:           2
        .value_kind:     hidden_remainder_z
      - .offset:         144
        .size:           8
        .value_kind:     hidden_global_offset_x
      - .offset:         152
        .size:           8
        .value_kind:     hidden_global_offset_y
      - .offset:         160
        .size:           8
        .value_kind:     hidden_global_offset_z
      - .offset:         168
        .size:           2
        .value_kind:     hidden_grid_dims
    .group_segment_fixed_size: 9216
    .kernarg_segment_align: 8
    .kernarg_segment_size: 360
    .language:       OpenCL C
    .language_version:
      - 2
      - 0
    .max_flat_workgroup_size: 24
    .name:           _ZL38rocblas_trsm_small_left_device_sharedBILi24ELi24ELb0EddPKdPdEv13rocblas_fill_18rocblas_operation_17rocblas_diagonal_iiT3_T4_lilT5_lili
    .private_segment_fixed_size: 0
    .sgpr_count:     48
    .sgpr_spill_count: 0
    .symbol:         _ZL38rocblas_trsm_small_left_device_sharedBILi24ELi24ELb0EddPKdPdEv13rocblas_fill_18rocblas_operation_17rocblas_diagonal_iiT3_T4_lilT5_lili.kd
    .uniform_work_group_size: 1
    .uses_dynamic_stack: false
    .vgpr_count:     136
    .vgpr_spill_count: 0
    .wavefront_size: 64
  - .agpr_count:     0
    .args:
      - .offset:         0
        .size:           4
        .value_kind:     by_value
      - .offset:         4
        .size:           4
        .value_kind:     by_value
      - .offset:         8
        .size:           4
        .value_kind:     by_value
      - .offset:         12
        .size:           4
        .value_kind:     by_value
      - .offset:         16
        .size:           4
        .value_kind:     by_value
      - .offset:         24
        .size:           8
        .value_kind:     by_value
      - .address_space:  global
        .offset:         32
        .size:           8
        .value_kind:     global_buffer
      - .offset:         40
        .size:           8
        .value_kind:     by_value
      - .offset:         48
        .size:           4
        .value_kind:     by_value
      - .offset:         56
        .size:           8
        .value_kind:     by_value
      - .address_space:  global
        .offset:         64
        .size:           8
        .value_kind:     global_buffer
      - .offset:         72
        .size:           8
        .value_kind:     by_value
      - .offset:         80
        .size:           4
        .value_kind:     by_value
      - .offset:         88
        .size:           8
        .value_kind:     by_value
      - .offset:         96
        .size:           4
        .value_kind:     by_value
      - .offset:         104
        .size:           4
        .value_kind:     hidden_block_count_x
      - .offset:         108
        .size:           4
        .value_kind:     hidden_block_count_y
      - .offset:         112
        .size:           4
        .value_kind:     hidden_block_count_z
      - .offset:         116
        .size:           2
        .value_kind:     hidden_group_size_x
      - .offset:         118
        .size:           2
        .value_kind:     hidden_group_size_y
      - .offset:         120
        .size:           2
        .value_kind:     hidden_group_size_z
      - .offset:         122
        .size:           2
        .value_kind:     hidden_remainder_x
      - .offset:         124
        .size:           2
        .value_kind:     hidden_remainder_y
      - .offset:         126
        .size:           2
        .value_kind:     hidden_remainder_z
      - .offset:         144
        .size:           8
        .value_kind:     hidden_global_offset_x
      - .offset:         152
        .size:           8
        .value_kind:     hidden_global_offset_y
      - .offset:         160
        .size:           8
        .value_kind:     hidden_global_offset_z
      - .offset:         168
        .size:           2
        .value_kind:     hidden_grid_dims
    .group_segment_fixed_size: 4608
    .kernarg_segment_align: 8
    .kernarg_segment_size: 360
    .language:       OpenCL C
    .language_version:
      - 2
      - 0
    .max_flat_workgroup_size: 24
    .name:           _ZL30rocblas_trsm_small_left_deviceILi24ELi24ELb0EddPKdPdEv13rocblas_fill_18rocblas_operation_17rocblas_diagonal_iiT3_T4_lilT5_lili
    .private_segment_fixed_size: 0
    .sgpr_count:     41
    .sgpr_spill_count: 0
    .symbol:         _ZL30rocblas_trsm_small_left_deviceILi24ELi24ELb0EddPKdPdEv13rocblas_fill_18rocblas_operation_17rocblas_diagonal_iiT3_T4_lilT5_lili.kd
    .uniform_work_group_size: 1
    .uses_dynamic_stack: false
    .vgpr_count:     120
    .vgpr_spill_count: 0
    .wavefront_size: 64
  - .agpr_count:     0
    .args:
      - .offset:         0
        .size:           4
        .value_kind:     by_value
      - .offset:         4
        .size:           4
        .value_kind:     by_value
      - .offset:         8
        .size:           4
        .value_kind:     by_value
      - .offset:         12
        .size:           4
        .value_kind:     by_value
      - .offset:         16
        .size:           4
        .value_kind:     by_value
      - .offset:         24
        .size:           8
        .value_kind:     by_value
      - .address_space:  global
        .offset:         32
        .size:           8
        .value_kind:     global_buffer
      - .offset:         40
        .size:           8
        .value_kind:     by_value
      - .offset:         48
        .size:           4
        .value_kind:     by_value
      - .offset:         56
        .size:           8
        .value_kind:     by_value
      - .address_space:  global
        .offset:         64
        .size:           8
        .value_kind:     global_buffer
      - .offset:         72
        .size:           8
        .value_kind:     by_value
      - .offset:         80
        .size:           4
        .value_kind:     by_value
      - .offset:         88
        .size:           8
        .value_kind:     by_value
      - .offset:         96
        .size:           4
        .value_kind:     by_value
      - .offset:         104
        .size:           4
        .value_kind:     hidden_block_count_x
      - .offset:         108
        .size:           4
        .value_kind:     hidden_block_count_y
      - .offset:         112
        .size:           4
        .value_kind:     hidden_block_count_z
      - .offset:         116
        .size:           2
        .value_kind:     hidden_group_size_x
      - .offset:         118
        .size:           2
        .value_kind:     hidden_group_size_y
      - .offset:         120
        .size:           2
        .value_kind:     hidden_group_size_z
      - .offset:         122
        .size:           2
        .value_kind:     hidden_remainder_x
      - .offset:         124
        .size:           2
        .value_kind:     hidden_remainder_y
      - .offset:         126
        .size:           2
        .value_kind:     hidden_remainder_z
      - .offset:         144
        .size:           8
        .value_kind:     hidden_global_offset_x
      - .offset:         152
        .size:           8
        .value_kind:     hidden_global_offset_y
      - .offset:         160
        .size:           8
        .value_kind:     hidden_global_offset_z
      - .offset:         168
        .size:           2
        .value_kind:     hidden_grid_dims
    .group_segment_fixed_size: 9216
    .kernarg_segment_align: 8
    .kernarg_segment_size: 360
    .language:       OpenCL C
    .language_version:
      - 2
      - 0
    .max_flat_workgroup_size: 24
    .name:           _ZL38rocblas_trsm_small_left_device_sharedBILi24ELi24ELb1EddPKdPdEv13rocblas_fill_18rocblas_operation_17rocblas_diagonal_iiT3_T4_lilT5_lili
    .private_segment_fixed_size: 0
    .sgpr_count:     47
    .sgpr_spill_count: 0
    .symbol:         _ZL38rocblas_trsm_small_left_device_sharedBILi24ELi24ELb1EddPKdPdEv13rocblas_fill_18rocblas_operation_17rocblas_diagonal_iiT3_T4_lilT5_lili.kd
    .uniform_work_group_size: 1
    .uses_dynamic_stack: false
    .vgpr_count:     168
    .vgpr_spill_count: 0
    .wavefront_size: 64
  - .agpr_count:     0
    .args:
      - .offset:         0
        .size:           4
        .value_kind:     by_value
      - .offset:         4
        .size:           4
        .value_kind:     by_value
      - .offset:         8
        .size:           4
        .value_kind:     by_value
      - .offset:         12
        .size:           4
        .value_kind:     by_value
      - .offset:         16
        .size:           4
        .value_kind:     by_value
      - .offset:         24
        .size:           8
        .value_kind:     by_value
      - .address_space:  global
        .offset:         32
        .size:           8
        .value_kind:     global_buffer
      - .offset:         40
        .size:           8
        .value_kind:     by_value
      - .offset:         48
        .size:           4
        .value_kind:     by_value
      - .offset:         56
        .size:           8
        .value_kind:     by_value
      - .address_space:  global
        .offset:         64
        .size:           8
        .value_kind:     global_buffer
      - .offset:         72
        .size:           8
        .value_kind:     by_value
      - .offset:         80
        .size:           4
        .value_kind:     by_value
      - .offset:         88
        .size:           8
        .value_kind:     by_value
      - .offset:         96
        .size:           4
        .value_kind:     by_value
      - .offset:         104
        .size:           4
        .value_kind:     hidden_block_count_x
      - .offset:         108
        .size:           4
        .value_kind:     hidden_block_count_y
      - .offset:         112
        .size:           4
        .value_kind:     hidden_block_count_z
      - .offset:         116
        .size:           2
        .value_kind:     hidden_group_size_x
      - .offset:         118
        .size:           2
        .value_kind:     hidden_group_size_y
      - .offset:         120
        .size:           2
        .value_kind:     hidden_group_size_z
      - .offset:         122
        .size:           2
        .value_kind:     hidden_remainder_x
      - .offset:         124
        .size:           2
        .value_kind:     hidden_remainder_y
      - .offset:         126
        .size:           2
        .value_kind:     hidden_remainder_z
      - .offset:         144
        .size:           8
        .value_kind:     hidden_global_offset_x
      - .offset:         152
        .size:           8
        .value_kind:     hidden_global_offset_y
      - .offset:         160
        .size:           8
        .value_kind:     hidden_global_offset_z
      - .offset:         168
        .size:           2
        .value_kind:     hidden_grid_dims
    .group_segment_fixed_size: 4608
    .kernarg_segment_align: 8
    .kernarg_segment_size: 360
    .language:       OpenCL C
    .language_version:
      - 2
      - 0
    .max_flat_workgroup_size: 24
    .name:           _ZL30rocblas_trsm_small_left_deviceILi24ELi24ELb1EddPKdPdEv13rocblas_fill_18rocblas_operation_17rocblas_diagonal_iiT3_T4_lilT5_lili
    .private_segment_fixed_size: 0
    .sgpr_count:     41
    .sgpr_spill_count: 0
    .symbol:         _ZL30rocblas_trsm_small_left_deviceILi24ELi24ELb1EddPKdPdEv13rocblas_fill_18rocblas_operation_17rocblas_diagonal_iiT3_T4_lilT5_lili.kd
    .uniform_work_group_size: 1
    .uses_dynamic_stack: false
    .vgpr_count:     120
    .vgpr_spill_count: 0
    .wavefront_size: 64
  - .agpr_count:     0
    .args:
      - .offset:         0
        .size:           4
        .value_kind:     by_value
      - .offset:         4
        .size:           4
        .value_kind:     by_value
      - .offset:         8
        .size:           4
        .value_kind:     by_value
      - .offset:         12
        .size:           4
        .value_kind:     by_value
      - .offset:         16
        .size:           4
        .value_kind:     by_value
      - .offset:         24
        .size:           8
        .value_kind:     by_value
      - .address_space:  global
        .offset:         32
        .size:           8
        .value_kind:     global_buffer
      - .offset:         40
        .size:           8
        .value_kind:     by_value
      - .offset:         48
        .size:           4
        .value_kind:     by_value
      - .offset:         56
        .size:           8
        .value_kind:     by_value
      - .address_space:  global
        .offset:         64
        .size:           8
        .value_kind:     global_buffer
      - .offset:         72
        .size:           8
        .value_kind:     by_value
      - .offset:         80
        .size:           4
        .value_kind:     by_value
      - .offset:         88
        .size:           8
        .value_kind:     by_value
      - .offset:         96
        .size:           4
        .value_kind:     by_value
      - .offset:         104
        .size:           4
        .value_kind:     hidden_block_count_x
      - .offset:         108
        .size:           4
        .value_kind:     hidden_block_count_y
      - .offset:         112
        .size:           4
        .value_kind:     hidden_block_count_z
      - .offset:         116
        .size:           2
        .value_kind:     hidden_group_size_x
      - .offset:         118
        .size:           2
        .value_kind:     hidden_group_size_y
      - .offset:         120
        .size:           2
        .value_kind:     hidden_group_size_z
      - .offset:         122
        .size:           2
        .value_kind:     hidden_remainder_x
      - .offset:         124
        .size:           2
        .value_kind:     hidden_remainder_y
      - .offset:         126
        .size:           2
        .value_kind:     hidden_remainder_z
      - .offset:         144
        .size:           8
        .value_kind:     hidden_global_offset_x
      - .offset:         152
        .size:           8
        .value_kind:     hidden_global_offset_y
      - .offset:         160
        .size:           8
        .value_kind:     hidden_global_offset_z
      - .offset:         168
        .size:           2
        .value_kind:     hidden_grid_dims
    .group_segment_fixed_size: 9216
    .kernarg_segment_align: 8
    .kernarg_segment_size: 360
    .language:       OpenCL C
    .language_version:
      - 2
      - 0
    .max_flat_workgroup_size: 24
    .name:           _ZL31rocblas_trsm_small_right_deviceIddPKdPdLi24EEv13rocblas_fill_18rocblas_operation_17rocblas_diagonal_iiT0_T1_lilT2_lili
    .private_segment_fixed_size: 0
    .sgpr_count:     42
    .sgpr_spill_count: 0
    .symbol:         _ZL31rocblas_trsm_small_right_deviceIddPKdPdLi24EEv13rocblas_fill_18rocblas_operation_17rocblas_diagonal_iiT0_T1_lilT2_lili.kd
    .uniform_work_group_size: 1
    .uses_dynamic_stack: false
    .vgpr_count:     56
    .vgpr_spill_count: 0
    .wavefront_size: 64
  - .agpr_count:     0
    .args:
      - .offset:         0
        .size:           4
        .value_kind:     by_value
      - .offset:         4
        .size:           4
        .value_kind:     by_value
      - .offset:         8
        .size:           4
        .value_kind:     by_value
      - .offset:         12
        .size:           4
        .value_kind:     by_value
      - .offset:         16
        .size:           4
        .value_kind:     by_value
      - .offset:         24
        .size:           8
        .value_kind:     by_value
      - .address_space:  global
        .offset:         32
        .size:           8
        .value_kind:     global_buffer
      - .offset:         40
        .size:           8
        .value_kind:     by_value
      - .offset:         48
        .size:           4
        .value_kind:     by_value
      - .offset:         56
        .size:           8
        .value_kind:     by_value
      - .address_space:  global
        .offset:         64
        .size:           8
        .value_kind:     global_buffer
      - .offset:         72
        .size:           8
        .value_kind:     by_value
      - .offset:         80
        .size:           4
        .value_kind:     by_value
      - .offset:         88
        .size:           8
        .value_kind:     by_value
      - .offset:         96
        .size:           4
        .value_kind:     by_value
      - .offset:         104
        .size:           4
        .value_kind:     hidden_block_count_x
      - .offset:         108
        .size:           4
        .value_kind:     hidden_block_count_y
      - .offset:         112
        .size:           4
        .value_kind:     hidden_block_count_z
      - .offset:         116
        .size:           2
        .value_kind:     hidden_group_size_x
      - .offset:         118
        .size:           2
        .value_kind:     hidden_group_size_y
      - .offset:         120
        .size:           2
        .value_kind:     hidden_group_size_z
      - .offset:         122
        .size:           2
        .value_kind:     hidden_remainder_x
      - .offset:         124
        .size:           2
        .value_kind:     hidden_remainder_y
      - .offset:         126
        .size:           2
        .value_kind:     hidden_remainder_z
      - .offset:         144
        .size:           8
        .value_kind:     hidden_global_offset_x
      - .offset:         152
        .size:           8
        .value_kind:     hidden_global_offset_y
      - .offset:         160
        .size:           8
        .value_kind:     hidden_global_offset_z
      - .offset:         168
        .size:           2
        .value_kind:     hidden_grid_dims
    .group_segment_fixed_size: 12544
    .kernarg_segment_align: 8
    .kernarg_segment_size: 360
    .language:       OpenCL C
    .language_version:
      - 2
      - 0
    .max_flat_workgroup_size: 28
    .name:           _ZL38rocblas_trsm_small_left_device_sharedBILi28ELi28ELb0EddPKdPdEv13rocblas_fill_18rocblas_operation_17rocblas_diagonal_iiT3_T4_lilT5_lili
    .private_segment_fixed_size: 0
    .sgpr_count:     52
    .sgpr_spill_count: 0
    .symbol:         _ZL38rocblas_trsm_small_left_device_sharedBILi28ELi28ELb0EddPKdPdEv13rocblas_fill_18rocblas_operation_17rocblas_diagonal_iiT3_T4_lilT5_lili.kd
    .uniform_work_group_size: 1
    .uses_dynamic_stack: false
    .vgpr_count:     160
    .vgpr_spill_count: 0
    .wavefront_size: 64
  - .agpr_count:     0
    .args:
      - .offset:         0
        .size:           4
        .value_kind:     by_value
      - .offset:         4
        .size:           4
        .value_kind:     by_value
      - .offset:         8
        .size:           4
        .value_kind:     by_value
      - .offset:         12
        .size:           4
        .value_kind:     by_value
      - .offset:         16
        .size:           4
        .value_kind:     by_value
      - .offset:         24
        .size:           8
        .value_kind:     by_value
      - .address_space:  global
        .offset:         32
        .size:           8
        .value_kind:     global_buffer
      - .offset:         40
        .size:           8
        .value_kind:     by_value
      - .offset:         48
        .size:           4
        .value_kind:     by_value
      - .offset:         56
        .size:           8
        .value_kind:     by_value
      - .address_space:  global
        .offset:         64
        .size:           8
        .value_kind:     global_buffer
      - .offset:         72
        .size:           8
        .value_kind:     by_value
      - .offset:         80
        .size:           4
        .value_kind:     by_value
      - .offset:         88
        .size:           8
        .value_kind:     by_value
      - .offset:         96
        .size:           4
        .value_kind:     by_value
      - .offset:         104
        .size:           4
        .value_kind:     hidden_block_count_x
      - .offset:         108
        .size:           4
        .value_kind:     hidden_block_count_y
      - .offset:         112
        .size:           4
        .value_kind:     hidden_block_count_z
      - .offset:         116
        .size:           2
        .value_kind:     hidden_group_size_x
      - .offset:         118
        .size:           2
        .value_kind:     hidden_group_size_y
      - .offset:         120
        .size:           2
        .value_kind:     hidden_group_size_z
      - .offset:         122
        .size:           2
        .value_kind:     hidden_remainder_x
      - .offset:         124
        .size:           2
        .value_kind:     hidden_remainder_y
      - .offset:         126
        .size:           2
        .value_kind:     hidden_remainder_z
      - .offset:         144
        .size:           8
        .value_kind:     hidden_global_offset_x
      - .offset:         152
        .size:           8
        .value_kind:     hidden_global_offset_y
      - .offset:         160
        .size:           8
        .value_kind:     hidden_global_offset_z
      - .offset:         168
        .size:           2
        .value_kind:     hidden_grid_dims
    .group_segment_fixed_size: 6272
    .kernarg_segment_align: 8
    .kernarg_segment_size: 360
    .language:       OpenCL C
    .language_version:
      - 2
      - 0
    .max_flat_workgroup_size: 28
    .name:           _ZL30rocblas_trsm_small_left_deviceILi28ELi28ELb0EddPKdPdEv13rocblas_fill_18rocblas_operation_17rocblas_diagonal_iiT3_T4_lilT5_lili
    .private_segment_fixed_size: 0
    .sgpr_count:     41
    .sgpr_spill_count: 0
    .symbol:         _ZL30rocblas_trsm_small_left_deviceILi28ELi28ELb0EddPKdPdEv13rocblas_fill_18rocblas_operation_17rocblas_diagonal_iiT3_T4_lilT5_lili.kd
    .uniform_work_group_size: 1
    .uses_dynamic_stack: false
    .vgpr_count:     158
    .vgpr_spill_count: 0
    .wavefront_size: 64
  - .agpr_count:     0
    .args:
      - .offset:         0
        .size:           4
        .value_kind:     by_value
      - .offset:         4
        .size:           4
        .value_kind:     by_value
      - .offset:         8
        .size:           4
        .value_kind:     by_value
      - .offset:         12
        .size:           4
        .value_kind:     by_value
      - .offset:         16
        .size:           4
        .value_kind:     by_value
      - .offset:         24
        .size:           8
        .value_kind:     by_value
      - .address_space:  global
        .offset:         32
        .size:           8
        .value_kind:     global_buffer
      - .offset:         40
        .size:           8
        .value_kind:     by_value
      - .offset:         48
        .size:           4
        .value_kind:     by_value
      - .offset:         56
        .size:           8
        .value_kind:     by_value
      - .address_space:  global
        .offset:         64
        .size:           8
        .value_kind:     global_buffer
      - .offset:         72
        .size:           8
        .value_kind:     by_value
      - .offset:         80
        .size:           4
        .value_kind:     by_value
      - .offset:         88
        .size:           8
        .value_kind:     by_value
      - .offset:         96
        .size:           4
        .value_kind:     by_value
      - .offset:         104
        .size:           4
        .value_kind:     hidden_block_count_x
      - .offset:         108
        .size:           4
        .value_kind:     hidden_block_count_y
      - .offset:         112
        .size:           4
        .value_kind:     hidden_block_count_z
      - .offset:         116
        .size:           2
        .value_kind:     hidden_group_size_x
      - .offset:         118
        .size:           2
        .value_kind:     hidden_group_size_y
      - .offset:         120
        .size:           2
        .value_kind:     hidden_group_size_z
      - .offset:         122
        .size:           2
        .value_kind:     hidden_remainder_x
      - .offset:         124
        .size:           2
        .value_kind:     hidden_remainder_y
      - .offset:         126
        .size:           2
        .value_kind:     hidden_remainder_z
      - .offset:         144
        .size:           8
        .value_kind:     hidden_global_offset_x
      - .offset:         152
        .size:           8
        .value_kind:     hidden_global_offset_y
      - .offset:         160
        .size:           8
        .value_kind:     hidden_global_offset_z
      - .offset:         168
        .size:           2
        .value_kind:     hidden_grid_dims
    .group_segment_fixed_size: 12544
    .kernarg_segment_align: 8
    .kernarg_segment_size: 360
    .language:       OpenCL C
    .language_version:
      - 2
      - 0
    .max_flat_workgroup_size: 28
    .name:           _ZL38rocblas_trsm_small_left_device_sharedBILi28ELi28ELb1EddPKdPdEv13rocblas_fill_18rocblas_operation_17rocblas_diagonal_iiT3_T4_lilT5_lili
    .private_segment_fixed_size: 0
    .sgpr_count:     51
    .sgpr_spill_count: 0
    .symbol:         _ZL38rocblas_trsm_small_left_device_sharedBILi28ELi28ELb1EddPKdPdEv13rocblas_fill_18rocblas_operation_17rocblas_diagonal_iiT3_T4_lilT5_lili.kd
    .uniform_work_group_size: 1
    .uses_dynamic_stack: false
    .vgpr_count:     190
    .vgpr_spill_count: 0
    .wavefront_size: 64
  - .agpr_count:     0
    .args:
      - .offset:         0
        .size:           4
        .value_kind:     by_value
      - .offset:         4
        .size:           4
        .value_kind:     by_value
      - .offset:         8
        .size:           4
        .value_kind:     by_value
      - .offset:         12
        .size:           4
        .value_kind:     by_value
      - .offset:         16
        .size:           4
        .value_kind:     by_value
      - .offset:         24
        .size:           8
        .value_kind:     by_value
      - .address_space:  global
        .offset:         32
        .size:           8
        .value_kind:     global_buffer
      - .offset:         40
        .size:           8
        .value_kind:     by_value
      - .offset:         48
        .size:           4
        .value_kind:     by_value
      - .offset:         56
        .size:           8
        .value_kind:     by_value
      - .address_space:  global
        .offset:         64
        .size:           8
        .value_kind:     global_buffer
      - .offset:         72
        .size:           8
        .value_kind:     by_value
      - .offset:         80
        .size:           4
        .value_kind:     by_value
      - .offset:         88
        .size:           8
        .value_kind:     by_value
      - .offset:         96
        .size:           4
        .value_kind:     by_value
      - .offset:         104
        .size:           4
        .value_kind:     hidden_block_count_x
      - .offset:         108
        .size:           4
        .value_kind:     hidden_block_count_y
      - .offset:         112
        .size:           4
        .value_kind:     hidden_block_count_z
      - .offset:         116
        .size:           2
        .value_kind:     hidden_group_size_x
      - .offset:         118
        .size:           2
        .value_kind:     hidden_group_size_y
      - .offset:         120
        .size:           2
        .value_kind:     hidden_group_size_z
      - .offset:         122
        .size:           2
        .value_kind:     hidden_remainder_x
      - .offset:         124
        .size:           2
        .value_kind:     hidden_remainder_y
      - .offset:         126
        .size:           2
        .value_kind:     hidden_remainder_z
      - .offset:         144
        .size:           8
        .value_kind:     hidden_global_offset_x
      - .offset:         152
        .size:           8
        .value_kind:     hidden_global_offset_y
      - .offset:         160
        .size:           8
        .value_kind:     hidden_global_offset_z
      - .offset:         168
        .size:           2
        .value_kind:     hidden_grid_dims
    .group_segment_fixed_size: 6272
    .kernarg_segment_align: 8
    .kernarg_segment_size: 360
    .language:       OpenCL C
    .language_version:
      - 2
      - 0
    .max_flat_workgroup_size: 28
    .name:           _ZL30rocblas_trsm_small_left_deviceILi28ELi28ELb1EddPKdPdEv13rocblas_fill_18rocblas_operation_17rocblas_diagonal_iiT3_T4_lilT5_lili
    .private_segment_fixed_size: 0
    .sgpr_count:     41
    .sgpr_spill_count: 0
    .symbol:         _ZL30rocblas_trsm_small_left_deviceILi28ELi28ELb1EddPKdPdEv13rocblas_fill_18rocblas_operation_17rocblas_diagonal_iiT3_T4_lilT5_lili.kd
    .uniform_work_group_size: 1
    .uses_dynamic_stack: false
    .vgpr_count:     164
    .vgpr_spill_count: 0
    .wavefront_size: 64
  - .agpr_count:     0
    .args:
      - .offset:         0
        .size:           4
        .value_kind:     by_value
      - .offset:         4
        .size:           4
        .value_kind:     by_value
      - .offset:         8
        .size:           4
        .value_kind:     by_value
      - .offset:         12
        .size:           4
        .value_kind:     by_value
      - .offset:         16
        .size:           4
        .value_kind:     by_value
      - .offset:         24
        .size:           8
        .value_kind:     by_value
      - .address_space:  global
        .offset:         32
        .size:           8
        .value_kind:     global_buffer
      - .offset:         40
        .size:           8
        .value_kind:     by_value
      - .offset:         48
        .size:           4
        .value_kind:     by_value
      - .offset:         56
        .size:           8
        .value_kind:     by_value
      - .address_space:  global
        .offset:         64
        .size:           8
        .value_kind:     global_buffer
      - .offset:         72
        .size:           8
        .value_kind:     by_value
      - .offset:         80
        .size:           4
        .value_kind:     by_value
      - .offset:         88
        .size:           8
        .value_kind:     by_value
      - .offset:         96
        .size:           4
        .value_kind:     by_value
      - .offset:         104
        .size:           4
        .value_kind:     hidden_block_count_x
      - .offset:         108
        .size:           4
        .value_kind:     hidden_block_count_y
      - .offset:         112
        .size:           4
        .value_kind:     hidden_block_count_z
      - .offset:         116
        .size:           2
        .value_kind:     hidden_group_size_x
      - .offset:         118
        .size:           2
        .value_kind:     hidden_group_size_y
      - .offset:         120
        .size:           2
        .value_kind:     hidden_group_size_z
      - .offset:         122
        .size:           2
        .value_kind:     hidden_remainder_x
      - .offset:         124
        .size:           2
        .value_kind:     hidden_remainder_y
      - .offset:         126
        .size:           2
        .value_kind:     hidden_remainder_z
      - .offset:         144
        .size:           8
        .value_kind:     hidden_global_offset_x
      - .offset:         152
        .size:           8
        .value_kind:     hidden_global_offset_y
      - .offset:         160
        .size:           8
        .value_kind:     hidden_global_offset_z
      - .offset:         168
        .size:           2
        .value_kind:     hidden_grid_dims
    .group_segment_fixed_size: 12544
    .kernarg_segment_align: 8
    .kernarg_segment_size: 360
    .language:       OpenCL C
    .language_version:
      - 2
      - 0
    .max_flat_workgroup_size: 28
    .name:           _ZL31rocblas_trsm_small_right_deviceIddPKdPdLi28EEv13rocblas_fill_18rocblas_operation_17rocblas_diagonal_iiT0_T1_lilT2_lili
    .private_segment_fixed_size: 0
    .sgpr_count:     42
    .sgpr_spill_count: 0
    .symbol:         _ZL31rocblas_trsm_small_right_deviceIddPKdPdLi28EEv13rocblas_fill_18rocblas_operation_17rocblas_diagonal_iiT0_T1_lilT2_lili.kd
    .uniform_work_group_size: 1
    .uses_dynamic_stack: false
    .vgpr_count:     56
    .vgpr_spill_count: 0
    .wavefront_size: 64
  - .agpr_count:     0
    .args:
      - .offset:         0
        .size:           4
        .value_kind:     by_value
      - .offset:         4
        .size:           4
        .value_kind:     by_value
      - .offset:         8
        .size:           4
        .value_kind:     by_value
      - .offset:         12
        .size:           4
        .value_kind:     by_value
      - .offset:         16
        .size:           4
        .value_kind:     by_value
      - .offset:         24
        .size:           8
        .value_kind:     by_value
      - .address_space:  global
        .offset:         32
        .size:           8
        .value_kind:     global_buffer
      - .offset:         40
        .size:           8
        .value_kind:     by_value
      - .offset:         48
        .size:           4
        .value_kind:     by_value
      - .offset:         56
        .size:           8
        .value_kind:     by_value
      - .address_space:  global
        .offset:         64
        .size:           8
        .value_kind:     global_buffer
      - .offset:         72
        .size:           8
        .value_kind:     by_value
      - .offset:         80
        .size:           4
        .value_kind:     by_value
      - .offset:         88
        .size:           8
        .value_kind:     by_value
      - .offset:         96
        .size:           4
        .value_kind:     by_value
      - .offset:         104
        .size:           4
        .value_kind:     hidden_block_count_x
      - .offset:         108
        .size:           4
        .value_kind:     hidden_block_count_y
      - .offset:         112
        .size:           4
        .value_kind:     hidden_block_count_z
      - .offset:         116
        .size:           2
        .value_kind:     hidden_group_size_x
      - .offset:         118
        .size:           2
        .value_kind:     hidden_group_size_y
      - .offset:         120
        .size:           2
        .value_kind:     hidden_group_size_z
      - .offset:         122
        .size:           2
        .value_kind:     hidden_remainder_x
      - .offset:         124
        .size:           2
        .value_kind:     hidden_remainder_y
      - .offset:         126
        .size:           2
        .value_kind:     hidden_remainder_z
      - .offset:         144
        .size:           8
        .value_kind:     hidden_global_offset_x
      - .offset:         152
        .size:           8
        .value_kind:     hidden_global_offset_y
      - .offset:         160
        .size:           8
        .value_kind:     hidden_global_offset_z
      - .offset:         168
        .size:           2
        .value_kind:     hidden_grid_dims
    .group_segment_fixed_size: 16384
    .kernarg_segment_align: 8
    .kernarg_segment_size: 360
    .language:       OpenCL C
    .language_version:
      - 2
      - 0
    .max_flat_workgroup_size: 32
    .name:           _ZL38rocblas_trsm_small_left_device_sharedBILi32ELi32ELb0EddPKdPdEv13rocblas_fill_18rocblas_operation_17rocblas_diagonal_iiT3_T4_lilT5_lili
    .private_segment_fixed_size: 0
    .sgpr_count:     55
    .sgpr_spill_count: 0
    .symbol:         _ZL38rocblas_trsm_small_left_device_sharedBILi32ELi32ELb0EddPKdPdEv13rocblas_fill_18rocblas_operation_17rocblas_diagonal_iiT3_T4_lilT5_lili.kd
    .uniform_work_group_size: 1
    .uses_dynamic_stack: false
    .vgpr_count:     178
    .vgpr_spill_count: 0
    .wavefront_size: 64
  - .agpr_count:     0
    .args:
      - .offset:         0
        .size:           4
        .value_kind:     by_value
      - .offset:         4
        .size:           4
        .value_kind:     by_value
      - .offset:         8
        .size:           4
        .value_kind:     by_value
      - .offset:         12
        .size:           4
        .value_kind:     by_value
      - .offset:         16
        .size:           4
        .value_kind:     by_value
      - .offset:         24
        .size:           8
        .value_kind:     by_value
      - .address_space:  global
        .offset:         32
        .size:           8
        .value_kind:     global_buffer
      - .offset:         40
        .size:           8
        .value_kind:     by_value
      - .offset:         48
        .size:           4
        .value_kind:     by_value
      - .offset:         56
        .size:           8
        .value_kind:     by_value
      - .address_space:  global
        .offset:         64
        .size:           8
        .value_kind:     global_buffer
      - .offset:         72
        .size:           8
        .value_kind:     by_value
      - .offset:         80
        .size:           4
        .value_kind:     by_value
      - .offset:         88
        .size:           8
        .value_kind:     by_value
      - .offset:         96
        .size:           4
        .value_kind:     by_value
      - .offset:         104
        .size:           4
        .value_kind:     hidden_block_count_x
      - .offset:         108
        .size:           4
        .value_kind:     hidden_block_count_y
      - .offset:         112
        .size:           4
        .value_kind:     hidden_block_count_z
      - .offset:         116
        .size:           2
        .value_kind:     hidden_group_size_x
      - .offset:         118
        .size:           2
        .value_kind:     hidden_group_size_y
      - .offset:         120
        .size:           2
        .value_kind:     hidden_group_size_z
      - .offset:         122
        .size:           2
        .value_kind:     hidden_remainder_x
      - .offset:         124
        .size:           2
        .value_kind:     hidden_remainder_y
      - .offset:         126
        .size:           2
        .value_kind:     hidden_remainder_z
      - .offset:         144
        .size:           8
        .value_kind:     hidden_global_offset_x
      - .offset:         152
        .size:           8
        .value_kind:     hidden_global_offset_y
      - .offset:         160
        .size:           8
        .value_kind:     hidden_global_offset_z
      - .offset:         168
        .size:           2
        .value_kind:     hidden_grid_dims
    .group_segment_fixed_size: 8192
    .kernarg_segment_align: 8
    .kernarg_segment_size: 360
    .language:       OpenCL C
    .language_version:
      - 2
      - 0
    .max_flat_workgroup_size: 32
    .name:           _ZL30rocblas_trsm_small_left_deviceILi32ELi32ELb0EddPKdPdEv13rocblas_fill_18rocblas_operation_17rocblas_diagonal_iiT3_T4_lilT5_lili
    .private_segment_fixed_size: 0
    .sgpr_count:     48
    .sgpr_spill_count: 0
    .symbol:         _ZL30rocblas_trsm_small_left_deviceILi32ELi32ELb0EddPKdPdEv13rocblas_fill_18rocblas_operation_17rocblas_diagonal_iiT3_T4_lilT5_lili.kd
    .uniform_work_group_size: 1
    .uses_dynamic_stack: false
    .vgpr_count:     184
    .vgpr_spill_count: 0
    .wavefront_size: 64
  - .agpr_count:     0
    .args:
      - .offset:         0
        .size:           4
        .value_kind:     by_value
      - .offset:         4
        .size:           4
        .value_kind:     by_value
      - .offset:         8
        .size:           4
        .value_kind:     by_value
      - .offset:         12
        .size:           4
        .value_kind:     by_value
      - .offset:         16
        .size:           4
        .value_kind:     by_value
      - .offset:         24
        .size:           8
        .value_kind:     by_value
      - .address_space:  global
        .offset:         32
        .size:           8
        .value_kind:     global_buffer
      - .offset:         40
        .size:           8
        .value_kind:     by_value
      - .offset:         48
        .size:           4
        .value_kind:     by_value
      - .offset:         56
        .size:           8
        .value_kind:     by_value
      - .address_space:  global
        .offset:         64
        .size:           8
        .value_kind:     global_buffer
      - .offset:         72
        .size:           8
        .value_kind:     by_value
      - .offset:         80
        .size:           4
        .value_kind:     by_value
      - .offset:         88
        .size:           8
        .value_kind:     by_value
      - .offset:         96
        .size:           4
        .value_kind:     by_value
      - .offset:         104
        .size:           4
        .value_kind:     hidden_block_count_x
      - .offset:         108
        .size:           4
        .value_kind:     hidden_block_count_y
      - .offset:         112
        .size:           4
        .value_kind:     hidden_block_count_z
      - .offset:         116
        .size:           2
        .value_kind:     hidden_group_size_x
      - .offset:         118
        .size:           2
        .value_kind:     hidden_group_size_y
      - .offset:         120
        .size:           2
        .value_kind:     hidden_group_size_z
      - .offset:         122
        .size:           2
        .value_kind:     hidden_remainder_x
      - .offset:         124
        .size:           2
        .value_kind:     hidden_remainder_y
      - .offset:         126
        .size:           2
        .value_kind:     hidden_remainder_z
      - .offset:         144
        .size:           8
        .value_kind:     hidden_global_offset_x
      - .offset:         152
        .size:           8
        .value_kind:     hidden_global_offset_y
      - .offset:         160
        .size:           8
        .value_kind:     hidden_global_offset_z
      - .offset:         168
        .size:           2
        .value_kind:     hidden_grid_dims
    .group_segment_fixed_size: 16384
    .kernarg_segment_align: 8
    .kernarg_segment_size: 360
    .language:       OpenCL C
    .language_version:
      - 2
      - 0
    .max_flat_workgroup_size: 32
    .name:           _ZL38rocblas_trsm_small_left_device_sharedBILi32ELi32ELb1EddPKdPdEv13rocblas_fill_18rocblas_operation_17rocblas_diagonal_iiT3_T4_lilT5_lili
    .private_segment_fixed_size: 0
    .sgpr_count:     53
    .sgpr_spill_count: 0
    .symbol:         _ZL38rocblas_trsm_small_left_device_sharedBILi32ELi32ELb1EddPKdPdEv13rocblas_fill_18rocblas_operation_17rocblas_diagonal_iiT3_T4_lilT5_lili.kd
    .uniform_work_group_size: 1
    .uses_dynamic_stack: false
    .vgpr_count:     210
    .vgpr_spill_count: 0
    .wavefront_size: 64
  - .agpr_count:     0
    .args:
      - .offset:         0
        .size:           4
        .value_kind:     by_value
      - .offset:         4
        .size:           4
        .value_kind:     by_value
      - .offset:         8
        .size:           4
        .value_kind:     by_value
      - .offset:         12
        .size:           4
        .value_kind:     by_value
      - .offset:         16
        .size:           4
        .value_kind:     by_value
      - .offset:         24
        .size:           8
        .value_kind:     by_value
      - .address_space:  global
        .offset:         32
        .size:           8
        .value_kind:     global_buffer
      - .offset:         40
        .size:           8
        .value_kind:     by_value
      - .offset:         48
        .size:           4
        .value_kind:     by_value
      - .offset:         56
        .size:           8
        .value_kind:     by_value
      - .address_space:  global
        .offset:         64
        .size:           8
        .value_kind:     global_buffer
      - .offset:         72
        .size:           8
        .value_kind:     by_value
      - .offset:         80
        .size:           4
        .value_kind:     by_value
      - .offset:         88
        .size:           8
        .value_kind:     by_value
      - .offset:         96
        .size:           4
        .value_kind:     by_value
      - .offset:         104
        .size:           4
        .value_kind:     hidden_block_count_x
      - .offset:         108
        .size:           4
        .value_kind:     hidden_block_count_y
      - .offset:         112
        .size:           4
        .value_kind:     hidden_block_count_z
      - .offset:         116
        .size:           2
        .value_kind:     hidden_group_size_x
      - .offset:         118
        .size:           2
        .value_kind:     hidden_group_size_y
      - .offset:         120
        .size:           2
        .value_kind:     hidden_group_size_z
      - .offset:         122
        .size:           2
        .value_kind:     hidden_remainder_x
      - .offset:         124
        .size:           2
        .value_kind:     hidden_remainder_y
      - .offset:         126
        .size:           2
        .value_kind:     hidden_remainder_z
      - .offset:         144
        .size:           8
        .value_kind:     hidden_global_offset_x
      - .offset:         152
        .size:           8
        .value_kind:     hidden_global_offset_y
      - .offset:         160
        .size:           8
        .value_kind:     hidden_global_offset_z
      - .offset:         168
        .size:           2
        .value_kind:     hidden_grid_dims
    .group_segment_fixed_size: 8192
    .kernarg_segment_align: 8
    .kernarg_segment_size: 360
    .language:       OpenCL C
    .language_version:
      - 2
      - 0
    .max_flat_workgroup_size: 32
    .name:           _ZL30rocblas_trsm_small_left_deviceILi32ELi32ELb1EddPKdPdEv13rocblas_fill_18rocblas_operation_17rocblas_diagonal_iiT3_T4_lilT5_lili
    .private_segment_fixed_size: 0
    .sgpr_count:     41
    .sgpr_spill_count: 0
    .symbol:         _ZL30rocblas_trsm_small_left_deviceILi32ELi32ELb1EddPKdPdEv13rocblas_fill_18rocblas_operation_17rocblas_diagonal_iiT3_T4_lilT5_lili.kd
    .uniform_work_group_size: 1
    .uses_dynamic_stack: false
    .vgpr_count:     220
    .vgpr_spill_count: 0
    .wavefront_size: 64
  - .agpr_count:     0
    .args:
      - .offset:         0
        .size:           4
        .value_kind:     by_value
      - .offset:         4
        .size:           4
        .value_kind:     by_value
      - .offset:         8
        .size:           4
        .value_kind:     by_value
      - .offset:         12
        .size:           4
        .value_kind:     by_value
      - .offset:         16
        .size:           4
        .value_kind:     by_value
      - .offset:         24
        .size:           8
        .value_kind:     by_value
      - .address_space:  global
        .offset:         32
        .size:           8
        .value_kind:     global_buffer
      - .offset:         40
        .size:           8
        .value_kind:     by_value
      - .offset:         48
        .size:           4
        .value_kind:     by_value
      - .offset:         56
        .size:           8
        .value_kind:     by_value
      - .address_space:  global
        .offset:         64
        .size:           8
        .value_kind:     global_buffer
      - .offset:         72
        .size:           8
        .value_kind:     by_value
      - .offset:         80
        .size:           4
        .value_kind:     by_value
      - .offset:         88
        .size:           8
        .value_kind:     by_value
      - .offset:         96
        .size:           4
        .value_kind:     by_value
      - .offset:         104
        .size:           4
        .value_kind:     hidden_block_count_x
      - .offset:         108
        .size:           4
        .value_kind:     hidden_block_count_y
      - .offset:         112
        .size:           4
        .value_kind:     hidden_block_count_z
      - .offset:         116
        .size:           2
        .value_kind:     hidden_group_size_x
      - .offset:         118
        .size:           2
        .value_kind:     hidden_group_size_y
      - .offset:         120
        .size:           2
        .value_kind:     hidden_group_size_z
      - .offset:         122
        .size:           2
        .value_kind:     hidden_remainder_x
      - .offset:         124
        .size:           2
        .value_kind:     hidden_remainder_y
      - .offset:         126
        .size:           2
        .value_kind:     hidden_remainder_z
      - .offset:         144
        .size:           8
        .value_kind:     hidden_global_offset_x
      - .offset:         152
        .size:           8
        .value_kind:     hidden_global_offset_y
      - .offset:         160
        .size:           8
        .value_kind:     hidden_global_offset_z
      - .offset:         168
        .size:           2
        .value_kind:     hidden_grid_dims
    .group_segment_fixed_size: 16384
    .kernarg_segment_align: 8
    .kernarg_segment_size: 360
    .language:       OpenCL C
    .language_version:
      - 2
      - 0
    .max_flat_workgroup_size: 32
    .name:           _ZL31rocblas_trsm_small_right_deviceIddPKdPdLi32EEv13rocblas_fill_18rocblas_operation_17rocblas_diagonal_iiT0_T1_lilT2_lili
    .private_segment_fixed_size: 0
    .sgpr_count:     42
    .sgpr_spill_count: 0
    .symbol:         _ZL31rocblas_trsm_small_right_deviceIddPKdPdLi32EEv13rocblas_fill_18rocblas_operation_17rocblas_diagonal_iiT0_T1_lilT2_lili.kd
    .uniform_work_group_size: 1
    .uses_dynamic_stack: false
    .vgpr_count:     56
    .vgpr_spill_count: 0
    .wavefront_size: 64
  - .agpr_count:     0
    .args:
      - .offset:         0
        .size:           4
        .value_kind:     by_value
      - .offset:         4
        .size:           4
        .value_kind:     by_value
      - .offset:         8
        .size:           4
        .value_kind:     by_value
      - .offset:         12
        .size:           4
        .value_kind:     by_value
      - .offset:         16
        .size:           4
        .value_kind:     by_value
      - .offset:         24
        .size:           8
        .value_kind:     by_value
      - .address_space:  global
        .offset:         32
        .size:           8
        .value_kind:     global_buffer
      - .offset:         40
        .size:           8
        .value_kind:     by_value
      - .offset:         48
        .size:           4
        .value_kind:     by_value
      - .offset:         56
        .size:           8
        .value_kind:     by_value
      - .address_space:  global
        .offset:         64
        .size:           8
        .value_kind:     global_buffer
      - .offset:         72
        .size:           8
        .value_kind:     by_value
      - .offset:         80
        .size:           4
        .value_kind:     by_value
      - .offset:         88
        .size:           8
        .value_kind:     by_value
      - .offset:         96
        .size:           4
        .value_kind:     by_value
      - .offset:         104
        .size:           4
        .value_kind:     hidden_block_count_x
      - .offset:         108
        .size:           4
        .value_kind:     hidden_block_count_y
      - .offset:         112
        .size:           4
        .value_kind:     hidden_block_count_z
      - .offset:         116
        .size:           2
        .value_kind:     hidden_group_size_x
      - .offset:         118
        .size:           2
        .value_kind:     hidden_group_size_y
      - .offset:         120
        .size:           2
        .value_kind:     hidden_group_size_z
      - .offset:         122
        .size:           2
        .value_kind:     hidden_remainder_x
      - .offset:         124
        .size:           2
        .value_kind:     hidden_remainder_y
      - .offset:         126
        .size:           2
        .value_kind:     hidden_remainder_z
      - .offset:         144
        .size:           8
        .value_kind:     hidden_global_offset_x
      - .offset:         152
        .size:           8
        .value_kind:     hidden_global_offset_y
      - .offset:         160
        .size:           8
        .value_kind:     hidden_global_offset_z
      - .offset:         168
        .size:           2
        .value_kind:     hidden_grid_dims
    .group_segment_fixed_size: 65536
    .kernarg_segment_align: 8
    .kernarg_segment_size: 360
    .language:       OpenCL C
    .language_version:
      - 2
      - 0
    .max_flat_workgroup_size: 64
    .name:           _ZL38rocblas_trsm_small_left_device_sharedBILi64ELi32ELb0EddPKdPdEv13rocblas_fill_18rocblas_operation_17rocblas_diagonal_iiT3_T4_lilT5_lili
    .private_segment_fixed_size: 0
    .sgpr_count:     57
    .sgpr_spill_count: 0
    .symbol:         _ZL38rocblas_trsm_small_left_device_sharedBILi64ELi32ELb0EddPKdPdEv13rocblas_fill_18rocblas_operation_17rocblas_diagonal_iiT3_T4_lilT5_lili.kd
    .uniform_work_group_size: 1
    .uses_dynamic_stack: false
    .vgpr_count:     182
    .vgpr_spill_count: 0
    .wavefront_size: 64
  - .agpr_count:     0
    .args:
      - .offset:         0
        .size:           4
        .value_kind:     by_value
      - .offset:         4
        .size:           4
        .value_kind:     by_value
      - .offset:         8
        .size:           4
        .value_kind:     by_value
      - .offset:         12
        .size:           4
        .value_kind:     by_value
      - .offset:         16
        .size:           4
        .value_kind:     by_value
      - .offset:         24
        .size:           8
        .value_kind:     by_value
      - .address_space:  global
        .offset:         32
        .size:           8
        .value_kind:     global_buffer
      - .offset:         40
        .size:           8
        .value_kind:     by_value
      - .offset:         48
        .size:           4
        .value_kind:     by_value
      - .offset:         56
        .size:           8
        .value_kind:     by_value
      - .address_space:  global
        .offset:         64
        .size:           8
        .value_kind:     global_buffer
      - .offset:         72
        .size:           8
        .value_kind:     by_value
      - .offset:         80
        .size:           4
        .value_kind:     by_value
      - .offset:         88
        .size:           8
        .value_kind:     by_value
      - .offset:         96
        .size:           4
        .value_kind:     by_value
      - .offset:         104
        .size:           4
        .value_kind:     hidden_block_count_x
      - .offset:         108
        .size:           4
        .value_kind:     hidden_block_count_y
      - .offset:         112
        .size:           4
        .value_kind:     hidden_block_count_z
      - .offset:         116
        .size:           2
        .value_kind:     hidden_group_size_x
      - .offset:         118
        .size:           2
        .value_kind:     hidden_group_size_y
      - .offset:         120
        .size:           2
        .value_kind:     hidden_group_size_z
      - .offset:         122
        .size:           2
        .value_kind:     hidden_remainder_x
      - .offset:         124
        .size:           2
        .value_kind:     hidden_remainder_y
      - .offset:         126
        .size:           2
        .value_kind:     hidden_remainder_z
      - .offset:         144
        .size:           8
        .value_kind:     hidden_global_offset_x
      - .offset:         152
        .size:           8
        .value_kind:     hidden_global_offset_y
      - .offset:         160
        .size:           8
        .value_kind:     hidden_global_offset_z
      - .offset:         168
        .size:           2
        .value_kind:     hidden_grid_dims
    .group_segment_fixed_size: 32768
    .kernarg_segment_align: 8
    .kernarg_segment_size: 360
    .language:       OpenCL C
    .language_version:
      - 2
      - 0
    .max_flat_workgroup_size: 64
    .name:           _ZL30rocblas_trsm_small_left_deviceILi64ELi32ELb0EddPKdPdEv13rocblas_fill_18rocblas_operation_17rocblas_diagonal_iiT3_T4_lilT5_lili
    .private_segment_fixed_size: 0
    .sgpr_count:     49
    .sgpr_spill_count: 0
    .symbol:         _ZL30rocblas_trsm_small_left_deviceILi64ELi32ELb0EddPKdPdEv13rocblas_fill_18rocblas_operation_17rocblas_diagonal_iiT3_T4_lilT5_lili.kd
    .uniform_work_group_size: 1
    .uses_dynamic_stack: false
    .vgpr_count:     184
    .vgpr_spill_count: 0
    .wavefront_size: 64
  - .agpr_count:     20
    .args:
      - .offset:         0
        .size:           4
        .value_kind:     by_value
      - .offset:         4
        .size:           4
        .value_kind:     by_value
      - .offset:         8
        .size:           4
        .value_kind:     by_value
      - .offset:         12
        .size:           4
        .value_kind:     by_value
      - .offset:         16
        .size:           4
        .value_kind:     by_value
      - .offset:         24
        .size:           8
        .value_kind:     by_value
      - .address_space:  global
        .offset:         32
        .size:           8
        .value_kind:     global_buffer
      - .offset:         40
        .size:           8
        .value_kind:     by_value
      - .offset:         48
        .size:           4
        .value_kind:     by_value
      - .offset:         56
        .size:           8
        .value_kind:     by_value
      - .address_space:  global
        .offset:         64
        .size:           8
        .value_kind:     global_buffer
      - .offset:         72
        .size:           8
        .value_kind:     by_value
      - .offset:         80
        .size:           4
        .value_kind:     by_value
      - .offset:         88
        .size:           8
        .value_kind:     by_value
      - .offset:         96
        .size:           4
        .value_kind:     by_value
      - .offset:         104
        .size:           4
        .value_kind:     hidden_block_count_x
      - .offset:         108
        .size:           4
        .value_kind:     hidden_block_count_y
      - .offset:         112
        .size:           4
        .value_kind:     hidden_block_count_z
      - .offset:         116
        .size:           2
        .value_kind:     hidden_group_size_x
      - .offset:         118
        .size:           2
        .value_kind:     hidden_group_size_y
      - .offset:         120
        .size:           2
        .value_kind:     hidden_group_size_z
      - .offset:         122
        .size:           2
        .value_kind:     hidden_remainder_x
      - .offset:         124
        .size:           2
        .value_kind:     hidden_remainder_y
      - .offset:         126
        .size:           2
        .value_kind:     hidden_remainder_z
      - .offset:         144
        .size:           8
        .value_kind:     hidden_global_offset_x
      - .offset:         152
        .size:           8
        .value_kind:     hidden_global_offset_y
      - .offset:         160
        .size:           8
        .value_kind:     hidden_global_offset_z
      - .offset:         168
        .size:           2
        .value_kind:     hidden_grid_dims
    .group_segment_fixed_size: 65536
    .kernarg_segment_align: 8
    .kernarg_segment_size: 360
    .language:       OpenCL C
    .language_version:
      - 2
      - 0
    .max_flat_workgroup_size: 64
    .name:           _ZL38rocblas_trsm_small_left_device_sharedBILi64ELi32ELb1EddPKdPdEv13rocblas_fill_18rocblas_operation_17rocblas_diagonal_iiT3_T4_lilT5_lili
    .private_segment_fixed_size: 0
    .sgpr_count:     55
    .sgpr_spill_count: 0
    .symbol:         _ZL38rocblas_trsm_small_left_device_sharedBILi64ELi32ELb1EddPKdPdEv13rocblas_fill_18rocblas_operation_17rocblas_diagonal_iiT3_T4_lilT5_lili.kd
    .uniform_work_group_size: 1
    .uses_dynamic_stack: false
    .vgpr_count:     276
    .vgpr_spill_count: 0
    .wavefront_size: 64
  - .agpr_count:     6
    .args:
      - .offset:         0
        .size:           4
        .value_kind:     by_value
      - .offset:         4
        .size:           4
        .value_kind:     by_value
      - .offset:         8
        .size:           4
        .value_kind:     by_value
      - .offset:         12
        .size:           4
        .value_kind:     by_value
      - .offset:         16
        .size:           4
        .value_kind:     by_value
      - .offset:         24
        .size:           8
        .value_kind:     by_value
      - .address_space:  global
        .offset:         32
        .size:           8
        .value_kind:     global_buffer
      - .offset:         40
        .size:           8
        .value_kind:     by_value
      - .offset:         48
        .size:           4
        .value_kind:     by_value
      - .offset:         56
        .size:           8
        .value_kind:     by_value
      - .address_space:  global
        .offset:         64
        .size:           8
        .value_kind:     global_buffer
      - .offset:         72
        .size:           8
        .value_kind:     by_value
      - .offset:         80
        .size:           4
        .value_kind:     by_value
      - .offset:         88
        .size:           8
        .value_kind:     by_value
      - .offset:         96
        .size:           4
        .value_kind:     by_value
      - .offset:         104
        .size:           4
        .value_kind:     hidden_block_count_x
      - .offset:         108
        .size:           4
        .value_kind:     hidden_block_count_y
      - .offset:         112
        .size:           4
        .value_kind:     hidden_block_count_z
      - .offset:         116
        .size:           2
        .value_kind:     hidden_group_size_x
      - .offset:         118
        .size:           2
        .value_kind:     hidden_group_size_y
      - .offset:         120
        .size:           2
        .value_kind:     hidden_group_size_z
      - .offset:         122
        .size:           2
        .value_kind:     hidden_remainder_x
      - .offset:         124
        .size:           2
        .value_kind:     hidden_remainder_y
      - .offset:         126
        .size:           2
        .value_kind:     hidden_remainder_z
      - .offset:         144
        .size:           8
        .value_kind:     hidden_global_offset_x
      - .offset:         152
        .size:           8
        .value_kind:     hidden_global_offset_y
      - .offset:         160
        .size:           8
        .value_kind:     hidden_global_offset_z
      - .offset:         168
        .size:           2
        .value_kind:     hidden_grid_dims
    .group_segment_fixed_size: 32768
    .kernarg_segment_align: 8
    .kernarg_segment_size: 360
    .language:       OpenCL C
    .language_version:
      - 2
      - 0
    .max_flat_workgroup_size: 64
    .name:           _ZL30rocblas_trsm_small_left_deviceILi64ELi32ELb1EddPKdPdEv13rocblas_fill_18rocblas_operation_17rocblas_diagonal_iiT3_T4_lilT5_lili
    .private_segment_fixed_size: 0
    .sgpr_count:     41
    .sgpr_spill_count: 0
    .symbol:         _ZL30rocblas_trsm_small_left_deviceILi64ELi32ELb1EddPKdPdEv13rocblas_fill_18rocblas_operation_17rocblas_diagonal_iiT3_T4_lilT5_lili.kd
    .uniform_work_group_size: 1
    .uses_dynamic_stack: false
    .vgpr_count:     262
    .vgpr_spill_count: 0
    .wavefront_size: 64
  - .agpr_count:     0
    .args:
      - .offset:         0
        .size:           4
        .value_kind:     by_value
      - .offset:         4
        .size:           4
        .value_kind:     by_value
      - .offset:         8
        .size:           4
        .value_kind:     by_value
      - .offset:         12
        .size:           4
        .value_kind:     by_value
      - .offset:         16
        .size:           4
        .value_kind:     by_value
      - .offset:         24
        .size:           8
        .value_kind:     by_value
      - .address_space:  global
        .offset:         32
        .size:           8
        .value_kind:     global_buffer
      - .offset:         40
        .size:           8
        .value_kind:     by_value
      - .offset:         48
        .size:           4
        .value_kind:     by_value
      - .offset:         56
        .size:           8
        .value_kind:     by_value
      - .address_space:  global
        .offset:         64
        .size:           8
        .value_kind:     global_buffer
      - .offset:         72
        .size:           8
        .value_kind:     by_value
      - .offset:         80
        .size:           4
        .value_kind:     by_value
      - .offset:         88
        .size:           8
        .value_kind:     by_value
      - .offset:         96
        .size:           4
        .value_kind:     by_value
      - .offset:         104
        .size:           4
        .value_kind:     hidden_block_count_x
      - .offset:         108
        .size:           4
        .value_kind:     hidden_block_count_y
      - .offset:         112
        .size:           4
        .value_kind:     hidden_block_count_z
      - .offset:         116
        .size:           2
        .value_kind:     hidden_group_size_x
      - .offset:         118
        .size:           2
        .value_kind:     hidden_group_size_y
      - .offset:         120
        .size:           2
        .value_kind:     hidden_group_size_z
      - .offset:         122
        .size:           2
        .value_kind:     hidden_remainder_x
      - .offset:         124
        .size:           2
        .value_kind:     hidden_remainder_y
      - .offset:         126
        .size:           2
        .value_kind:     hidden_remainder_z
      - .offset:         144
        .size:           8
        .value_kind:     hidden_global_offset_x
      - .offset:         152
        .size:           8
        .value_kind:     hidden_global_offset_y
      - .offset:         160
        .size:           8
        .value_kind:     hidden_global_offset_z
      - .offset:         168
        .size:           2
        .value_kind:     hidden_grid_dims
    .group_segment_fixed_size: 65536
    .kernarg_segment_align: 8
    .kernarg_segment_size: 360
    .language:       OpenCL C
    .language_version:
      - 2
      - 0
    .max_flat_workgroup_size: 64
    .name:           _ZL31rocblas_trsm_small_right_deviceIddPKdPdLi64EEv13rocblas_fill_18rocblas_operation_17rocblas_diagonal_iiT0_T1_lilT2_lili
    .private_segment_fixed_size: 0
    .sgpr_count:     42
    .sgpr_spill_count: 0
    .symbol:         _ZL31rocblas_trsm_small_right_deviceIddPKdPdLi64EEv13rocblas_fill_18rocblas_operation_17rocblas_diagonal_iiT0_T1_lilT2_lili.kd
    .uniform_work_group_size: 1
    .uses_dynamic_stack: false
    .vgpr_count:     56
    .vgpr_spill_count: 0
    .wavefront_size: 64
  - .agpr_count:     0
    .args:
      - .offset:         0
        .size:           4
        .value_kind:     by_value
      - .offset:         8
        .size:           8
        .value_kind:     by_value
      - .offset:         16
        .size:           8
        .value_kind:     by_value
      - .offset:         24
        .size:           8
        .value_kind:     by_value
      - .address_space:  global
        .offset:         32
        .size:           8
        .value_kind:     global_buffer
      - .offset:         40
        .size:           8
        .value_kind:     by_value
      - .offset:         48
        .size:           8
        .value_kind:     by_value
      - .offset:         56
        .size:           8
        .value_kind:     by_value
      - .address_space:  global
        .offset:         64
        .size:           8
        .value_kind:     global_buffer
      - .offset:         72
        .size:           8
        .value_kind:     by_value
      - .offset:         80
        .size:           8
        .value_kind:     by_value
      - .offset:         88
        .size:           8
        .value_kind:     by_value
      - .offset:         96
        .size:           4
        .value_kind:     by_value
      - .offset:         100
        .size:           1
        .value_kind:     by_value
      - .offset:         104
        .size:           4
        .value_kind:     hidden_block_count_x
      - .offset:         108
        .size:           4
        .value_kind:     hidden_block_count_y
      - .offset:         112
        .size:           4
        .value_kind:     hidden_block_count_z
      - .offset:         116
        .size:           2
        .value_kind:     hidden_group_size_x
      - .offset:         118
        .size:           2
        .value_kind:     hidden_group_size_y
      - .offset:         120
        .size:           2
        .value_kind:     hidden_group_size_z
      - .offset:         122
        .size:           2
        .value_kind:     hidden_remainder_x
      - .offset:         124
        .size:           2
        .value_kind:     hidden_remainder_y
      - .offset:         126
        .size:           2
        .value_kind:     hidden_remainder_z
      - .offset:         144
        .size:           8
        .value_kind:     hidden_global_offset_x
      - .offset:         152
        .size:           8
        .value_kind:     hidden_global_offset_y
      - .offset:         160
        .size:           8
        .value_kind:     hidden_global_offset_z
      - .offset:         168
        .size:           2
        .value_kind:     hidden_grid_dims
      - .offset:         224
        .size:           4
        .value_kind:     hidden_dynamic_lds_size
    .group_segment_fixed_size: 0
    .kernarg_segment_align: 8
    .kernarg_segment_size: 360
    .language:       OpenCL C
    .language_version:
      - 2
      - 0
    .max_flat_workgroup_size: 1024
    .name:           _ZL39rocblas_trsm_block_forward_substitutionIddPKdPdLb0ELb0ELb0EEv18rocblas_operation_llT0_T1_lllT2_lllib
    .private_segment_fixed_size: 0
    .sgpr_count:     42
    .sgpr_spill_count: 0
    .symbol:         _ZL39rocblas_trsm_block_forward_substitutionIddPKdPdLb0ELb0ELb0EEv18rocblas_operation_llT0_T1_lllT2_lllib.kd
    .uniform_work_group_size: 1
    .uses_dynamic_stack: false
    .vgpr_count:     22
    .vgpr_spill_count: 0
    .wavefront_size: 64
  - .agpr_count:     0
    .args:
      - .offset:         0
        .size:           4
        .value_kind:     by_value
      - .offset:         8
        .size:           8
        .value_kind:     by_value
      - .offset:         16
        .size:           8
        .value_kind:     by_value
      - .offset:         24
        .size:           8
        .value_kind:     by_value
      - .address_space:  global
        .offset:         32
        .size:           8
        .value_kind:     global_buffer
      - .offset:         40
        .size:           8
        .value_kind:     by_value
      - .offset:         48
        .size:           8
        .value_kind:     by_value
      - .offset:         56
        .size:           8
        .value_kind:     by_value
      - .address_space:  global
        .offset:         64
        .size:           8
        .value_kind:     global_buffer
      - .offset:         72
        .size:           8
        .value_kind:     by_value
      - .offset:         80
        .size:           8
        .value_kind:     by_value
      - .offset:         88
        .size:           8
        .value_kind:     by_value
      - .offset:         96
        .size:           4
        .value_kind:     by_value
      - .offset:         100
        .size:           1
        .value_kind:     by_value
      - .offset:         104
        .size:           4
        .value_kind:     hidden_block_count_x
      - .offset:         108
        .size:           4
        .value_kind:     hidden_block_count_y
      - .offset:         112
        .size:           4
        .value_kind:     hidden_block_count_z
      - .offset:         116
        .size:           2
        .value_kind:     hidden_group_size_x
      - .offset:         118
        .size:           2
        .value_kind:     hidden_group_size_y
      - .offset:         120
        .size:           2
        .value_kind:     hidden_group_size_z
      - .offset:         122
        .size:           2
        .value_kind:     hidden_remainder_x
      - .offset:         124
        .size:           2
        .value_kind:     hidden_remainder_y
      - .offset:         126
        .size:           2
        .value_kind:     hidden_remainder_z
      - .offset:         144
        .size:           8
        .value_kind:     hidden_global_offset_x
      - .offset:         152
        .size:           8
        .value_kind:     hidden_global_offset_y
      - .offset:         160
        .size:           8
        .value_kind:     hidden_global_offset_z
      - .offset:         168
        .size:           2
        .value_kind:     hidden_grid_dims
      - .offset:         224
        .size:           4
        .value_kind:     hidden_dynamic_lds_size
    .group_segment_fixed_size: 0
    .kernarg_segment_align: 8
    .kernarg_segment_size: 360
    .language:       OpenCL C
    .language_version:
      - 2
      - 0
    .max_flat_workgroup_size: 1024
    .name:           _ZL40rocblas_trsm_block_backward_substitutionIddPKdPdLb0ELb0ELb0EEv18rocblas_operation_llT0_T1_lllT2_lllib
    .private_segment_fixed_size: 0
    .sgpr_count:     46
    .sgpr_spill_count: 0
    .symbol:         _ZL40rocblas_trsm_block_backward_substitutionIddPKdPdLb0ELb0ELb0EEv18rocblas_operation_llT0_T1_lllT2_lllib.kd
    .uniform_work_group_size: 1
    .uses_dynamic_stack: false
    .vgpr_count:     22
    .vgpr_spill_count: 0
    .wavefront_size: 64
  - .agpr_count:     0
    .args:
      - .offset:         0
        .size:           4
        .value_kind:     by_value
      - .offset:         8
        .size:           8
        .value_kind:     by_value
      - .offset:         16
        .size:           8
        .value_kind:     by_value
      - .offset:         24
        .size:           8
        .value_kind:     by_value
      - .address_space:  global
        .offset:         32
        .size:           8
        .value_kind:     global_buffer
      - .offset:         40
        .size:           8
        .value_kind:     by_value
      - .offset:         48
        .size:           8
        .value_kind:     by_value
      - .offset:         56
        .size:           8
        .value_kind:     by_value
      - .address_space:  global
        .offset:         64
        .size:           8
        .value_kind:     global_buffer
      - .offset:         72
        .size:           8
        .value_kind:     by_value
      - .offset:         80
        .size:           8
        .value_kind:     by_value
      - .offset:         88
        .size:           8
        .value_kind:     by_value
      - .offset:         96
        .size:           4
        .value_kind:     by_value
      - .offset:         100
        .size:           1
        .value_kind:     by_value
      - .offset:         104
        .size:           4
        .value_kind:     hidden_block_count_x
      - .offset:         108
        .size:           4
        .value_kind:     hidden_block_count_y
      - .offset:         112
        .size:           4
        .value_kind:     hidden_block_count_z
      - .offset:         116
        .size:           2
        .value_kind:     hidden_group_size_x
      - .offset:         118
        .size:           2
        .value_kind:     hidden_group_size_y
      - .offset:         120
        .size:           2
        .value_kind:     hidden_group_size_z
      - .offset:         122
        .size:           2
        .value_kind:     hidden_remainder_x
      - .offset:         124
        .size:           2
        .value_kind:     hidden_remainder_y
      - .offset:         126
        .size:           2
        .value_kind:     hidden_remainder_z
      - .offset:         144
        .size:           8
        .value_kind:     hidden_global_offset_x
      - .offset:         152
        .size:           8
        .value_kind:     hidden_global_offset_y
      - .offset:         160
        .size:           8
        .value_kind:     hidden_global_offset_z
      - .offset:         168
        .size:           2
        .value_kind:     hidden_grid_dims
      - .offset:         224
        .size:           4
        .value_kind:     hidden_dynamic_lds_size
    .group_segment_fixed_size: 0
    .kernarg_segment_align: 8
    .kernarg_segment_size: 360
    .language:       OpenCL C
    .language_version:
      - 2
      - 0
    .max_flat_workgroup_size: 1024
    .name:           _ZL39rocblas_trsm_block_forward_substitutionIddPKdPdLb0ELb0ELb1EEv18rocblas_operation_llT0_T1_lllT2_lllib
    .private_segment_fixed_size: 0
    .sgpr_count:     36
    .sgpr_spill_count: 0
    .symbol:         _ZL39rocblas_trsm_block_forward_substitutionIddPKdPdLb0ELb0ELb1EEv18rocblas_operation_llT0_T1_lllT2_lllib.kd
    .uniform_work_group_size: 1
    .uses_dynamic_stack: false
    .vgpr_count:     14
    .vgpr_spill_count: 0
    .wavefront_size: 64
  - .agpr_count:     0
    .args:
      - .offset:         0
        .size:           4
        .value_kind:     by_value
      - .offset:         8
        .size:           8
        .value_kind:     by_value
      - .offset:         16
        .size:           8
        .value_kind:     by_value
      - .offset:         24
        .size:           8
        .value_kind:     by_value
      - .address_space:  global
        .offset:         32
        .size:           8
        .value_kind:     global_buffer
      - .offset:         40
        .size:           8
        .value_kind:     by_value
      - .offset:         48
        .size:           8
        .value_kind:     by_value
      - .offset:         56
        .size:           8
        .value_kind:     by_value
      - .address_space:  global
        .offset:         64
        .size:           8
        .value_kind:     global_buffer
      - .offset:         72
        .size:           8
        .value_kind:     by_value
      - .offset:         80
        .size:           8
        .value_kind:     by_value
      - .offset:         88
        .size:           8
        .value_kind:     by_value
      - .offset:         96
        .size:           4
        .value_kind:     by_value
      - .offset:         100
        .size:           1
        .value_kind:     by_value
      - .offset:         104
        .size:           4
        .value_kind:     hidden_block_count_x
      - .offset:         108
        .size:           4
        .value_kind:     hidden_block_count_y
      - .offset:         112
        .size:           4
        .value_kind:     hidden_block_count_z
      - .offset:         116
        .size:           2
        .value_kind:     hidden_group_size_x
      - .offset:         118
        .size:           2
        .value_kind:     hidden_group_size_y
      - .offset:         120
        .size:           2
        .value_kind:     hidden_group_size_z
      - .offset:         122
        .size:           2
        .value_kind:     hidden_remainder_x
      - .offset:         124
        .size:           2
        .value_kind:     hidden_remainder_y
      - .offset:         126
        .size:           2
        .value_kind:     hidden_remainder_z
      - .offset:         144
        .size:           8
        .value_kind:     hidden_global_offset_x
      - .offset:         152
        .size:           8
        .value_kind:     hidden_global_offset_y
      - .offset:         160
        .size:           8
        .value_kind:     hidden_global_offset_z
      - .offset:         168
        .size:           2
        .value_kind:     hidden_grid_dims
      - .offset:         224
        .size:           4
        .value_kind:     hidden_dynamic_lds_size
    .group_segment_fixed_size: 0
    .kernarg_segment_align: 8
    .kernarg_segment_size: 360
    .language:       OpenCL C
    .language_version:
      - 2
      - 0
    .max_flat_workgroup_size: 1024
    .name:           _ZL40rocblas_trsm_block_backward_substitutionIddPKdPdLb0ELb0ELb1EEv18rocblas_operation_llT0_T1_lllT2_lllib
    .private_segment_fixed_size: 0
    .sgpr_count:     32
    .sgpr_spill_count: 0
    .symbol:         _ZL40rocblas_trsm_block_backward_substitutionIddPKdPdLb0ELb0ELb1EEv18rocblas_operation_llT0_T1_lllT2_lllib.kd
    .uniform_work_group_size: 1
    .uses_dynamic_stack: false
    .vgpr_count:     14
    .vgpr_spill_count: 0
    .wavefront_size: 64
  - .agpr_count:     0
    .args:
      - .offset:         0
        .size:           4
        .value_kind:     by_value
      - .offset:         8
        .size:           8
        .value_kind:     by_value
      - .offset:         16
        .size:           8
        .value_kind:     by_value
      - .offset:         24
        .size:           8
        .value_kind:     by_value
      - .address_space:  global
        .offset:         32
        .size:           8
        .value_kind:     global_buffer
      - .offset:         40
        .size:           8
        .value_kind:     by_value
      - .offset:         48
        .size:           8
        .value_kind:     by_value
      - .offset:         56
        .size:           8
        .value_kind:     by_value
      - .address_space:  global
        .offset:         64
        .size:           8
        .value_kind:     global_buffer
      - .offset:         72
        .size:           8
        .value_kind:     by_value
      - .offset:         80
        .size:           8
        .value_kind:     by_value
      - .offset:         88
        .size:           8
        .value_kind:     by_value
      - .offset:         96
        .size:           4
        .value_kind:     by_value
      - .offset:         100
        .size:           1
        .value_kind:     by_value
      - .offset:         104
        .size:           4
        .value_kind:     hidden_block_count_x
      - .offset:         108
        .size:           4
        .value_kind:     hidden_block_count_y
      - .offset:         112
        .size:           4
        .value_kind:     hidden_block_count_z
      - .offset:         116
        .size:           2
        .value_kind:     hidden_group_size_x
      - .offset:         118
        .size:           2
        .value_kind:     hidden_group_size_y
      - .offset:         120
        .size:           2
        .value_kind:     hidden_group_size_z
      - .offset:         122
        .size:           2
        .value_kind:     hidden_remainder_x
      - .offset:         124
        .size:           2
        .value_kind:     hidden_remainder_y
      - .offset:         126
        .size:           2
        .value_kind:     hidden_remainder_z
      - .offset:         144
        .size:           8
        .value_kind:     hidden_global_offset_x
      - .offset:         152
        .size:           8
        .value_kind:     hidden_global_offset_y
      - .offset:         160
        .size:           8
        .value_kind:     hidden_global_offset_z
      - .offset:         168
        .size:           2
        .value_kind:     hidden_grid_dims
      - .offset:         224
        .size:           4
        .value_kind:     hidden_dynamic_lds_size
    .group_segment_fixed_size: 0
    .kernarg_segment_align: 8
    .kernarg_segment_size: 360
    .language:       OpenCL C
    .language_version:
      - 2
      - 0
    .max_flat_workgroup_size: 1024
    .name:           _ZL39rocblas_trsm_block_forward_substitutionIddPKdPdLb0ELb1ELb0EEv18rocblas_operation_llT0_T1_lllT2_lllib
    .private_segment_fixed_size: 0
    .sgpr_count:     42
    .sgpr_spill_count: 0
    .symbol:         _ZL39rocblas_trsm_block_forward_substitutionIddPKdPdLb0ELb1ELb0EEv18rocblas_operation_llT0_T1_lllT2_lllib.kd
    .uniform_work_group_size: 1
    .uses_dynamic_stack: false
    .vgpr_count:     22
    .vgpr_spill_count: 0
    .wavefront_size: 64
  - .agpr_count:     0
    .args:
      - .offset:         0
        .size:           4
        .value_kind:     by_value
      - .offset:         8
        .size:           8
        .value_kind:     by_value
      - .offset:         16
        .size:           8
        .value_kind:     by_value
      - .offset:         24
        .size:           8
        .value_kind:     by_value
      - .address_space:  global
        .offset:         32
        .size:           8
        .value_kind:     global_buffer
      - .offset:         40
        .size:           8
        .value_kind:     by_value
      - .offset:         48
        .size:           8
        .value_kind:     by_value
      - .offset:         56
        .size:           8
        .value_kind:     by_value
      - .address_space:  global
        .offset:         64
        .size:           8
        .value_kind:     global_buffer
      - .offset:         72
        .size:           8
        .value_kind:     by_value
      - .offset:         80
        .size:           8
        .value_kind:     by_value
      - .offset:         88
        .size:           8
        .value_kind:     by_value
      - .offset:         96
        .size:           4
        .value_kind:     by_value
      - .offset:         100
        .size:           1
        .value_kind:     by_value
      - .offset:         104
        .size:           4
        .value_kind:     hidden_block_count_x
      - .offset:         108
        .size:           4
        .value_kind:     hidden_block_count_y
      - .offset:         112
        .size:           4
        .value_kind:     hidden_block_count_z
      - .offset:         116
        .size:           2
        .value_kind:     hidden_group_size_x
      - .offset:         118
        .size:           2
        .value_kind:     hidden_group_size_y
      - .offset:         120
        .size:           2
        .value_kind:     hidden_group_size_z
      - .offset:         122
        .size:           2
        .value_kind:     hidden_remainder_x
      - .offset:         124
        .size:           2
        .value_kind:     hidden_remainder_y
      - .offset:         126
        .size:           2
        .value_kind:     hidden_remainder_z
      - .offset:         144
        .size:           8
        .value_kind:     hidden_global_offset_x
      - .offset:         152
        .size:           8
        .value_kind:     hidden_global_offset_y
      - .offset:         160
        .size:           8
        .value_kind:     hidden_global_offset_z
      - .offset:         168
        .size:           2
        .value_kind:     hidden_grid_dims
      - .offset:         224
        .size:           4
        .value_kind:     hidden_dynamic_lds_size
    .group_segment_fixed_size: 0
    .kernarg_segment_align: 8
    .kernarg_segment_size: 360
    .language:       OpenCL C
    .language_version:
      - 2
      - 0
    .max_flat_workgroup_size: 1024
    .name:           _ZL40rocblas_trsm_block_backward_substitutionIddPKdPdLb0ELb1ELb0EEv18rocblas_operation_llT0_T1_lllT2_lllib
    .private_segment_fixed_size: 0
    .sgpr_count:     46
    .sgpr_spill_count: 0
    .symbol:         _ZL40rocblas_trsm_block_backward_substitutionIddPKdPdLb0ELb1ELb0EEv18rocblas_operation_llT0_T1_lllT2_lllib.kd
    .uniform_work_group_size: 1
    .uses_dynamic_stack: false
    .vgpr_count:     22
    .vgpr_spill_count: 0
    .wavefront_size: 64
  - .agpr_count:     0
    .args:
      - .offset:         0
        .size:           4
        .value_kind:     by_value
      - .offset:         8
        .size:           8
        .value_kind:     by_value
      - .offset:         16
        .size:           8
        .value_kind:     by_value
      - .offset:         24
        .size:           8
        .value_kind:     by_value
      - .address_space:  global
        .offset:         32
        .size:           8
        .value_kind:     global_buffer
      - .offset:         40
        .size:           8
        .value_kind:     by_value
      - .offset:         48
        .size:           8
        .value_kind:     by_value
      - .offset:         56
        .size:           8
        .value_kind:     by_value
      - .address_space:  global
        .offset:         64
        .size:           8
        .value_kind:     global_buffer
      - .offset:         72
        .size:           8
        .value_kind:     by_value
      - .offset:         80
        .size:           8
        .value_kind:     by_value
      - .offset:         88
        .size:           8
        .value_kind:     by_value
      - .offset:         96
        .size:           4
        .value_kind:     by_value
      - .offset:         100
        .size:           1
        .value_kind:     by_value
      - .offset:         104
        .size:           4
        .value_kind:     hidden_block_count_x
      - .offset:         108
        .size:           4
        .value_kind:     hidden_block_count_y
      - .offset:         112
        .size:           4
        .value_kind:     hidden_block_count_z
      - .offset:         116
        .size:           2
        .value_kind:     hidden_group_size_x
      - .offset:         118
        .size:           2
        .value_kind:     hidden_group_size_y
      - .offset:         120
        .size:           2
        .value_kind:     hidden_group_size_z
      - .offset:         122
        .size:           2
        .value_kind:     hidden_remainder_x
      - .offset:         124
        .size:           2
        .value_kind:     hidden_remainder_y
      - .offset:         126
        .size:           2
        .value_kind:     hidden_remainder_z
      - .offset:         144
        .size:           8
        .value_kind:     hidden_global_offset_x
      - .offset:         152
        .size:           8
        .value_kind:     hidden_global_offset_y
      - .offset:         160
        .size:           8
        .value_kind:     hidden_global_offset_z
      - .offset:         168
        .size:           2
        .value_kind:     hidden_grid_dims
      - .offset:         224
        .size:           4
        .value_kind:     hidden_dynamic_lds_size
    .group_segment_fixed_size: 0
    .kernarg_segment_align: 8
    .kernarg_segment_size: 360
    .language:       OpenCL C
    .language_version:
      - 2
      - 0
    .max_flat_workgroup_size: 1024
    .name:           _ZL39rocblas_trsm_block_forward_substitutionIddPKdPdLb0ELb1ELb1EEv18rocblas_operation_llT0_T1_lllT2_lllib
    .private_segment_fixed_size: 0
    .sgpr_count:     36
    .sgpr_spill_count: 0
    .symbol:         _ZL39rocblas_trsm_block_forward_substitutionIddPKdPdLb0ELb1ELb1EEv18rocblas_operation_llT0_T1_lllT2_lllib.kd
    .uniform_work_group_size: 1
    .uses_dynamic_stack: false
    .vgpr_count:     14
    .vgpr_spill_count: 0
    .wavefront_size: 64
  - .agpr_count:     0
    .args:
      - .offset:         0
        .size:           4
        .value_kind:     by_value
      - .offset:         8
        .size:           8
        .value_kind:     by_value
      - .offset:         16
        .size:           8
        .value_kind:     by_value
      - .offset:         24
        .size:           8
        .value_kind:     by_value
      - .address_space:  global
        .offset:         32
        .size:           8
        .value_kind:     global_buffer
      - .offset:         40
        .size:           8
        .value_kind:     by_value
      - .offset:         48
        .size:           8
        .value_kind:     by_value
      - .offset:         56
        .size:           8
        .value_kind:     by_value
      - .address_space:  global
        .offset:         64
        .size:           8
        .value_kind:     global_buffer
      - .offset:         72
        .size:           8
        .value_kind:     by_value
      - .offset:         80
        .size:           8
        .value_kind:     by_value
      - .offset:         88
        .size:           8
        .value_kind:     by_value
      - .offset:         96
        .size:           4
        .value_kind:     by_value
      - .offset:         100
        .size:           1
        .value_kind:     by_value
      - .offset:         104
        .size:           4
        .value_kind:     hidden_block_count_x
      - .offset:         108
        .size:           4
        .value_kind:     hidden_block_count_y
      - .offset:         112
        .size:           4
        .value_kind:     hidden_block_count_z
      - .offset:         116
        .size:           2
        .value_kind:     hidden_group_size_x
      - .offset:         118
        .size:           2
        .value_kind:     hidden_group_size_y
      - .offset:         120
        .size:           2
        .value_kind:     hidden_group_size_z
      - .offset:         122
        .size:           2
        .value_kind:     hidden_remainder_x
      - .offset:         124
        .size:           2
        .value_kind:     hidden_remainder_y
      - .offset:         126
        .size:           2
        .value_kind:     hidden_remainder_z
      - .offset:         144
        .size:           8
        .value_kind:     hidden_global_offset_x
      - .offset:         152
        .size:           8
        .value_kind:     hidden_global_offset_y
      - .offset:         160
        .size:           8
        .value_kind:     hidden_global_offset_z
      - .offset:         168
        .size:           2
        .value_kind:     hidden_grid_dims
      - .offset:         224
        .size:           4
        .value_kind:     hidden_dynamic_lds_size
    .group_segment_fixed_size: 0
    .kernarg_segment_align: 8
    .kernarg_segment_size: 360
    .language:       OpenCL C
    .language_version:
      - 2
      - 0
    .max_flat_workgroup_size: 1024
    .name:           _ZL40rocblas_trsm_block_backward_substitutionIddPKdPdLb0ELb1ELb1EEv18rocblas_operation_llT0_T1_lllT2_lllib
    .private_segment_fixed_size: 0
    .sgpr_count:     32
    .sgpr_spill_count: 0
    .symbol:         _ZL40rocblas_trsm_block_backward_substitutionIddPKdPdLb0ELb1ELb1EEv18rocblas_operation_llT0_T1_lllT2_lllib.kd
    .uniform_work_group_size: 1
    .uses_dynamic_stack: false
    .vgpr_count:     14
    .vgpr_spill_count: 0
    .wavefront_size: 64
  - .agpr_count:     0
    .args:
      - .offset:         0
        .size:           4
        .value_kind:     by_value
      - .offset:         8
        .size:           8
        .value_kind:     by_value
      - .offset:         16
        .size:           8
        .value_kind:     by_value
      - .offset:         24
        .size:           8
        .value_kind:     by_value
      - .address_space:  global
        .offset:         32
        .size:           8
        .value_kind:     global_buffer
      - .offset:         40
        .size:           8
        .value_kind:     by_value
      - .offset:         48
        .size:           8
        .value_kind:     by_value
      - .offset:         56
        .size:           8
        .value_kind:     by_value
      - .address_space:  global
        .offset:         64
        .size:           8
        .value_kind:     global_buffer
      - .offset:         72
        .size:           8
        .value_kind:     by_value
      - .offset:         80
        .size:           8
        .value_kind:     by_value
      - .offset:         88
        .size:           8
        .value_kind:     by_value
      - .offset:         96
        .size:           4
        .value_kind:     by_value
      - .offset:         100
        .size:           1
        .value_kind:     by_value
      - .offset:         104
        .size:           4
        .value_kind:     hidden_block_count_x
      - .offset:         108
        .size:           4
        .value_kind:     hidden_block_count_y
      - .offset:         112
        .size:           4
        .value_kind:     hidden_block_count_z
      - .offset:         116
        .size:           2
        .value_kind:     hidden_group_size_x
      - .offset:         118
        .size:           2
        .value_kind:     hidden_group_size_y
      - .offset:         120
        .size:           2
        .value_kind:     hidden_group_size_z
      - .offset:         122
        .size:           2
        .value_kind:     hidden_remainder_x
      - .offset:         124
        .size:           2
        .value_kind:     hidden_remainder_y
      - .offset:         126
        .size:           2
        .value_kind:     hidden_remainder_z
      - .offset:         144
        .size:           8
        .value_kind:     hidden_global_offset_x
      - .offset:         152
        .size:           8
        .value_kind:     hidden_global_offset_y
      - .offset:         160
        .size:           8
        .value_kind:     hidden_global_offset_z
      - .offset:         168
        .size:           2
        .value_kind:     hidden_grid_dims
      - .offset:         224
        .size:           4
        .value_kind:     hidden_dynamic_lds_size
    .group_segment_fixed_size: 0
    .kernarg_segment_align: 8
    .kernarg_segment_size: 360
    .language:       OpenCL C
    .language_version:
      - 2
      - 0
    .max_flat_workgroup_size: 1024
    .name:           _ZL39rocblas_trsm_block_forward_substitutionIddPKdPdLb1ELb1ELb0EEv18rocblas_operation_llT0_T1_lllT2_lllib
    .private_segment_fixed_size: 0
    .sgpr_count:     42
    .sgpr_spill_count: 0
    .symbol:         _ZL39rocblas_trsm_block_forward_substitutionIddPKdPdLb1ELb1ELb0EEv18rocblas_operation_llT0_T1_lllT2_lllib.kd
    .uniform_work_group_size: 1
    .uses_dynamic_stack: false
    .vgpr_count:     22
    .vgpr_spill_count: 0
    .wavefront_size: 64
  - .agpr_count:     0
    .args:
      - .offset:         0
        .size:           4
        .value_kind:     by_value
      - .offset:         8
        .size:           8
        .value_kind:     by_value
      - .offset:         16
        .size:           8
        .value_kind:     by_value
      - .offset:         24
        .size:           8
        .value_kind:     by_value
      - .address_space:  global
        .offset:         32
        .size:           8
        .value_kind:     global_buffer
      - .offset:         40
        .size:           8
        .value_kind:     by_value
      - .offset:         48
        .size:           8
        .value_kind:     by_value
      - .offset:         56
        .size:           8
        .value_kind:     by_value
      - .address_space:  global
        .offset:         64
        .size:           8
        .value_kind:     global_buffer
      - .offset:         72
        .size:           8
        .value_kind:     by_value
      - .offset:         80
        .size:           8
        .value_kind:     by_value
      - .offset:         88
        .size:           8
        .value_kind:     by_value
      - .offset:         96
        .size:           4
        .value_kind:     by_value
      - .offset:         100
        .size:           1
        .value_kind:     by_value
      - .offset:         104
        .size:           4
        .value_kind:     hidden_block_count_x
      - .offset:         108
        .size:           4
        .value_kind:     hidden_block_count_y
      - .offset:         112
        .size:           4
        .value_kind:     hidden_block_count_z
      - .offset:         116
        .size:           2
        .value_kind:     hidden_group_size_x
      - .offset:         118
        .size:           2
        .value_kind:     hidden_group_size_y
      - .offset:         120
        .size:           2
        .value_kind:     hidden_group_size_z
      - .offset:         122
        .size:           2
        .value_kind:     hidden_remainder_x
      - .offset:         124
        .size:           2
        .value_kind:     hidden_remainder_y
      - .offset:         126
        .size:           2
        .value_kind:     hidden_remainder_z
      - .offset:         144
        .size:           8
        .value_kind:     hidden_global_offset_x
      - .offset:         152
        .size:           8
        .value_kind:     hidden_global_offset_y
      - .offset:         160
        .size:           8
        .value_kind:     hidden_global_offset_z
      - .offset:         168
        .size:           2
        .value_kind:     hidden_grid_dims
      - .offset:         224
        .size:           4
        .value_kind:     hidden_dynamic_lds_size
    .group_segment_fixed_size: 0
    .kernarg_segment_align: 8
    .kernarg_segment_size: 360
    .language:       OpenCL C
    .language_version:
      - 2
      - 0
    .max_flat_workgroup_size: 1024
    .name:           _ZL40rocblas_trsm_block_backward_substitutionIddPKdPdLb1ELb1ELb0EEv18rocblas_operation_llT0_T1_lllT2_lllib
    .private_segment_fixed_size: 0
    .sgpr_count:     46
    .sgpr_spill_count: 0
    .symbol:         _ZL40rocblas_trsm_block_backward_substitutionIddPKdPdLb1ELb1ELb0EEv18rocblas_operation_llT0_T1_lllT2_lllib.kd
    .uniform_work_group_size: 1
    .uses_dynamic_stack: false
    .vgpr_count:     22
    .vgpr_spill_count: 0
    .wavefront_size: 64
  - .agpr_count:     0
    .args:
      - .offset:         0
        .size:           4
        .value_kind:     by_value
      - .offset:         8
        .size:           8
        .value_kind:     by_value
      - .offset:         16
        .size:           8
        .value_kind:     by_value
      - .offset:         24
        .size:           8
        .value_kind:     by_value
      - .address_space:  global
        .offset:         32
        .size:           8
        .value_kind:     global_buffer
      - .offset:         40
        .size:           8
        .value_kind:     by_value
      - .offset:         48
        .size:           8
        .value_kind:     by_value
      - .offset:         56
        .size:           8
        .value_kind:     by_value
      - .address_space:  global
        .offset:         64
        .size:           8
        .value_kind:     global_buffer
      - .offset:         72
        .size:           8
        .value_kind:     by_value
      - .offset:         80
        .size:           8
        .value_kind:     by_value
      - .offset:         88
        .size:           8
        .value_kind:     by_value
      - .offset:         96
        .size:           4
        .value_kind:     by_value
      - .offset:         100
        .size:           1
        .value_kind:     by_value
      - .offset:         104
        .size:           4
        .value_kind:     hidden_block_count_x
      - .offset:         108
        .size:           4
        .value_kind:     hidden_block_count_y
      - .offset:         112
        .size:           4
        .value_kind:     hidden_block_count_z
      - .offset:         116
        .size:           2
        .value_kind:     hidden_group_size_x
      - .offset:         118
        .size:           2
        .value_kind:     hidden_group_size_y
      - .offset:         120
        .size:           2
        .value_kind:     hidden_group_size_z
      - .offset:         122
        .size:           2
        .value_kind:     hidden_remainder_x
      - .offset:         124
        .size:           2
        .value_kind:     hidden_remainder_y
      - .offset:         126
        .size:           2
        .value_kind:     hidden_remainder_z
      - .offset:         144
        .size:           8
        .value_kind:     hidden_global_offset_x
      - .offset:         152
        .size:           8
        .value_kind:     hidden_global_offset_y
      - .offset:         160
        .size:           8
        .value_kind:     hidden_global_offset_z
      - .offset:         168
        .size:           2
        .value_kind:     hidden_grid_dims
      - .offset:         224
        .size:           4
        .value_kind:     hidden_dynamic_lds_size
    .group_segment_fixed_size: 0
    .kernarg_segment_align: 8
    .kernarg_segment_size: 360
    .language:       OpenCL C
    .language_version:
      - 2
      - 0
    .max_flat_workgroup_size: 1024
    .name:           _ZL39rocblas_trsm_block_forward_substitutionIddPKdPdLb1ELb1ELb1EEv18rocblas_operation_llT0_T1_lllT2_lllib
    .private_segment_fixed_size: 0
    .sgpr_count:     32
    .sgpr_spill_count: 0
    .symbol:         _ZL39rocblas_trsm_block_forward_substitutionIddPKdPdLb1ELb1ELb1EEv18rocblas_operation_llT0_T1_lllT2_lllib.kd
    .uniform_work_group_size: 1
    .uses_dynamic_stack: false
    .vgpr_count:     14
    .vgpr_spill_count: 0
    .wavefront_size: 64
  - .agpr_count:     0
    .args:
      - .offset:         0
        .size:           4
        .value_kind:     by_value
      - .offset:         8
        .size:           8
        .value_kind:     by_value
      - .offset:         16
        .size:           8
        .value_kind:     by_value
      - .offset:         24
        .size:           8
        .value_kind:     by_value
      - .address_space:  global
        .offset:         32
        .size:           8
        .value_kind:     global_buffer
      - .offset:         40
        .size:           8
        .value_kind:     by_value
      - .offset:         48
        .size:           8
        .value_kind:     by_value
      - .offset:         56
        .size:           8
        .value_kind:     by_value
      - .address_space:  global
        .offset:         64
        .size:           8
        .value_kind:     global_buffer
      - .offset:         72
        .size:           8
        .value_kind:     by_value
      - .offset:         80
        .size:           8
        .value_kind:     by_value
      - .offset:         88
        .size:           8
        .value_kind:     by_value
      - .offset:         96
        .size:           4
        .value_kind:     by_value
      - .offset:         100
        .size:           1
        .value_kind:     by_value
      - .offset:         104
        .size:           4
        .value_kind:     hidden_block_count_x
      - .offset:         108
        .size:           4
        .value_kind:     hidden_block_count_y
      - .offset:         112
        .size:           4
        .value_kind:     hidden_block_count_z
      - .offset:         116
        .size:           2
        .value_kind:     hidden_group_size_x
      - .offset:         118
        .size:           2
        .value_kind:     hidden_group_size_y
      - .offset:         120
        .size:           2
        .value_kind:     hidden_group_size_z
      - .offset:         122
        .size:           2
        .value_kind:     hidden_remainder_x
      - .offset:         124
        .size:           2
        .value_kind:     hidden_remainder_y
      - .offset:         126
        .size:           2
        .value_kind:     hidden_remainder_z
      - .offset:         144
        .size:           8
        .value_kind:     hidden_global_offset_x
      - .offset:         152
        .size:           8
        .value_kind:     hidden_global_offset_y
      - .offset:         160
        .size:           8
        .value_kind:     hidden_global_offset_z
      - .offset:         168
        .size:           2
        .value_kind:     hidden_grid_dims
      - .offset:         224
        .size:           4
        .value_kind:     hidden_dynamic_lds_size
    .group_segment_fixed_size: 0
    .kernarg_segment_align: 8
    .kernarg_segment_size: 360
    .language:       OpenCL C
    .language_version:
      - 2
      - 0
    .max_flat_workgroup_size: 1024
    .name:           _ZL40rocblas_trsm_block_backward_substitutionIddPKdPdLb1ELb1ELb1EEv18rocblas_operation_llT0_T1_lllT2_lllib
    .private_segment_fixed_size: 0
    .sgpr_count:     36
    .sgpr_spill_count: 0
    .symbol:         _ZL40rocblas_trsm_block_backward_substitutionIddPKdPdLb1ELb1ELb1EEv18rocblas_operation_llT0_T1_lllT2_lllib.kd
    .uniform_work_group_size: 1
    .uses_dynamic_stack: false
    .vgpr_count:     14
    .vgpr_spill_count: 0
    .wavefront_size: 64
  - .agpr_count:     0
    .args:
      - .offset:         0
        .size:           4
        .value_kind:     by_value
      - .offset:         8
        .size:           8
        .value_kind:     by_value
      - .offset:         16
        .size:           8
        .value_kind:     by_value
      - .offset:         24
        .size:           8
        .value_kind:     by_value
      - .address_space:  global
        .offset:         32
        .size:           8
        .value_kind:     global_buffer
      - .offset:         40
        .size:           8
        .value_kind:     by_value
      - .offset:         48
        .size:           8
        .value_kind:     by_value
      - .offset:         56
        .size:           8
        .value_kind:     by_value
      - .address_space:  global
        .offset:         64
        .size:           8
        .value_kind:     global_buffer
      - .offset:         72
        .size:           8
        .value_kind:     by_value
      - .offset:         80
        .size:           8
        .value_kind:     by_value
      - .offset:         88
        .size:           8
        .value_kind:     by_value
      - .offset:         96
        .size:           4
        .value_kind:     by_value
      - .offset:         100
        .size:           1
        .value_kind:     by_value
      - .offset:         104
        .size:           4
        .value_kind:     hidden_block_count_x
      - .offset:         108
        .size:           4
        .value_kind:     hidden_block_count_y
      - .offset:         112
        .size:           4
        .value_kind:     hidden_block_count_z
      - .offset:         116
        .size:           2
        .value_kind:     hidden_group_size_x
      - .offset:         118
        .size:           2
        .value_kind:     hidden_group_size_y
      - .offset:         120
        .size:           2
        .value_kind:     hidden_group_size_z
      - .offset:         122
        .size:           2
        .value_kind:     hidden_remainder_x
      - .offset:         124
        .size:           2
        .value_kind:     hidden_remainder_y
      - .offset:         126
        .size:           2
        .value_kind:     hidden_remainder_z
      - .offset:         144
        .size:           8
        .value_kind:     hidden_global_offset_x
      - .offset:         152
        .size:           8
        .value_kind:     hidden_global_offset_y
      - .offset:         160
        .size:           8
        .value_kind:     hidden_global_offset_z
      - .offset:         168
        .size:           2
        .value_kind:     hidden_grid_dims
      - .offset:         224
        .size:           4
        .value_kind:     hidden_dynamic_lds_size
    .group_segment_fixed_size: 0
    .kernarg_segment_align: 8
    .kernarg_segment_size: 360
    .language:       OpenCL C
    .language_version:
      - 2
      - 0
    .max_flat_workgroup_size: 1024
    .name:           _ZL39rocblas_trsm_block_forward_substitutionIddPKdPdLb1ELb0ELb0EEv18rocblas_operation_llT0_T1_lllT2_lllib
    .private_segment_fixed_size: 0
    .sgpr_count:     42
    .sgpr_spill_count: 0
    .symbol:         _ZL39rocblas_trsm_block_forward_substitutionIddPKdPdLb1ELb0ELb0EEv18rocblas_operation_llT0_T1_lllT2_lllib.kd
    .uniform_work_group_size: 1
    .uses_dynamic_stack: false
    .vgpr_count:     22
    .vgpr_spill_count: 0
    .wavefront_size: 64
  - .agpr_count:     0
    .args:
      - .offset:         0
        .size:           4
        .value_kind:     by_value
      - .offset:         8
        .size:           8
        .value_kind:     by_value
      - .offset:         16
        .size:           8
        .value_kind:     by_value
      - .offset:         24
        .size:           8
        .value_kind:     by_value
      - .address_space:  global
        .offset:         32
        .size:           8
        .value_kind:     global_buffer
      - .offset:         40
        .size:           8
        .value_kind:     by_value
      - .offset:         48
        .size:           8
        .value_kind:     by_value
      - .offset:         56
        .size:           8
        .value_kind:     by_value
      - .address_space:  global
        .offset:         64
        .size:           8
        .value_kind:     global_buffer
      - .offset:         72
        .size:           8
        .value_kind:     by_value
      - .offset:         80
        .size:           8
        .value_kind:     by_value
      - .offset:         88
        .size:           8
        .value_kind:     by_value
      - .offset:         96
        .size:           4
        .value_kind:     by_value
      - .offset:         100
        .size:           1
        .value_kind:     by_value
      - .offset:         104
        .size:           4
        .value_kind:     hidden_block_count_x
      - .offset:         108
        .size:           4
        .value_kind:     hidden_block_count_y
      - .offset:         112
        .size:           4
        .value_kind:     hidden_block_count_z
      - .offset:         116
        .size:           2
        .value_kind:     hidden_group_size_x
      - .offset:         118
        .size:           2
        .value_kind:     hidden_group_size_y
      - .offset:         120
        .size:           2
        .value_kind:     hidden_group_size_z
      - .offset:         122
        .size:           2
        .value_kind:     hidden_remainder_x
      - .offset:         124
        .size:           2
        .value_kind:     hidden_remainder_y
      - .offset:         126
        .size:           2
        .value_kind:     hidden_remainder_z
      - .offset:         144
        .size:           8
        .value_kind:     hidden_global_offset_x
      - .offset:         152
        .size:           8
        .value_kind:     hidden_global_offset_y
      - .offset:         160
        .size:           8
        .value_kind:     hidden_global_offset_z
      - .offset:         168
        .size:           2
        .value_kind:     hidden_grid_dims
      - .offset:         224
        .size:           4
        .value_kind:     hidden_dynamic_lds_size
    .group_segment_fixed_size: 0
    .kernarg_segment_align: 8
    .kernarg_segment_size: 360
    .language:       OpenCL C
    .language_version:
      - 2
      - 0
    .max_flat_workgroup_size: 1024
    .name:           _ZL40rocblas_trsm_block_backward_substitutionIddPKdPdLb1ELb0ELb0EEv18rocblas_operation_llT0_T1_lllT2_lllib
    .private_segment_fixed_size: 0
    .sgpr_count:     46
    .sgpr_spill_count: 0
    .symbol:         _ZL40rocblas_trsm_block_backward_substitutionIddPKdPdLb1ELb0ELb0EEv18rocblas_operation_llT0_T1_lllT2_lllib.kd
    .uniform_work_group_size: 1
    .uses_dynamic_stack: false
    .vgpr_count:     22
    .vgpr_spill_count: 0
    .wavefront_size: 64
  - .agpr_count:     0
    .args:
      - .offset:         0
        .size:           4
        .value_kind:     by_value
      - .offset:         8
        .size:           8
        .value_kind:     by_value
      - .offset:         16
        .size:           8
        .value_kind:     by_value
      - .offset:         24
        .size:           8
        .value_kind:     by_value
      - .address_space:  global
        .offset:         32
        .size:           8
        .value_kind:     global_buffer
      - .offset:         40
        .size:           8
        .value_kind:     by_value
      - .offset:         48
        .size:           8
        .value_kind:     by_value
      - .offset:         56
        .size:           8
        .value_kind:     by_value
      - .address_space:  global
        .offset:         64
        .size:           8
        .value_kind:     global_buffer
      - .offset:         72
        .size:           8
        .value_kind:     by_value
      - .offset:         80
        .size:           8
        .value_kind:     by_value
      - .offset:         88
        .size:           8
        .value_kind:     by_value
      - .offset:         96
        .size:           4
        .value_kind:     by_value
      - .offset:         100
        .size:           1
        .value_kind:     by_value
      - .offset:         104
        .size:           4
        .value_kind:     hidden_block_count_x
      - .offset:         108
        .size:           4
        .value_kind:     hidden_block_count_y
      - .offset:         112
        .size:           4
        .value_kind:     hidden_block_count_z
      - .offset:         116
        .size:           2
        .value_kind:     hidden_group_size_x
      - .offset:         118
        .size:           2
        .value_kind:     hidden_group_size_y
      - .offset:         120
        .size:           2
        .value_kind:     hidden_group_size_z
      - .offset:         122
        .size:           2
        .value_kind:     hidden_remainder_x
      - .offset:         124
        .size:           2
        .value_kind:     hidden_remainder_y
      - .offset:         126
        .size:           2
        .value_kind:     hidden_remainder_z
      - .offset:         144
        .size:           8
        .value_kind:     hidden_global_offset_x
      - .offset:         152
        .size:           8
        .value_kind:     hidden_global_offset_y
      - .offset:         160
        .size:           8
        .value_kind:     hidden_global_offset_z
      - .offset:         168
        .size:           2
        .value_kind:     hidden_grid_dims
      - .offset:         224
        .size:           4
        .value_kind:     hidden_dynamic_lds_size
    .group_segment_fixed_size: 0
    .kernarg_segment_align: 8
    .kernarg_segment_size: 360
    .language:       OpenCL C
    .language_version:
      - 2
      - 0
    .max_flat_workgroup_size: 1024
    .name:           _ZL39rocblas_trsm_block_forward_substitutionIddPKdPdLb1ELb0ELb1EEv18rocblas_operation_llT0_T1_lllT2_lllib
    .private_segment_fixed_size: 0
    .sgpr_count:     32
    .sgpr_spill_count: 0
    .symbol:         _ZL39rocblas_trsm_block_forward_substitutionIddPKdPdLb1ELb0ELb1EEv18rocblas_operation_llT0_T1_lllT2_lllib.kd
    .uniform_work_group_size: 1
    .uses_dynamic_stack: false
    .vgpr_count:     14
    .vgpr_spill_count: 0
    .wavefront_size: 64
  - .agpr_count:     0
    .args:
      - .offset:         0
        .size:           4
        .value_kind:     by_value
      - .offset:         8
        .size:           8
        .value_kind:     by_value
      - .offset:         16
        .size:           8
        .value_kind:     by_value
      - .offset:         24
        .size:           8
        .value_kind:     by_value
      - .address_space:  global
        .offset:         32
        .size:           8
        .value_kind:     global_buffer
      - .offset:         40
        .size:           8
        .value_kind:     by_value
      - .offset:         48
        .size:           8
        .value_kind:     by_value
      - .offset:         56
        .size:           8
        .value_kind:     by_value
      - .address_space:  global
        .offset:         64
        .size:           8
        .value_kind:     global_buffer
      - .offset:         72
        .size:           8
        .value_kind:     by_value
      - .offset:         80
        .size:           8
        .value_kind:     by_value
      - .offset:         88
        .size:           8
        .value_kind:     by_value
      - .offset:         96
        .size:           4
        .value_kind:     by_value
      - .offset:         100
        .size:           1
        .value_kind:     by_value
      - .offset:         104
        .size:           4
        .value_kind:     hidden_block_count_x
      - .offset:         108
        .size:           4
        .value_kind:     hidden_block_count_y
      - .offset:         112
        .size:           4
        .value_kind:     hidden_block_count_z
      - .offset:         116
        .size:           2
        .value_kind:     hidden_group_size_x
      - .offset:         118
        .size:           2
        .value_kind:     hidden_group_size_y
      - .offset:         120
        .size:           2
        .value_kind:     hidden_group_size_z
      - .offset:         122
        .size:           2
        .value_kind:     hidden_remainder_x
      - .offset:         124
        .size:           2
        .value_kind:     hidden_remainder_y
      - .offset:         126
        .size:           2
        .value_kind:     hidden_remainder_z
      - .offset:         144
        .size:           8
        .value_kind:     hidden_global_offset_x
      - .offset:         152
        .size:           8
        .value_kind:     hidden_global_offset_y
      - .offset:         160
        .size:           8
        .value_kind:     hidden_global_offset_z
      - .offset:         168
        .size:           2
        .value_kind:     hidden_grid_dims
      - .offset:         224
        .size:           4
        .value_kind:     hidden_dynamic_lds_size
    .group_segment_fixed_size: 0
    .kernarg_segment_align: 8
    .kernarg_segment_size: 360
    .language:       OpenCL C
    .language_version:
      - 2
      - 0
    .max_flat_workgroup_size: 1024
    .name:           _ZL40rocblas_trsm_block_backward_substitutionIddPKdPdLb1ELb0ELb1EEv18rocblas_operation_llT0_T1_lllT2_lllib
    .private_segment_fixed_size: 0
    .sgpr_count:     36
    .sgpr_spill_count: 0
    .symbol:         _ZL40rocblas_trsm_block_backward_substitutionIddPKdPdLb1ELb0ELb1EEv18rocblas_operation_llT0_T1_lllT2_lllib.kd
    .uniform_work_group_size: 1
    .uses_dynamic_stack: false
    .vgpr_count:     14
    .vgpr_spill_count: 0
    .wavefront_size: 64
  - .agpr_count:     0
    .args:
      - .address_space:  global
        .offset:         0
        .size:           8
        .value_kind:     global_buffer
      - .offset:         8
        .size:           8
        .value_kind:     by_value
      - .address_space:  global
        .offset:         16
        .size:           8
        .value_kind:     global_buffer
    .group_segment_fixed_size: 0
    .kernarg_segment_align: 8
    .kernarg_segment_size: 24
    .language:       OpenCL C
    .language_version:
      - 2
      - 0
    .max_flat_workgroup_size: 128
    .name:           _ZL26setup_batched_array_kernelILi128EdEvPT0_lPS1_
    .private_segment_fixed_size: 0
    .sgpr_count:     13
    .sgpr_spill_count: 0
    .symbol:         _ZL26setup_batched_array_kernelILi128EdEvPT0_lPS1_.kd
    .uniform_work_group_size: 1
    .uses_dynamic_stack: false
    .vgpr_count:     3
    .vgpr_spill_count: 0
    .wavefront_size: 64
  - .agpr_count:     0
    .args:
      - .offset:         0
        .size:           4
        .value_kind:     by_value
      - .offset:         4
        .size:           4
        .value_kind:     by_value
      - .address_space:  global
        .offset:         8
        .size:           8
        .value_kind:     global_buffer
      - .offset:         16
        .size:           8
        .value_kind:     by_value
      - .offset:         24
        .size:           4
        .value_kind:     by_value
      - .offset:         32
        .size:           8
        .value_kind:     by_value
      - .address_space:  global
        .offset:         40
        .size:           8
        .value_kind:     global_buffer
      - .offset:         48
        .size:           8
        .value_kind:     by_value
      - .offset:         56
        .size:           8
        .value_kind:     by_value
      - .offset:         64
        .size:           4
        .value_kind:     by_value
    .group_segment_fixed_size: 8192
    .kernarg_segment_align: 8
    .kernarg_segment_size: 68
    .language:       OpenCL C
    .language_version:
      - 2
      - 0
    .max_flat_workgroup_size: 256
    .name:           _ZL25rocblas_trtri_trsm_kernelILi128ELi16ELi8EdPKdPdEv13rocblas_fill_17rocblas_diagonal_T3_lilT4_lli
    .private_segment_fixed_size: 0
    .sgpr_count:     36
    .sgpr_spill_count: 0
    .symbol:         _ZL25rocblas_trtri_trsm_kernelILi128ELi16ELi8EdPKdPdEv13rocblas_fill_17rocblas_diagonal_T3_lilT4_lli.kd
    .uniform_work_group_size: 1
    .uses_dynamic_stack: false
    .vgpr_count:     44
    .vgpr_spill_count: 0
    .wavefront_size: 64
  - .agpr_count:     0
    .args:
      - .address_space:  global
        .offset:         0
        .size:           8
        .value_kind:     global_buffer
      - .offset:         8
        .size:           4
        .value_kind:     by_value
      - .offset:         12
        .size:           4
        .value_kind:     by_value
      - .offset:         16
        .size:           8
        .value_kind:     by_value
      - .offset:         24
        .size:           4
        .value_kind:     by_value
      - .offset:         32
        .size:           8
        .value_kind:     by_value
      - .address_space:  global
        .offset:         40
        .size:           8
        .value_kind:     global_buffer
      - .offset:         48
        .size:           8
        .value_kind:     by_value
      - .offset:         56
        .size:           8
        .value_kind:     by_value
      - .offset:         64
        .size:           4
        .value_kind:     by_value
      - .offset:         68
        .size:           4
        .value_kind:     by_value
      - .offset:         72
        .size:           4
        .value_kind:     hidden_block_count_x
      - .offset:         76
        .size:           4
        .value_kind:     hidden_block_count_y
      - .offset:         80
        .size:           4
        .value_kind:     hidden_block_count_z
      - .offset:         84
        .size:           2
        .value_kind:     hidden_group_size_x
      - .offset:         86
        .size:           2
        .value_kind:     hidden_group_size_y
      - .offset:         88
        .size:           2
        .value_kind:     hidden_group_size_z
      - .offset:         90
        .size:           2
        .value_kind:     hidden_remainder_x
      - .offset:         92
        .size:           2
        .value_kind:     hidden_remainder_y
      - .offset:         94
        .size:           2
        .value_kind:     hidden_remainder_z
      - .offset:         112
        .size:           8
        .value_kind:     hidden_global_offset_x
      - .offset:         120
        .size:           8
        .value_kind:     hidden_global_offset_y
      - .offset:         128
        .size:           8
        .value_kind:     hidden_global_offset_z
      - .offset:         136
        .size:           2
        .value_kind:     hidden_grid_dims
    .group_segment_fixed_size: 0
    .kernarg_segment_align: 8
    .kernarg_segment_size: 328
    .language:       OpenCL C
    .language_version:
      - 2
      - 0
    .max_flat_workgroup_size: 128
    .name:           _ZL18rocblas_trtri_fillILi128EdPdEvP15_rocblas_handle13rocblas_fill_ililT1_llii
    .private_segment_fixed_size: 0
    .sgpr_count:     32
    .sgpr_spill_count: 0
    .symbol:         _ZL18rocblas_trtri_fillILi128EdPdEvP15_rocblas_handle13rocblas_fill_ililT1_llii.kd
    .uniform_work_group_size: 1
    .uses_dynamic_stack: false
    .vgpr_count:     26
    .vgpr_spill_count: 0
    .wavefront_size: 64
  - .agpr_count:     0
    .args:
      - .offset:         0
        .size:           4
        .value_kind:     by_value
      - .offset:         4
        .size:           4
        .value_kind:     by_value
      - .offset:         8
        .size:           4
        .value_kind:     by_value
      - .address_space:  global
        .offset:         16
        .size:           8
        .value_kind:     global_buffer
      - .offset:         24
        .size:           4
        .value_kind:     by_value
      - .offset:         32
        .size:           8
        .value_kind:     by_value
      - .address_space:  global
        .offset:         40
        .size:           8
        .value_kind:     global_buffer
      - .offset:         48
        .size:           4
        .value_kind:     by_value
      - .offset:         56
        .size:           8
        .value_kind:     by_value
      - .offset:         64
        .size:           8
        .value_kind:     by_value
      - .offset:         72
        .size:           8
        .value_kind:     by_value
      - .offset:         80
        .size:           4
        .value_kind:     by_value
      - .offset:         88
        .size:           4
        .value_kind:     hidden_block_count_x
      - .offset:         92
        .size:           4
        .value_kind:     hidden_block_count_y
      - .offset:         96
        .size:           4
        .value_kind:     hidden_block_count_z
      - .offset:         100
        .size:           2
        .value_kind:     hidden_group_size_x
      - .offset:         102
        .size:           2
        .value_kind:     hidden_group_size_y
      - .offset:         104
        .size:           2
        .value_kind:     hidden_group_size_z
      - .offset:         106
        .size:           2
        .value_kind:     hidden_remainder_x
      - .offset:         108
        .size:           2
        .value_kind:     hidden_remainder_y
      - .offset:         110
        .size:           2
        .value_kind:     hidden_remainder_z
      - .offset:         128
        .size:           8
        .value_kind:     hidden_global_offset_x
      - .offset:         136
        .size:           8
        .value_kind:     hidden_global_offset_y
      - .offset:         144
        .size:           8
        .value_kind:     hidden_global_offset_z
      - .offset:         152
        .size:           2
        .value_kind:     hidden_grid_dims
    .group_segment_fixed_size: 0
    .kernarg_segment_align: 8
    .kernarg_segment_size: 344
    .language:       OpenCL C
    .language_version:
      - 2
      - 0
    .max_flat_workgroup_size: 1024
    .name:           _ZL24rocblas_copy_matrix_trsmILi128ELi8EdPKdPdEviiiT2_ilT3_illli
    .private_segment_fixed_size: 0
    .sgpr_count:     27
    .sgpr_spill_count: 0
    .symbol:         _ZL24rocblas_copy_matrix_trsmILi128ELi8EdPKdPdEviiiT2_ilT3_illli.kd
    .uniform_work_group_size: 1
    .uses_dynamic_stack: false
    .vgpr_count:     12
    .vgpr_spill_count: 0
    .wavefront_size: 64
  - .agpr_count:     0
    .args:
      - .offset:         0
        .size:           8
        .value_kind:     by_value
      - .offset:         8
        .size:           8
        .value_kind:     by_value
      - .offset:         16
        .size:           4
        .value_kind:     by_value
      - .address_space:  global
        .offset:         24
        .size:           8
        .value_kind:     global_buffer
      - .offset:         32
        .size:           8
        .value_kind:     by_value
      - .offset:         40
        .size:           8
        .value_kind:     by_value
      - .offset:         48
        .size:           8
        .value_kind:     by_value
      - .offset:         56
        .size:           8
        .value_kind:     by_value
      - .offset:         64
        .size:           4
        .value_kind:     by_value
    .group_segment_fixed_size: 0
    .kernarg_segment_align: 8
    .kernarg_segment_size: 68
    .language:       OpenCL C
    .language_version:
      - 2
      - 0
    .max_flat_workgroup_size: 1024
    .name:           _ZL23rocblas_set_matrix_trsmILi128ELi8E19rocblas_complex_numIfEPS1_EvlliT2_llT1_li
    .private_segment_fixed_size: 0
    .sgpr_count:     16
    .sgpr_spill_count: 0
    .symbol:         _ZL23rocblas_set_matrix_trsmILi128ELi8E19rocblas_complex_numIfEPS1_EvlliT2_llT1_li.kd
    .uniform_work_group_size: 1
    .uses_dynamic_stack: false
    .vgpr_count:     8
    .vgpr_spill_count: 0
    .wavefront_size: 64
  - .agpr_count:     0
    .args:
      - .offset:         0
        .size:           4
        .value_kind:     by_value
      - .offset:         4
        .size:           4
        .value_kind:     by_value
      - .offset:         8
        .size:           4
        .value_kind:     by_value
      - .offset:         12
        .size:           4
        .value_kind:     by_value
      - .offset:         16
        .size:           4
        .value_kind:     by_value
      - .offset:         20
        .size:           8
        .value_kind:     by_value
      - .address_space:  global
        .offset:         32
        .size:           8
        .value_kind:     global_buffer
      - .offset:         40
        .size:           8
        .value_kind:     by_value
      - .offset:         48
        .size:           4
        .value_kind:     by_value
      - .offset:         56
        .size:           8
        .value_kind:     by_value
      - .address_space:  global
        .offset:         64
        .size:           8
        .value_kind:     global_buffer
      - .offset:         72
        .size:           8
        .value_kind:     by_value
      - .offset:         80
        .size:           4
        .value_kind:     by_value
      - .offset:         88
        .size:           8
        .value_kind:     by_value
      - .offset:         96
        .size:           4
        .value_kind:     by_value
      - .offset:         104
        .size:           4
        .value_kind:     hidden_block_count_x
      - .offset:         108
        .size:           4
        .value_kind:     hidden_block_count_y
      - .offset:         112
        .size:           4
        .value_kind:     hidden_block_count_z
      - .offset:         116
        .size:           2
        .value_kind:     hidden_group_size_x
      - .offset:         118
        .size:           2
        .value_kind:     hidden_group_size_y
      - .offset:         120
        .size:           2
        .value_kind:     hidden_group_size_z
      - .offset:         122
        .size:           2
        .value_kind:     hidden_remainder_x
      - .offset:         124
        .size:           2
        .value_kind:     hidden_remainder_y
      - .offset:         126
        .size:           2
        .value_kind:     hidden_remainder_z
      - .offset:         144
        .size:           8
        .value_kind:     hidden_global_offset_x
      - .offset:         152
        .size:           8
        .value_kind:     hidden_global_offset_y
      - .offset:         160
        .size:           8
        .value_kind:     hidden_global_offset_z
      - .offset:         168
        .size:           2
        .value_kind:     hidden_grid_dims
    .group_segment_fixed_size: 384
    .kernarg_segment_align: 8
    .kernarg_segment_size: 360
    .language:       OpenCL C
    .language_version:
      - 2
      - 0
    .max_flat_workgroup_size: 4
    .name:           _ZL38rocblas_trsm_small_left_device_sharedBILi4ELi4ELb0E19rocblas_complex_numIfES1_PKS1_PS1_Ev13rocblas_fill_18rocblas_operation_17rocblas_diagonal_iiT3_T4_lilT5_lili
    .private_segment_fixed_size: 0
    .sgpr_count:     49
    .sgpr_spill_count: 0
    .symbol:         _ZL38rocblas_trsm_small_left_device_sharedBILi4ELi4ELb0E19rocblas_complex_numIfES1_PKS1_PS1_Ev13rocblas_fill_18rocblas_operation_17rocblas_diagonal_iiT3_T4_lilT5_lili.kd
    .uniform_work_group_size: 1
    .uses_dynamic_stack: false
    .vgpr_count:     26
    .vgpr_spill_count: 0
    .wavefront_size: 64
  - .agpr_count:     0
    .args:
      - .offset:         0
        .size:           4
        .value_kind:     by_value
      - .offset:         4
        .size:           4
        .value_kind:     by_value
      - .offset:         8
        .size:           4
        .value_kind:     by_value
      - .offset:         12
        .size:           4
        .value_kind:     by_value
      - .offset:         16
        .size:           4
        .value_kind:     by_value
      - .offset:         20
        .size:           8
        .value_kind:     by_value
      - .address_space:  global
        .offset:         32
        .size:           8
        .value_kind:     global_buffer
      - .offset:         40
        .size:           8
        .value_kind:     by_value
      - .offset:         48
        .size:           4
        .value_kind:     by_value
      - .offset:         56
        .size:           8
        .value_kind:     by_value
      - .address_space:  global
        .offset:         64
        .size:           8
        .value_kind:     global_buffer
      - .offset:         72
        .size:           8
        .value_kind:     by_value
      - .offset:         80
        .size:           4
        .value_kind:     by_value
      - .offset:         88
        .size:           8
        .value_kind:     by_value
      - .offset:         96
        .size:           4
        .value_kind:     by_value
      - .offset:         104
        .size:           4
        .value_kind:     hidden_block_count_x
      - .offset:         108
        .size:           4
        .value_kind:     hidden_block_count_y
      - .offset:         112
        .size:           4
        .value_kind:     hidden_block_count_z
      - .offset:         116
        .size:           2
        .value_kind:     hidden_group_size_x
      - .offset:         118
        .size:           2
        .value_kind:     hidden_group_size_y
      - .offset:         120
        .size:           2
        .value_kind:     hidden_group_size_z
      - .offset:         122
        .size:           2
        .value_kind:     hidden_remainder_x
      - .offset:         124
        .size:           2
        .value_kind:     hidden_remainder_y
      - .offset:         126
        .size:           2
        .value_kind:     hidden_remainder_z
      - .offset:         144
        .size:           8
        .value_kind:     hidden_global_offset_x
      - .offset:         152
        .size:           8
        .value_kind:     hidden_global_offset_y
      - .offset:         160
        .size:           8
        .value_kind:     hidden_global_offset_z
      - .offset:         168
        .size:           2
        .value_kind:     hidden_grid_dims
    .group_segment_fixed_size: 256
    .kernarg_segment_align: 8
    .kernarg_segment_size: 360
    .language:       OpenCL C
    .language_version:
      - 2
      - 0
    .max_flat_workgroup_size: 4
    .name:           _ZL30rocblas_trsm_small_left_deviceILi4ELi4ELb0E19rocblas_complex_numIfES1_PKS1_PS1_Ev13rocblas_fill_18rocblas_operation_17rocblas_diagonal_iiT3_T4_lilT5_lili
    .private_segment_fixed_size: 0
    .sgpr_count:     48
    .sgpr_spill_count: 0
    .symbol:         _ZL30rocblas_trsm_small_left_deviceILi4ELi4ELb0E19rocblas_complex_numIfES1_PKS1_PS1_Ev13rocblas_fill_18rocblas_operation_17rocblas_diagonal_iiT3_T4_lilT5_lili.kd
    .uniform_work_group_size: 1
    .uses_dynamic_stack: false
    .vgpr_count:     28
    .vgpr_spill_count: 0
    .wavefront_size: 64
  - .agpr_count:     0
    .args:
      - .offset:         0
        .size:           4
        .value_kind:     by_value
      - .offset:         4
        .size:           4
        .value_kind:     by_value
      - .offset:         8
        .size:           4
        .value_kind:     by_value
      - .offset:         12
        .size:           4
        .value_kind:     by_value
      - .offset:         16
        .size:           4
        .value_kind:     by_value
      - .offset:         20
        .size:           8
        .value_kind:     by_value
      - .address_space:  global
        .offset:         32
        .size:           8
        .value_kind:     global_buffer
      - .offset:         40
        .size:           8
        .value_kind:     by_value
      - .offset:         48
        .size:           4
        .value_kind:     by_value
      - .offset:         56
        .size:           8
        .value_kind:     by_value
      - .address_space:  global
        .offset:         64
        .size:           8
        .value_kind:     global_buffer
      - .offset:         72
        .size:           8
        .value_kind:     by_value
      - .offset:         80
        .size:           4
        .value_kind:     by_value
      - .offset:         88
        .size:           8
        .value_kind:     by_value
      - .offset:         96
        .size:           4
        .value_kind:     by_value
      - .offset:         104
        .size:           4
        .value_kind:     hidden_block_count_x
      - .offset:         108
        .size:           4
        .value_kind:     hidden_block_count_y
      - .offset:         112
        .size:           4
        .value_kind:     hidden_block_count_z
      - .offset:         116
        .size:           2
        .value_kind:     hidden_group_size_x
      - .offset:         118
        .size:           2
        .value_kind:     hidden_group_size_y
      - .offset:         120
        .size:           2
        .value_kind:     hidden_group_size_z
      - .offset:         122
        .size:           2
        .value_kind:     hidden_remainder_x
      - .offset:         124
        .size:           2
        .value_kind:     hidden_remainder_y
      - .offset:         126
        .size:           2
        .value_kind:     hidden_remainder_z
      - .offset:         144
        .size:           8
        .value_kind:     hidden_global_offset_x
      - .offset:         152
        .size:           8
        .value_kind:     hidden_global_offset_y
      - .offset:         160
        .size:           8
        .value_kind:     hidden_global_offset_z
      - .offset:         168
        .size:           2
        .value_kind:     hidden_grid_dims
    .group_segment_fixed_size: 384
    .kernarg_segment_align: 8
    .kernarg_segment_size: 360
    .language:       OpenCL C
    .language_version:
      - 2
      - 0
    .max_flat_workgroup_size: 4
    .name:           _ZL38rocblas_trsm_small_left_device_sharedBILi4ELi4ELb1E19rocblas_complex_numIfES1_PKS1_PS1_Ev13rocblas_fill_18rocblas_operation_17rocblas_diagonal_iiT3_T4_lilT5_lili
    .private_segment_fixed_size: 0
    .sgpr_count:     49
    .sgpr_spill_count: 0
    .symbol:         _ZL38rocblas_trsm_small_left_device_sharedBILi4ELi4ELb1E19rocblas_complex_numIfES1_PKS1_PS1_Ev13rocblas_fill_18rocblas_operation_17rocblas_diagonal_iiT3_T4_lilT5_lili.kd
    .uniform_work_group_size: 1
    .uses_dynamic_stack: false
    .vgpr_count:     26
    .vgpr_spill_count: 0
    .wavefront_size: 64
  - .agpr_count:     0
    .args:
      - .offset:         0
        .size:           4
        .value_kind:     by_value
      - .offset:         4
        .size:           4
        .value_kind:     by_value
      - .offset:         8
        .size:           4
        .value_kind:     by_value
      - .offset:         12
        .size:           4
        .value_kind:     by_value
      - .offset:         16
        .size:           4
        .value_kind:     by_value
      - .offset:         20
        .size:           8
        .value_kind:     by_value
      - .address_space:  global
        .offset:         32
        .size:           8
        .value_kind:     global_buffer
      - .offset:         40
        .size:           8
        .value_kind:     by_value
      - .offset:         48
        .size:           4
        .value_kind:     by_value
      - .offset:         56
        .size:           8
        .value_kind:     by_value
      - .address_space:  global
        .offset:         64
        .size:           8
        .value_kind:     global_buffer
      - .offset:         72
        .size:           8
        .value_kind:     by_value
      - .offset:         80
        .size:           4
        .value_kind:     by_value
      - .offset:         88
        .size:           8
        .value_kind:     by_value
      - .offset:         96
        .size:           4
        .value_kind:     by_value
      - .offset:         104
        .size:           4
        .value_kind:     hidden_block_count_x
      - .offset:         108
        .size:           4
        .value_kind:     hidden_block_count_y
      - .offset:         112
        .size:           4
        .value_kind:     hidden_block_count_z
      - .offset:         116
        .size:           2
        .value_kind:     hidden_group_size_x
      - .offset:         118
        .size:           2
        .value_kind:     hidden_group_size_y
      - .offset:         120
        .size:           2
        .value_kind:     hidden_group_size_z
      - .offset:         122
        .size:           2
        .value_kind:     hidden_remainder_x
      - .offset:         124
        .size:           2
        .value_kind:     hidden_remainder_y
      - .offset:         126
        .size:           2
        .value_kind:     hidden_remainder_z
      - .offset:         144
        .size:           8
        .value_kind:     hidden_global_offset_x
      - .offset:         152
        .size:           8
        .value_kind:     hidden_global_offset_y
      - .offset:         160
        .size:           8
        .value_kind:     hidden_global_offset_z
      - .offset:         168
        .size:           2
        .value_kind:     hidden_grid_dims
    .group_segment_fixed_size: 256
    .kernarg_segment_align: 8
    .kernarg_segment_size: 360
    .language:       OpenCL C
    .language_version:
      - 2
      - 0
    .max_flat_workgroup_size: 4
    .name:           _ZL30rocblas_trsm_small_left_deviceILi4ELi4ELb1E19rocblas_complex_numIfES1_PKS1_PS1_Ev13rocblas_fill_18rocblas_operation_17rocblas_diagonal_iiT3_T4_lilT5_lili
    .private_segment_fixed_size: 0
    .sgpr_count:     48
    .sgpr_spill_count: 0
    .symbol:         _ZL30rocblas_trsm_small_left_deviceILi4ELi4ELb1E19rocblas_complex_numIfES1_PKS1_PS1_Ev13rocblas_fill_18rocblas_operation_17rocblas_diagonal_iiT3_T4_lilT5_lili.kd
    .uniform_work_group_size: 1
    .uses_dynamic_stack: false
    .vgpr_count:     28
    .vgpr_spill_count: 0
    .wavefront_size: 64
  - .agpr_count:     0
    .args:
      - .offset:         0
        .size:           4
        .value_kind:     by_value
      - .offset:         4
        .size:           4
        .value_kind:     by_value
      - .offset:         8
        .size:           4
        .value_kind:     by_value
      - .offset:         12
        .size:           4
        .value_kind:     by_value
      - .offset:         16
        .size:           4
        .value_kind:     by_value
      - .offset:         20
        .size:           8
        .value_kind:     by_value
      - .address_space:  global
        .offset:         32
        .size:           8
        .value_kind:     global_buffer
      - .offset:         40
        .size:           8
        .value_kind:     by_value
      - .offset:         48
        .size:           4
        .value_kind:     by_value
      - .offset:         56
        .size:           8
        .value_kind:     by_value
      - .address_space:  global
        .offset:         64
        .size:           8
        .value_kind:     global_buffer
      - .offset:         72
        .size:           8
        .value_kind:     by_value
      - .offset:         80
        .size:           4
        .value_kind:     by_value
      - .offset:         88
        .size:           8
        .value_kind:     by_value
      - .offset:         96
        .size:           4
        .value_kind:     by_value
      - .offset:         104
        .size:           4
        .value_kind:     hidden_block_count_x
      - .offset:         108
        .size:           4
        .value_kind:     hidden_block_count_y
      - .offset:         112
        .size:           4
        .value_kind:     hidden_block_count_z
      - .offset:         116
        .size:           2
        .value_kind:     hidden_group_size_x
      - .offset:         118
        .size:           2
        .value_kind:     hidden_group_size_y
      - .offset:         120
        .size:           2
        .value_kind:     hidden_group_size_z
      - .offset:         122
        .size:           2
        .value_kind:     hidden_remainder_x
      - .offset:         124
        .size:           2
        .value_kind:     hidden_remainder_y
      - .offset:         126
        .size:           2
        .value_kind:     hidden_remainder_z
      - .offset:         144
        .size:           8
        .value_kind:     hidden_global_offset_x
      - .offset:         152
        .size:           8
        .value_kind:     hidden_global_offset_y
      - .offset:         160
        .size:           8
        .value_kind:     hidden_global_offset_z
      - .offset:         168
        .size:           2
        .value_kind:     hidden_grid_dims
    .group_segment_fixed_size: 256
    .kernarg_segment_align: 8
    .kernarg_segment_size: 360
    .language:       OpenCL C
    .language_version:
      - 2
      - 0
    .max_flat_workgroup_size: 4
    .name:           _ZL31rocblas_trsm_small_right_deviceI19rocblas_complex_numIfES1_PKS1_PS1_Li4EEv13rocblas_fill_18rocblas_operation_17rocblas_diagonal_iiT0_T1_lilT2_lili
    .private_segment_fixed_size: 0
    .sgpr_count:     64
    .sgpr_spill_count: 0
    .symbol:         _ZL31rocblas_trsm_small_right_deviceI19rocblas_complex_numIfES1_PKS1_PS1_Li4EEv13rocblas_fill_18rocblas_operation_17rocblas_diagonal_iiT0_T1_lilT2_lili.kd
    .uniform_work_group_size: 1
    .uses_dynamic_stack: false
    .vgpr_count:     44
    .vgpr_spill_count: 0
    .wavefront_size: 64
  - .agpr_count:     0
    .args:
      - .offset:         0
        .size:           4
        .value_kind:     by_value
      - .offset:         4
        .size:           4
        .value_kind:     by_value
      - .offset:         8
        .size:           4
        .value_kind:     by_value
      - .offset:         12
        .size:           4
        .value_kind:     by_value
      - .offset:         16
        .size:           4
        .value_kind:     by_value
      - .offset:         20
        .size:           8
        .value_kind:     by_value
      - .address_space:  global
        .offset:         32
        .size:           8
        .value_kind:     global_buffer
      - .offset:         40
        .size:           8
        .value_kind:     by_value
      - .offset:         48
        .size:           4
        .value_kind:     by_value
      - .offset:         56
        .size:           8
        .value_kind:     by_value
      - .address_space:  global
        .offset:         64
        .size:           8
        .value_kind:     global_buffer
      - .offset:         72
        .size:           8
        .value_kind:     by_value
      - .offset:         80
        .size:           4
        .value_kind:     by_value
      - .offset:         88
        .size:           8
        .value_kind:     by_value
      - .offset:         96
        .size:           4
        .value_kind:     by_value
      - .offset:         104
        .size:           4
        .value_kind:     hidden_block_count_x
      - .offset:         108
        .size:           4
        .value_kind:     hidden_block_count_y
      - .offset:         112
        .size:           4
        .value_kind:     hidden_block_count_z
      - .offset:         116
        .size:           2
        .value_kind:     hidden_group_size_x
      - .offset:         118
        .size:           2
        .value_kind:     hidden_group_size_y
      - .offset:         120
        .size:           2
        .value_kind:     hidden_group_size_z
      - .offset:         122
        .size:           2
        .value_kind:     hidden_remainder_x
      - .offset:         124
        .size:           2
        .value_kind:     hidden_remainder_y
      - .offset:         126
        .size:           2
        .value_kind:     hidden_remainder_z
      - .offset:         144
        .size:           8
        .value_kind:     hidden_global_offset_x
      - .offset:         152
        .size:           8
        .value_kind:     hidden_global_offset_y
      - .offset:         160
        .size:           8
        .value_kind:     hidden_global_offset_z
      - .offset:         168
        .size:           2
        .value_kind:     hidden_grid_dims
    .group_segment_fixed_size: 1536
    .kernarg_segment_align: 8
    .kernarg_segment_size: 360
    .language:       OpenCL C
    .language_version:
      - 2
      - 0
    .max_flat_workgroup_size: 8
    .name:           _ZL38rocblas_trsm_small_left_device_sharedBILi8ELi8ELb0E19rocblas_complex_numIfES1_PKS1_PS1_Ev13rocblas_fill_18rocblas_operation_17rocblas_diagonal_iiT3_T4_lilT5_lili
    .private_segment_fixed_size: 0
    .sgpr_count:     49
    .sgpr_spill_count: 0
    .symbol:         _ZL38rocblas_trsm_small_left_device_sharedBILi8ELi8ELb0E19rocblas_complex_numIfES1_PKS1_PS1_Ev13rocblas_fill_18rocblas_operation_17rocblas_diagonal_iiT3_T4_lilT5_lili.kd
    .uniform_work_group_size: 1
    .uses_dynamic_stack: false
    .vgpr_count:     26
    .vgpr_spill_count: 0
    .wavefront_size: 64
  - .agpr_count:     0
    .args:
      - .offset:         0
        .size:           4
        .value_kind:     by_value
      - .offset:         4
        .size:           4
        .value_kind:     by_value
      - .offset:         8
        .size:           4
        .value_kind:     by_value
      - .offset:         12
        .size:           4
        .value_kind:     by_value
      - .offset:         16
        .size:           4
        .value_kind:     by_value
      - .offset:         20
        .size:           8
        .value_kind:     by_value
      - .address_space:  global
        .offset:         32
        .size:           8
        .value_kind:     global_buffer
      - .offset:         40
        .size:           8
        .value_kind:     by_value
      - .offset:         48
        .size:           4
        .value_kind:     by_value
      - .offset:         56
        .size:           8
        .value_kind:     by_value
      - .address_space:  global
        .offset:         64
        .size:           8
        .value_kind:     global_buffer
      - .offset:         72
        .size:           8
        .value_kind:     by_value
      - .offset:         80
        .size:           4
        .value_kind:     by_value
      - .offset:         88
        .size:           8
        .value_kind:     by_value
      - .offset:         96
        .size:           4
        .value_kind:     by_value
      - .offset:         104
        .size:           4
        .value_kind:     hidden_block_count_x
      - .offset:         108
        .size:           4
        .value_kind:     hidden_block_count_y
      - .offset:         112
        .size:           4
        .value_kind:     hidden_block_count_z
      - .offset:         116
        .size:           2
        .value_kind:     hidden_group_size_x
      - .offset:         118
        .size:           2
        .value_kind:     hidden_group_size_y
      - .offset:         120
        .size:           2
        .value_kind:     hidden_group_size_z
      - .offset:         122
        .size:           2
        .value_kind:     hidden_remainder_x
      - .offset:         124
        .size:           2
        .value_kind:     hidden_remainder_y
      - .offset:         126
        .size:           2
        .value_kind:     hidden_remainder_z
      - .offset:         144
        .size:           8
        .value_kind:     hidden_global_offset_x
      - .offset:         152
        .size:           8
        .value_kind:     hidden_global_offset_y
      - .offset:         160
        .size:           8
        .value_kind:     hidden_global_offset_z
      - .offset:         168
        .size:           2
        .value_kind:     hidden_grid_dims
    .group_segment_fixed_size: 1024
    .kernarg_segment_align: 8
    .kernarg_segment_size: 360
    .language:       OpenCL C
    .language_version:
      - 2
      - 0
    .max_flat_workgroup_size: 8
    .name:           _ZL30rocblas_trsm_small_left_deviceILi8ELi8ELb0E19rocblas_complex_numIfES1_PKS1_PS1_Ev13rocblas_fill_18rocblas_operation_17rocblas_diagonal_iiT3_T4_lilT5_lili
    .private_segment_fixed_size: 0
    .sgpr_count:     48
    .sgpr_spill_count: 0
    .symbol:         _ZL30rocblas_trsm_small_left_deviceILi8ELi8ELb0E19rocblas_complex_numIfES1_PKS1_PS1_Ev13rocblas_fill_18rocblas_operation_17rocblas_diagonal_iiT3_T4_lilT5_lili.kd
    .uniform_work_group_size: 1
    .uses_dynamic_stack: false
    .vgpr_count:     28
    .vgpr_spill_count: 0
    .wavefront_size: 64
  - .agpr_count:     0
    .args:
      - .offset:         0
        .size:           4
        .value_kind:     by_value
      - .offset:         4
        .size:           4
        .value_kind:     by_value
      - .offset:         8
        .size:           4
        .value_kind:     by_value
      - .offset:         12
        .size:           4
        .value_kind:     by_value
      - .offset:         16
        .size:           4
        .value_kind:     by_value
      - .offset:         20
        .size:           8
        .value_kind:     by_value
      - .address_space:  global
        .offset:         32
        .size:           8
        .value_kind:     global_buffer
      - .offset:         40
        .size:           8
        .value_kind:     by_value
      - .offset:         48
        .size:           4
        .value_kind:     by_value
      - .offset:         56
        .size:           8
        .value_kind:     by_value
      - .address_space:  global
        .offset:         64
        .size:           8
        .value_kind:     global_buffer
      - .offset:         72
        .size:           8
        .value_kind:     by_value
      - .offset:         80
        .size:           4
        .value_kind:     by_value
      - .offset:         88
        .size:           8
        .value_kind:     by_value
      - .offset:         96
        .size:           4
        .value_kind:     by_value
      - .offset:         104
        .size:           4
        .value_kind:     hidden_block_count_x
      - .offset:         108
        .size:           4
        .value_kind:     hidden_block_count_y
      - .offset:         112
        .size:           4
        .value_kind:     hidden_block_count_z
      - .offset:         116
        .size:           2
        .value_kind:     hidden_group_size_x
      - .offset:         118
        .size:           2
        .value_kind:     hidden_group_size_y
      - .offset:         120
        .size:           2
        .value_kind:     hidden_group_size_z
      - .offset:         122
        .size:           2
        .value_kind:     hidden_remainder_x
      - .offset:         124
        .size:           2
        .value_kind:     hidden_remainder_y
      - .offset:         126
        .size:           2
        .value_kind:     hidden_remainder_z
      - .offset:         144
        .size:           8
        .value_kind:     hidden_global_offset_x
      - .offset:         152
        .size:           8
        .value_kind:     hidden_global_offset_y
      - .offset:         160
        .size:           8
        .value_kind:     hidden_global_offset_z
      - .offset:         168
        .size:           2
        .value_kind:     hidden_grid_dims
    .group_segment_fixed_size: 1536
    .kernarg_segment_align: 8
    .kernarg_segment_size: 360
    .language:       OpenCL C
    .language_version:
      - 2
      - 0
    .max_flat_workgroup_size: 8
    .name:           _ZL38rocblas_trsm_small_left_device_sharedBILi8ELi8ELb1E19rocblas_complex_numIfES1_PKS1_PS1_Ev13rocblas_fill_18rocblas_operation_17rocblas_diagonal_iiT3_T4_lilT5_lili
    .private_segment_fixed_size: 0
    .sgpr_count:     49
    .sgpr_spill_count: 0
    .symbol:         _ZL38rocblas_trsm_small_left_device_sharedBILi8ELi8ELb1E19rocblas_complex_numIfES1_PKS1_PS1_Ev13rocblas_fill_18rocblas_operation_17rocblas_diagonal_iiT3_T4_lilT5_lili.kd
    .uniform_work_group_size: 1
    .uses_dynamic_stack: false
    .vgpr_count:     26
    .vgpr_spill_count: 0
    .wavefront_size: 64
  - .agpr_count:     0
    .args:
      - .offset:         0
        .size:           4
        .value_kind:     by_value
      - .offset:         4
        .size:           4
        .value_kind:     by_value
      - .offset:         8
        .size:           4
        .value_kind:     by_value
      - .offset:         12
        .size:           4
        .value_kind:     by_value
      - .offset:         16
        .size:           4
        .value_kind:     by_value
      - .offset:         20
        .size:           8
        .value_kind:     by_value
      - .address_space:  global
        .offset:         32
        .size:           8
        .value_kind:     global_buffer
      - .offset:         40
        .size:           8
        .value_kind:     by_value
      - .offset:         48
        .size:           4
        .value_kind:     by_value
      - .offset:         56
        .size:           8
        .value_kind:     by_value
      - .address_space:  global
        .offset:         64
        .size:           8
        .value_kind:     global_buffer
      - .offset:         72
        .size:           8
        .value_kind:     by_value
      - .offset:         80
        .size:           4
        .value_kind:     by_value
      - .offset:         88
        .size:           8
        .value_kind:     by_value
      - .offset:         96
        .size:           4
        .value_kind:     by_value
      - .offset:         104
        .size:           4
        .value_kind:     hidden_block_count_x
      - .offset:         108
        .size:           4
        .value_kind:     hidden_block_count_y
      - .offset:         112
        .size:           4
        .value_kind:     hidden_block_count_z
      - .offset:         116
        .size:           2
        .value_kind:     hidden_group_size_x
      - .offset:         118
        .size:           2
        .value_kind:     hidden_group_size_y
      - .offset:         120
        .size:           2
        .value_kind:     hidden_group_size_z
      - .offset:         122
        .size:           2
        .value_kind:     hidden_remainder_x
      - .offset:         124
        .size:           2
        .value_kind:     hidden_remainder_y
      - .offset:         126
        .size:           2
        .value_kind:     hidden_remainder_z
      - .offset:         144
        .size:           8
        .value_kind:     hidden_global_offset_x
      - .offset:         152
        .size:           8
        .value_kind:     hidden_global_offset_y
      - .offset:         160
        .size:           8
        .value_kind:     hidden_global_offset_z
      - .offset:         168
        .size:           2
        .value_kind:     hidden_grid_dims
    .group_segment_fixed_size: 1024
    .kernarg_segment_align: 8
    .kernarg_segment_size: 360
    .language:       OpenCL C
    .language_version:
      - 2
      - 0
    .max_flat_workgroup_size: 8
    .name:           _ZL30rocblas_trsm_small_left_deviceILi8ELi8ELb1E19rocblas_complex_numIfES1_PKS1_PS1_Ev13rocblas_fill_18rocblas_operation_17rocblas_diagonal_iiT3_T4_lilT5_lili
    .private_segment_fixed_size: 0
    .sgpr_count:     48
    .sgpr_spill_count: 0
    .symbol:         _ZL30rocblas_trsm_small_left_deviceILi8ELi8ELb1E19rocblas_complex_numIfES1_PKS1_PS1_Ev13rocblas_fill_18rocblas_operation_17rocblas_diagonal_iiT3_T4_lilT5_lili.kd
    .uniform_work_group_size: 1
    .uses_dynamic_stack: false
    .vgpr_count:     28
    .vgpr_spill_count: 0
    .wavefront_size: 64
  - .agpr_count:     0
    .args:
      - .offset:         0
        .size:           4
        .value_kind:     by_value
      - .offset:         4
        .size:           4
        .value_kind:     by_value
      - .offset:         8
        .size:           4
        .value_kind:     by_value
      - .offset:         12
        .size:           4
        .value_kind:     by_value
      - .offset:         16
        .size:           4
        .value_kind:     by_value
      - .offset:         20
        .size:           8
        .value_kind:     by_value
      - .address_space:  global
        .offset:         32
        .size:           8
        .value_kind:     global_buffer
      - .offset:         40
        .size:           8
        .value_kind:     by_value
      - .offset:         48
        .size:           4
        .value_kind:     by_value
      - .offset:         56
        .size:           8
        .value_kind:     by_value
      - .address_space:  global
        .offset:         64
        .size:           8
        .value_kind:     global_buffer
      - .offset:         72
        .size:           8
        .value_kind:     by_value
      - .offset:         80
        .size:           4
        .value_kind:     by_value
      - .offset:         88
        .size:           8
        .value_kind:     by_value
      - .offset:         96
        .size:           4
        .value_kind:     by_value
      - .offset:         104
        .size:           4
        .value_kind:     hidden_block_count_x
      - .offset:         108
        .size:           4
        .value_kind:     hidden_block_count_y
      - .offset:         112
        .size:           4
        .value_kind:     hidden_block_count_z
      - .offset:         116
        .size:           2
        .value_kind:     hidden_group_size_x
      - .offset:         118
        .size:           2
        .value_kind:     hidden_group_size_y
      - .offset:         120
        .size:           2
        .value_kind:     hidden_group_size_z
      - .offset:         122
        .size:           2
        .value_kind:     hidden_remainder_x
      - .offset:         124
        .size:           2
        .value_kind:     hidden_remainder_y
      - .offset:         126
        .size:           2
        .value_kind:     hidden_remainder_z
      - .offset:         144
        .size:           8
        .value_kind:     hidden_global_offset_x
      - .offset:         152
        .size:           8
        .value_kind:     hidden_global_offset_y
      - .offset:         160
        .size:           8
        .value_kind:     hidden_global_offset_z
      - .offset:         168
        .size:           2
        .value_kind:     hidden_grid_dims
    .group_segment_fixed_size: 1024
    .kernarg_segment_align: 8
    .kernarg_segment_size: 360
    .language:       OpenCL C
    .language_version:
      - 2
      - 0
    .max_flat_workgroup_size: 8
    .name:           _ZL31rocblas_trsm_small_right_deviceI19rocblas_complex_numIfES1_PKS1_PS1_Li8EEv13rocblas_fill_18rocblas_operation_17rocblas_diagonal_iiT0_T1_lilT2_lili
    .private_segment_fixed_size: 0
    .sgpr_count:     64
    .sgpr_spill_count: 0
    .symbol:         _ZL31rocblas_trsm_small_right_deviceI19rocblas_complex_numIfES1_PKS1_PS1_Li8EEv13rocblas_fill_18rocblas_operation_17rocblas_diagonal_iiT0_T1_lilT2_lili.kd
    .uniform_work_group_size: 1
    .uses_dynamic_stack: false
    .vgpr_count:     58
    .vgpr_spill_count: 0
    .wavefront_size: 64
  - .agpr_count:     0
    .args:
      - .offset:         0
        .size:           4
        .value_kind:     by_value
      - .offset:         4
        .size:           4
        .value_kind:     by_value
      - .offset:         8
        .size:           4
        .value_kind:     by_value
      - .offset:         12
        .size:           4
        .value_kind:     by_value
      - .offset:         16
        .size:           4
        .value_kind:     by_value
      - .offset:         20
        .size:           8
        .value_kind:     by_value
      - .address_space:  global
        .offset:         32
        .size:           8
        .value_kind:     global_buffer
      - .offset:         40
        .size:           8
        .value_kind:     by_value
      - .offset:         48
        .size:           4
        .value_kind:     by_value
      - .offset:         56
        .size:           8
        .value_kind:     by_value
      - .address_space:  global
        .offset:         64
        .size:           8
        .value_kind:     global_buffer
      - .offset:         72
        .size:           8
        .value_kind:     by_value
      - .offset:         80
        .size:           4
        .value_kind:     by_value
      - .offset:         88
        .size:           8
        .value_kind:     by_value
      - .offset:         96
        .size:           4
        .value_kind:     by_value
      - .offset:         104
        .size:           4
        .value_kind:     hidden_block_count_x
      - .offset:         108
        .size:           4
        .value_kind:     hidden_block_count_y
      - .offset:         112
        .size:           4
        .value_kind:     hidden_block_count_z
      - .offset:         116
        .size:           2
        .value_kind:     hidden_group_size_x
      - .offset:         118
        .size:           2
        .value_kind:     hidden_group_size_y
      - .offset:         120
        .size:           2
        .value_kind:     hidden_group_size_z
      - .offset:         122
        .size:           2
        .value_kind:     hidden_remainder_x
      - .offset:         124
        .size:           2
        .value_kind:     hidden_remainder_y
      - .offset:         126
        .size:           2
        .value_kind:     hidden_remainder_z
      - .offset:         144
        .size:           8
        .value_kind:     hidden_global_offset_x
      - .offset:         152
        .size:           8
        .value_kind:     hidden_global_offset_y
      - .offset:         160
        .size:           8
        .value_kind:     hidden_global_offset_z
      - .offset:         168
        .size:           2
        .value_kind:     hidden_grid_dims
    .group_segment_fixed_size: 2304
    .kernarg_segment_align: 8
    .kernarg_segment_size: 360
    .language:       OpenCL C
    .language_version:
      - 2
      - 0
    .max_flat_workgroup_size: 12
    .name:           _ZL38rocblas_trsm_small_left_device_sharedBILi12ELi12ELb0E19rocblas_complex_numIfES1_PKS1_PS1_Ev13rocblas_fill_18rocblas_operation_17rocblas_diagonal_iiT3_T4_lilT5_lili
    .private_segment_fixed_size: 112
    .sgpr_count:     52
    .sgpr_spill_count: 0
    .symbol:         _ZL38rocblas_trsm_small_left_device_sharedBILi12ELi12ELb0E19rocblas_complex_numIfES1_PKS1_PS1_Ev13rocblas_fill_18rocblas_operation_17rocblas_diagonal_iiT3_T4_lilT5_lili.kd
    .uniform_work_group_size: 1
    .uses_dynamic_stack: false
    .vgpr_count:     29
    .vgpr_spill_count: 0
    .wavefront_size: 64
  - .agpr_count:     0
    .args:
      - .offset:         0
        .size:           4
        .value_kind:     by_value
      - .offset:         4
        .size:           4
        .value_kind:     by_value
      - .offset:         8
        .size:           4
        .value_kind:     by_value
      - .offset:         12
        .size:           4
        .value_kind:     by_value
      - .offset:         16
        .size:           4
        .value_kind:     by_value
      - .offset:         20
        .size:           8
        .value_kind:     by_value
      - .address_space:  global
        .offset:         32
        .size:           8
        .value_kind:     global_buffer
      - .offset:         40
        .size:           8
        .value_kind:     by_value
      - .offset:         48
        .size:           4
        .value_kind:     by_value
      - .offset:         56
        .size:           8
        .value_kind:     by_value
      - .address_space:  global
        .offset:         64
        .size:           8
        .value_kind:     global_buffer
      - .offset:         72
        .size:           8
        .value_kind:     by_value
      - .offset:         80
        .size:           4
        .value_kind:     by_value
      - .offset:         88
        .size:           8
        .value_kind:     by_value
      - .offset:         96
        .size:           4
        .value_kind:     by_value
      - .offset:         104
        .size:           4
        .value_kind:     hidden_block_count_x
      - .offset:         108
        .size:           4
        .value_kind:     hidden_block_count_y
      - .offset:         112
        .size:           4
        .value_kind:     hidden_block_count_z
      - .offset:         116
        .size:           2
        .value_kind:     hidden_group_size_x
      - .offset:         118
        .size:           2
        .value_kind:     hidden_group_size_y
      - .offset:         120
        .size:           2
        .value_kind:     hidden_group_size_z
      - .offset:         122
        .size:           2
        .value_kind:     hidden_remainder_x
      - .offset:         124
        .size:           2
        .value_kind:     hidden_remainder_y
      - .offset:         126
        .size:           2
        .value_kind:     hidden_remainder_z
      - .offset:         144
        .size:           8
        .value_kind:     hidden_global_offset_x
      - .offset:         152
        .size:           8
        .value_kind:     hidden_global_offset_y
      - .offset:         160
        .size:           8
        .value_kind:     hidden_global_offset_z
      - .offset:         168
        .size:           2
        .value_kind:     hidden_grid_dims
    .group_segment_fixed_size: 1152
    .kernarg_segment_align: 8
    .kernarg_segment_size: 360
    .language:       OpenCL C
    .language_version:
      - 2
      - 0
    .max_flat_workgroup_size: 12
    .name:           _ZL30rocblas_trsm_small_left_deviceILi12ELi12ELb0E19rocblas_complex_numIfES1_PKS1_PS1_Ev13rocblas_fill_18rocblas_operation_17rocblas_diagonal_iiT3_T4_lilT5_lili
    .private_segment_fixed_size: 112
    .sgpr_count:     50
    .sgpr_spill_count: 0
    .symbol:         _ZL30rocblas_trsm_small_left_deviceILi12ELi12ELb0E19rocblas_complex_numIfES1_PKS1_PS1_Ev13rocblas_fill_18rocblas_operation_17rocblas_diagonal_iiT3_T4_lilT5_lili.kd
    .uniform_work_group_size: 1
    .uses_dynamic_stack: false
    .vgpr_count:     26
    .vgpr_spill_count: 0
    .wavefront_size: 64
  - .agpr_count:     0
    .args:
      - .offset:         0
        .size:           4
        .value_kind:     by_value
      - .offset:         4
        .size:           4
        .value_kind:     by_value
      - .offset:         8
        .size:           4
        .value_kind:     by_value
      - .offset:         12
        .size:           4
        .value_kind:     by_value
      - .offset:         16
        .size:           4
        .value_kind:     by_value
      - .offset:         20
        .size:           8
        .value_kind:     by_value
      - .address_space:  global
        .offset:         32
        .size:           8
        .value_kind:     global_buffer
      - .offset:         40
        .size:           8
        .value_kind:     by_value
      - .offset:         48
        .size:           4
        .value_kind:     by_value
      - .offset:         56
        .size:           8
        .value_kind:     by_value
      - .address_space:  global
        .offset:         64
        .size:           8
        .value_kind:     global_buffer
      - .offset:         72
        .size:           8
        .value_kind:     by_value
      - .offset:         80
        .size:           4
        .value_kind:     by_value
      - .offset:         88
        .size:           8
        .value_kind:     by_value
      - .offset:         96
        .size:           4
        .value_kind:     by_value
      - .offset:         104
        .size:           4
        .value_kind:     hidden_block_count_x
      - .offset:         108
        .size:           4
        .value_kind:     hidden_block_count_y
      - .offset:         112
        .size:           4
        .value_kind:     hidden_block_count_z
      - .offset:         116
        .size:           2
        .value_kind:     hidden_group_size_x
      - .offset:         118
        .size:           2
        .value_kind:     hidden_group_size_y
      - .offset:         120
        .size:           2
        .value_kind:     hidden_group_size_z
      - .offset:         122
        .size:           2
        .value_kind:     hidden_remainder_x
      - .offset:         124
        .size:           2
        .value_kind:     hidden_remainder_y
      - .offset:         126
        .size:           2
        .value_kind:     hidden_remainder_z
      - .offset:         144
        .size:           8
        .value_kind:     hidden_global_offset_x
      - .offset:         152
        .size:           8
        .value_kind:     hidden_global_offset_y
      - .offset:         160
        .size:           8
        .value_kind:     hidden_global_offset_z
      - .offset:         168
        .size:           2
        .value_kind:     hidden_grid_dims
    .group_segment_fixed_size: 2304
    .kernarg_segment_align: 8
    .kernarg_segment_size: 360
    .language:       OpenCL C
    .language_version:
      - 2
      - 0
    .max_flat_workgroup_size: 12
    .name:           _ZL38rocblas_trsm_small_left_device_sharedBILi12ELi12ELb1E19rocblas_complex_numIfES1_PKS1_PS1_Ev13rocblas_fill_18rocblas_operation_17rocblas_diagonal_iiT3_T4_lilT5_lili
    .private_segment_fixed_size: 112
    .sgpr_count:     51
    .sgpr_spill_count: 0
    .symbol:         _ZL38rocblas_trsm_small_left_device_sharedBILi12ELi12ELb1E19rocblas_complex_numIfES1_PKS1_PS1_Ev13rocblas_fill_18rocblas_operation_17rocblas_diagonal_iiT3_T4_lilT5_lili.kd
    .uniform_work_group_size: 1
    .uses_dynamic_stack: false
    .vgpr_count:     29
    .vgpr_spill_count: 0
    .wavefront_size: 64
  - .agpr_count:     0
    .args:
      - .offset:         0
        .size:           4
        .value_kind:     by_value
      - .offset:         4
        .size:           4
        .value_kind:     by_value
      - .offset:         8
        .size:           4
        .value_kind:     by_value
      - .offset:         12
        .size:           4
        .value_kind:     by_value
      - .offset:         16
        .size:           4
        .value_kind:     by_value
      - .offset:         20
        .size:           8
        .value_kind:     by_value
      - .address_space:  global
        .offset:         32
        .size:           8
        .value_kind:     global_buffer
      - .offset:         40
        .size:           8
        .value_kind:     by_value
      - .offset:         48
        .size:           4
        .value_kind:     by_value
      - .offset:         56
        .size:           8
        .value_kind:     by_value
      - .address_space:  global
        .offset:         64
        .size:           8
        .value_kind:     global_buffer
      - .offset:         72
        .size:           8
        .value_kind:     by_value
      - .offset:         80
        .size:           4
        .value_kind:     by_value
      - .offset:         88
        .size:           8
        .value_kind:     by_value
      - .offset:         96
        .size:           4
        .value_kind:     by_value
      - .offset:         104
        .size:           4
        .value_kind:     hidden_block_count_x
      - .offset:         108
        .size:           4
        .value_kind:     hidden_block_count_y
      - .offset:         112
        .size:           4
        .value_kind:     hidden_block_count_z
      - .offset:         116
        .size:           2
        .value_kind:     hidden_group_size_x
      - .offset:         118
        .size:           2
        .value_kind:     hidden_group_size_y
      - .offset:         120
        .size:           2
        .value_kind:     hidden_group_size_z
      - .offset:         122
        .size:           2
        .value_kind:     hidden_remainder_x
      - .offset:         124
        .size:           2
        .value_kind:     hidden_remainder_y
      - .offset:         126
        .size:           2
        .value_kind:     hidden_remainder_z
      - .offset:         144
        .size:           8
        .value_kind:     hidden_global_offset_x
      - .offset:         152
        .size:           8
        .value_kind:     hidden_global_offset_y
      - .offset:         160
        .size:           8
        .value_kind:     hidden_global_offset_z
      - .offset:         168
        .size:           2
        .value_kind:     hidden_grid_dims
    .group_segment_fixed_size: 1152
    .kernarg_segment_align: 8
    .kernarg_segment_size: 360
    .language:       OpenCL C
    .language_version:
      - 2
      - 0
    .max_flat_workgroup_size: 12
    .name:           _ZL30rocblas_trsm_small_left_deviceILi12ELi12ELb1E19rocblas_complex_numIfES1_PKS1_PS1_Ev13rocblas_fill_18rocblas_operation_17rocblas_diagonal_iiT3_T4_lilT5_lili
    .private_segment_fixed_size: 112
    .sgpr_count:     50
    .sgpr_spill_count: 0
    .symbol:         _ZL30rocblas_trsm_small_left_deviceILi12ELi12ELb1E19rocblas_complex_numIfES1_PKS1_PS1_Ev13rocblas_fill_18rocblas_operation_17rocblas_diagonal_iiT3_T4_lilT5_lili.kd
    .uniform_work_group_size: 1
    .uses_dynamic_stack: false
    .vgpr_count:     26
    .vgpr_spill_count: 0
    .wavefront_size: 64
  - .agpr_count:     0
    .args:
      - .offset:         0
        .size:           4
        .value_kind:     by_value
      - .offset:         4
        .size:           4
        .value_kind:     by_value
      - .offset:         8
        .size:           4
        .value_kind:     by_value
      - .offset:         12
        .size:           4
        .value_kind:     by_value
      - .offset:         16
        .size:           4
        .value_kind:     by_value
      - .offset:         20
        .size:           8
        .value_kind:     by_value
      - .address_space:  global
        .offset:         32
        .size:           8
        .value_kind:     global_buffer
      - .offset:         40
        .size:           8
        .value_kind:     by_value
      - .offset:         48
        .size:           4
        .value_kind:     by_value
      - .offset:         56
        .size:           8
        .value_kind:     by_value
      - .address_space:  global
        .offset:         64
        .size:           8
        .value_kind:     global_buffer
      - .offset:         72
        .size:           8
        .value_kind:     by_value
      - .offset:         80
        .size:           4
        .value_kind:     by_value
      - .offset:         88
        .size:           8
        .value_kind:     by_value
      - .offset:         96
        .size:           4
        .value_kind:     by_value
      - .offset:         104
        .size:           4
        .value_kind:     hidden_block_count_x
      - .offset:         108
        .size:           4
        .value_kind:     hidden_block_count_y
      - .offset:         112
        .size:           4
        .value_kind:     hidden_block_count_z
      - .offset:         116
        .size:           2
        .value_kind:     hidden_group_size_x
      - .offset:         118
        .size:           2
        .value_kind:     hidden_group_size_y
      - .offset:         120
        .size:           2
        .value_kind:     hidden_group_size_z
      - .offset:         122
        .size:           2
        .value_kind:     hidden_remainder_x
      - .offset:         124
        .size:           2
        .value_kind:     hidden_remainder_y
      - .offset:         126
        .size:           2
        .value_kind:     hidden_remainder_z
      - .offset:         144
        .size:           8
        .value_kind:     hidden_global_offset_x
      - .offset:         152
        .size:           8
        .value_kind:     hidden_global_offset_y
      - .offset:         160
        .size:           8
        .value_kind:     hidden_global_offset_z
      - .offset:         168
        .size:           2
        .value_kind:     hidden_grid_dims
    .group_segment_fixed_size: 2304
    .kernarg_segment_align: 8
    .kernarg_segment_size: 360
    .language:       OpenCL C
    .language_version:
      - 2
      - 0
    .max_flat_workgroup_size: 12
    .name:           _ZL31rocblas_trsm_small_right_deviceI19rocblas_complex_numIfES1_PKS1_PS1_Li12EEv13rocblas_fill_18rocblas_operation_17rocblas_diagonal_iiT0_T1_lilT2_lili
    .private_segment_fixed_size: 0
    .sgpr_count:     52
    .sgpr_spill_count: 0
    .symbol:         _ZL31rocblas_trsm_small_right_deviceI19rocblas_complex_numIfES1_PKS1_PS1_Li12EEv13rocblas_fill_18rocblas_operation_17rocblas_diagonal_iiT0_T1_lilT2_lili.kd
    .uniform_work_group_size: 1
    .uses_dynamic_stack: false
    .vgpr_count:     56
    .vgpr_spill_count: 0
    .wavefront_size: 64
  - .agpr_count:     0
    .args:
      - .offset:         0
        .size:           4
        .value_kind:     by_value
      - .offset:         4
        .size:           4
        .value_kind:     by_value
      - .offset:         8
        .size:           4
        .value_kind:     by_value
      - .offset:         12
        .size:           4
        .value_kind:     by_value
      - .offset:         16
        .size:           4
        .value_kind:     by_value
      - .offset:         20
        .size:           8
        .value_kind:     by_value
      - .address_space:  global
        .offset:         32
        .size:           8
        .value_kind:     global_buffer
      - .offset:         40
        .size:           8
        .value_kind:     by_value
      - .offset:         48
        .size:           4
        .value_kind:     by_value
      - .offset:         56
        .size:           8
        .value_kind:     by_value
      - .address_space:  global
        .offset:         64
        .size:           8
        .value_kind:     global_buffer
      - .offset:         72
        .size:           8
        .value_kind:     by_value
      - .offset:         80
        .size:           4
        .value_kind:     by_value
      - .offset:         88
        .size:           8
        .value_kind:     by_value
      - .offset:         96
        .size:           4
        .value_kind:     by_value
      - .offset:         104
        .size:           4
        .value_kind:     hidden_block_count_x
      - .offset:         108
        .size:           4
        .value_kind:     hidden_block_count_y
      - .offset:         112
        .size:           4
        .value_kind:     hidden_block_count_z
      - .offset:         116
        .size:           2
        .value_kind:     hidden_group_size_x
      - .offset:         118
        .size:           2
        .value_kind:     hidden_group_size_y
      - .offset:         120
        .size:           2
        .value_kind:     hidden_group_size_z
      - .offset:         122
        .size:           2
        .value_kind:     hidden_remainder_x
      - .offset:         124
        .size:           2
        .value_kind:     hidden_remainder_y
      - .offset:         126
        .size:           2
        .value_kind:     hidden_remainder_z
      - .offset:         144
        .size:           8
        .value_kind:     hidden_global_offset_x
      - .offset:         152
        .size:           8
        .value_kind:     hidden_global_offset_y
      - .offset:         160
        .size:           8
        .value_kind:     hidden_global_offset_z
      - .offset:         168
        .size:           2
        .value_kind:     hidden_grid_dims
    .group_segment_fixed_size: 4096
    .kernarg_segment_align: 8
    .kernarg_segment_size: 360
    .language:       OpenCL C
    .language_version:
      - 2
      - 0
    .max_flat_workgroup_size: 16
    .name:           _ZL38rocblas_trsm_small_left_device_sharedBILi16ELi16ELb0E19rocblas_complex_numIfES1_PKS1_PS1_Ev13rocblas_fill_18rocblas_operation_17rocblas_diagonal_iiT3_T4_lilT5_lili
    .private_segment_fixed_size: 144
    .sgpr_count:     70
    .sgpr_spill_count: 0
    .symbol:         _ZL38rocblas_trsm_small_left_device_sharedBILi16ELi16ELb0E19rocblas_complex_numIfES1_PKS1_PS1_Ev13rocblas_fill_18rocblas_operation_17rocblas_diagonal_iiT3_T4_lilT5_lili.kd
    .uniform_work_group_size: 1
    .uses_dynamic_stack: false
    .vgpr_count:     44
    .vgpr_spill_count: 0
    .wavefront_size: 64
  - .agpr_count:     0
    .args:
      - .offset:         0
        .size:           4
        .value_kind:     by_value
      - .offset:         4
        .size:           4
        .value_kind:     by_value
      - .offset:         8
        .size:           4
        .value_kind:     by_value
      - .offset:         12
        .size:           4
        .value_kind:     by_value
      - .offset:         16
        .size:           4
        .value_kind:     by_value
      - .offset:         20
        .size:           8
        .value_kind:     by_value
      - .address_space:  global
        .offset:         32
        .size:           8
        .value_kind:     global_buffer
      - .offset:         40
        .size:           8
        .value_kind:     by_value
      - .offset:         48
        .size:           4
        .value_kind:     by_value
      - .offset:         56
        .size:           8
        .value_kind:     by_value
      - .address_space:  global
        .offset:         64
        .size:           8
        .value_kind:     global_buffer
      - .offset:         72
        .size:           8
        .value_kind:     by_value
      - .offset:         80
        .size:           4
        .value_kind:     by_value
      - .offset:         88
        .size:           8
        .value_kind:     by_value
      - .offset:         96
        .size:           4
        .value_kind:     by_value
      - .offset:         104
        .size:           4
        .value_kind:     hidden_block_count_x
      - .offset:         108
        .size:           4
        .value_kind:     hidden_block_count_y
      - .offset:         112
        .size:           4
        .value_kind:     hidden_block_count_z
      - .offset:         116
        .size:           2
        .value_kind:     hidden_group_size_x
      - .offset:         118
        .size:           2
        .value_kind:     hidden_group_size_y
      - .offset:         120
        .size:           2
        .value_kind:     hidden_group_size_z
      - .offset:         122
        .size:           2
        .value_kind:     hidden_remainder_x
      - .offset:         124
        .size:           2
        .value_kind:     hidden_remainder_y
      - .offset:         126
        .size:           2
        .value_kind:     hidden_remainder_z
      - .offset:         144
        .size:           8
        .value_kind:     hidden_global_offset_x
      - .offset:         152
        .size:           8
        .value_kind:     hidden_global_offset_y
      - .offset:         160
        .size:           8
        .value_kind:     hidden_global_offset_z
      - .offset:         168
        .size:           2
        .value_kind:     hidden_grid_dims
    .group_segment_fixed_size: 2048
    .kernarg_segment_align: 8
    .kernarg_segment_size: 360
    .language:       OpenCL C
    .language_version:
      - 2
      - 0
    .max_flat_workgroup_size: 16
    .name:           _ZL30rocblas_trsm_small_left_deviceILi16ELi16ELb0E19rocblas_complex_numIfES1_PKS1_PS1_Ev13rocblas_fill_18rocblas_operation_17rocblas_diagonal_iiT3_T4_lilT5_lili
    .private_segment_fixed_size: 144
    .sgpr_count:     50
    .sgpr_spill_count: 0
    .symbol:         _ZL30rocblas_trsm_small_left_deviceILi16ELi16ELb0E19rocblas_complex_numIfES1_PKS1_PS1_Ev13rocblas_fill_18rocblas_operation_17rocblas_diagonal_iiT3_T4_lilT5_lili.kd
    .uniform_work_group_size: 1
    .uses_dynamic_stack: false
    .vgpr_count:     26
    .vgpr_spill_count: 0
    .wavefront_size: 64
  - .agpr_count:     0
    .args:
      - .offset:         0
        .size:           4
        .value_kind:     by_value
      - .offset:         4
        .size:           4
        .value_kind:     by_value
      - .offset:         8
        .size:           4
        .value_kind:     by_value
      - .offset:         12
        .size:           4
        .value_kind:     by_value
      - .offset:         16
        .size:           4
        .value_kind:     by_value
      - .offset:         20
        .size:           8
        .value_kind:     by_value
      - .address_space:  global
        .offset:         32
        .size:           8
        .value_kind:     global_buffer
      - .offset:         40
        .size:           8
        .value_kind:     by_value
      - .offset:         48
        .size:           4
        .value_kind:     by_value
      - .offset:         56
        .size:           8
        .value_kind:     by_value
      - .address_space:  global
        .offset:         64
        .size:           8
        .value_kind:     global_buffer
      - .offset:         72
        .size:           8
        .value_kind:     by_value
      - .offset:         80
        .size:           4
        .value_kind:     by_value
      - .offset:         88
        .size:           8
        .value_kind:     by_value
      - .offset:         96
        .size:           4
        .value_kind:     by_value
      - .offset:         104
        .size:           4
        .value_kind:     hidden_block_count_x
      - .offset:         108
        .size:           4
        .value_kind:     hidden_block_count_y
      - .offset:         112
        .size:           4
        .value_kind:     hidden_block_count_z
      - .offset:         116
        .size:           2
        .value_kind:     hidden_group_size_x
      - .offset:         118
        .size:           2
        .value_kind:     hidden_group_size_y
      - .offset:         120
        .size:           2
        .value_kind:     hidden_group_size_z
      - .offset:         122
        .size:           2
        .value_kind:     hidden_remainder_x
      - .offset:         124
        .size:           2
        .value_kind:     hidden_remainder_y
      - .offset:         126
        .size:           2
        .value_kind:     hidden_remainder_z
      - .offset:         144
        .size:           8
        .value_kind:     hidden_global_offset_x
      - .offset:         152
        .size:           8
        .value_kind:     hidden_global_offset_y
      - .offset:         160
        .size:           8
        .value_kind:     hidden_global_offset_z
      - .offset:         168
        .size:           2
        .value_kind:     hidden_grid_dims
    .group_segment_fixed_size: 4096
    .kernarg_segment_align: 8
    .kernarg_segment_size: 360
    .language:       OpenCL C
    .language_version:
      - 2
      - 0
    .max_flat_workgroup_size: 16
    .name:           _ZL38rocblas_trsm_small_left_device_sharedBILi16ELi16ELb1E19rocblas_complex_numIfES1_PKS1_PS1_Ev13rocblas_fill_18rocblas_operation_17rocblas_diagonal_iiT3_T4_lilT5_lili
    .private_segment_fixed_size: 144
    .sgpr_count:     70
    .sgpr_spill_count: 0
    .symbol:         _ZL38rocblas_trsm_small_left_device_sharedBILi16ELi16ELb1E19rocblas_complex_numIfES1_PKS1_PS1_Ev13rocblas_fill_18rocblas_operation_17rocblas_diagonal_iiT3_T4_lilT5_lili.kd
    .uniform_work_group_size: 1
    .uses_dynamic_stack: false
    .vgpr_count:     44
    .vgpr_spill_count: 0
    .wavefront_size: 64
  - .agpr_count:     0
    .args:
      - .offset:         0
        .size:           4
        .value_kind:     by_value
      - .offset:         4
        .size:           4
        .value_kind:     by_value
      - .offset:         8
        .size:           4
        .value_kind:     by_value
      - .offset:         12
        .size:           4
        .value_kind:     by_value
      - .offset:         16
        .size:           4
        .value_kind:     by_value
      - .offset:         20
        .size:           8
        .value_kind:     by_value
      - .address_space:  global
        .offset:         32
        .size:           8
        .value_kind:     global_buffer
      - .offset:         40
        .size:           8
        .value_kind:     by_value
      - .offset:         48
        .size:           4
        .value_kind:     by_value
      - .offset:         56
        .size:           8
        .value_kind:     by_value
      - .address_space:  global
        .offset:         64
        .size:           8
        .value_kind:     global_buffer
      - .offset:         72
        .size:           8
        .value_kind:     by_value
      - .offset:         80
        .size:           4
        .value_kind:     by_value
      - .offset:         88
        .size:           8
        .value_kind:     by_value
      - .offset:         96
        .size:           4
        .value_kind:     by_value
      - .offset:         104
        .size:           4
        .value_kind:     hidden_block_count_x
      - .offset:         108
        .size:           4
        .value_kind:     hidden_block_count_y
      - .offset:         112
        .size:           4
        .value_kind:     hidden_block_count_z
      - .offset:         116
        .size:           2
        .value_kind:     hidden_group_size_x
      - .offset:         118
        .size:           2
        .value_kind:     hidden_group_size_y
      - .offset:         120
        .size:           2
        .value_kind:     hidden_group_size_z
      - .offset:         122
        .size:           2
        .value_kind:     hidden_remainder_x
      - .offset:         124
        .size:           2
        .value_kind:     hidden_remainder_y
      - .offset:         126
        .size:           2
        .value_kind:     hidden_remainder_z
      - .offset:         144
        .size:           8
        .value_kind:     hidden_global_offset_x
      - .offset:         152
        .size:           8
        .value_kind:     hidden_global_offset_y
      - .offset:         160
        .size:           8
        .value_kind:     hidden_global_offset_z
      - .offset:         168
        .size:           2
        .value_kind:     hidden_grid_dims
    .group_segment_fixed_size: 2048
    .kernarg_segment_align: 8
    .kernarg_segment_size: 360
    .language:       OpenCL C
    .language_version:
      - 2
      - 0
    .max_flat_workgroup_size: 16
    .name:           _ZL30rocblas_trsm_small_left_deviceILi16ELi16ELb1E19rocblas_complex_numIfES1_PKS1_PS1_Ev13rocblas_fill_18rocblas_operation_17rocblas_diagonal_iiT3_T4_lilT5_lili
    .private_segment_fixed_size: 144
    .sgpr_count:     50
    .sgpr_spill_count: 0
    .symbol:         _ZL30rocblas_trsm_small_left_deviceILi16ELi16ELb1E19rocblas_complex_numIfES1_PKS1_PS1_Ev13rocblas_fill_18rocblas_operation_17rocblas_diagonal_iiT3_T4_lilT5_lili.kd
    .uniform_work_group_size: 1
    .uses_dynamic_stack: false
    .vgpr_count:     26
    .vgpr_spill_count: 0
    .wavefront_size: 64
  - .agpr_count:     0
    .args:
      - .offset:         0
        .size:           4
        .value_kind:     by_value
      - .offset:         4
        .size:           4
        .value_kind:     by_value
      - .offset:         8
        .size:           4
        .value_kind:     by_value
      - .offset:         12
        .size:           4
        .value_kind:     by_value
      - .offset:         16
        .size:           4
        .value_kind:     by_value
      - .offset:         20
        .size:           8
        .value_kind:     by_value
      - .address_space:  global
        .offset:         32
        .size:           8
        .value_kind:     global_buffer
      - .offset:         40
        .size:           8
        .value_kind:     by_value
      - .offset:         48
        .size:           4
        .value_kind:     by_value
      - .offset:         56
        .size:           8
        .value_kind:     by_value
      - .address_space:  global
        .offset:         64
        .size:           8
        .value_kind:     global_buffer
      - .offset:         72
        .size:           8
        .value_kind:     by_value
      - .offset:         80
        .size:           4
        .value_kind:     by_value
      - .offset:         88
        .size:           8
        .value_kind:     by_value
      - .offset:         96
        .size:           4
        .value_kind:     by_value
      - .offset:         104
        .size:           4
        .value_kind:     hidden_block_count_x
      - .offset:         108
        .size:           4
        .value_kind:     hidden_block_count_y
      - .offset:         112
        .size:           4
        .value_kind:     hidden_block_count_z
      - .offset:         116
        .size:           2
        .value_kind:     hidden_group_size_x
      - .offset:         118
        .size:           2
        .value_kind:     hidden_group_size_y
      - .offset:         120
        .size:           2
        .value_kind:     hidden_group_size_z
      - .offset:         122
        .size:           2
        .value_kind:     hidden_remainder_x
      - .offset:         124
        .size:           2
        .value_kind:     hidden_remainder_y
      - .offset:         126
        .size:           2
        .value_kind:     hidden_remainder_z
      - .offset:         144
        .size:           8
        .value_kind:     hidden_global_offset_x
      - .offset:         152
        .size:           8
        .value_kind:     hidden_global_offset_y
      - .offset:         160
        .size:           8
        .value_kind:     hidden_global_offset_z
      - .offset:         168
        .size:           2
        .value_kind:     hidden_grid_dims
    .group_segment_fixed_size: 4096
    .kernarg_segment_align: 8
    .kernarg_segment_size: 360
    .language:       OpenCL C
    .language_version:
      - 2
      - 0
    .max_flat_workgroup_size: 16
    .name:           _ZL31rocblas_trsm_small_right_deviceI19rocblas_complex_numIfES1_PKS1_PS1_Li16EEv13rocblas_fill_18rocblas_operation_17rocblas_diagonal_iiT0_T1_lilT2_lili
    .private_segment_fixed_size: 0
    .sgpr_count:     64
    .sgpr_spill_count: 0
    .symbol:         _ZL31rocblas_trsm_small_right_deviceI19rocblas_complex_numIfES1_PKS1_PS1_Li16EEv13rocblas_fill_18rocblas_operation_17rocblas_diagonal_iiT0_T1_lilT2_lili.kd
    .uniform_work_group_size: 1
    .uses_dynamic_stack: false
    .vgpr_count:     58
    .vgpr_spill_count: 0
    .wavefront_size: 64
  - .agpr_count:     0
    .args:
      - .offset:         0
        .size:           4
        .value_kind:     by_value
      - .offset:         4
        .size:           4
        .value_kind:     by_value
      - .offset:         8
        .size:           4
        .value_kind:     by_value
      - .offset:         12
        .size:           4
        .value_kind:     by_value
      - .offset:         16
        .size:           4
        .value_kind:     by_value
      - .offset:         20
        .size:           8
        .value_kind:     by_value
      - .address_space:  global
        .offset:         32
        .size:           8
        .value_kind:     global_buffer
      - .offset:         40
        .size:           8
        .value_kind:     by_value
      - .offset:         48
        .size:           4
        .value_kind:     by_value
      - .offset:         56
        .size:           8
        .value_kind:     by_value
      - .address_space:  global
        .offset:         64
        .size:           8
        .value_kind:     global_buffer
      - .offset:         72
        .size:           8
        .value_kind:     by_value
      - .offset:         80
        .size:           4
        .value_kind:     by_value
      - .offset:         88
        .size:           8
        .value_kind:     by_value
      - .offset:         96
        .size:           4
        .value_kind:     by_value
      - .offset:         104
        .size:           4
        .value_kind:     hidden_block_count_x
      - .offset:         108
        .size:           4
        .value_kind:     hidden_block_count_y
      - .offset:         112
        .size:           4
        .value_kind:     hidden_block_count_z
      - .offset:         116
        .size:           2
        .value_kind:     hidden_group_size_x
      - .offset:         118
        .size:           2
        .value_kind:     hidden_group_size_y
      - .offset:         120
        .size:           2
        .value_kind:     hidden_group_size_z
      - .offset:         122
        .size:           2
        .value_kind:     hidden_remainder_x
      - .offset:         124
        .size:           2
        .value_kind:     hidden_remainder_y
      - .offset:         126
        .size:           2
        .value_kind:     hidden_remainder_z
      - .offset:         144
        .size:           8
        .value_kind:     hidden_global_offset_x
      - .offset:         152
        .size:           8
        .value_kind:     hidden_global_offset_y
      - .offset:         160
        .size:           8
        .value_kind:     hidden_global_offset_z
      - .offset:         168
        .size:           2
        .value_kind:     hidden_grid_dims
    .group_segment_fixed_size: 6400
    .kernarg_segment_align: 8
    .kernarg_segment_size: 360
    .language:       OpenCL C
    .language_version:
      - 2
      - 0
    .max_flat_workgroup_size: 20
    .name:           _ZL38rocblas_trsm_small_left_device_sharedBILi20ELi20ELb0E19rocblas_complex_numIfES1_PKS1_PS1_Ev13rocblas_fill_18rocblas_operation_17rocblas_diagonal_iiT3_T4_lilT5_lili
    .private_segment_fixed_size: 176
    .sgpr_count:     58
    .sgpr_spill_count: 0
    .symbol:         _ZL38rocblas_trsm_small_left_device_sharedBILi20ELi20ELb0E19rocblas_complex_numIfES1_PKS1_PS1_Ev13rocblas_fill_18rocblas_operation_17rocblas_diagonal_iiT3_T4_lilT5_lili.kd
    .uniform_work_group_size: 1
    .uses_dynamic_stack: false
    .vgpr_count:     43
    .vgpr_spill_count: 0
    .wavefront_size: 64
  - .agpr_count:     0
    .args:
      - .offset:         0
        .size:           4
        .value_kind:     by_value
      - .offset:         4
        .size:           4
        .value_kind:     by_value
      - .offset:         8
        .size:           4
        .value_kind:     by_value
      - .offset:         12
        .size:           4
        .value_kind:     by_value
      - .offset:         16
        .size:           4
        .value_kind:     by_value
      - .offset:         20
        .size:           8
        .value_kind:     by_value
      - .address_space:  global
        .offset:         32
        .size:           8
        .value_kind:     global_buffer
      - .offset:         40
        .size:           8
        .value_kind:     by_value
      - .offset:         48
        .size:           4
        .value_kind:     by_value
      - .offset:         56
        .size:           8
        .value_kind:     by_value
      - .address_space:  global
        .offset:         64
        .size:           8
        .value_kind:     global_buffer
      - .offset:         72
        .size:           8
        .value_kind:     by_value
      - .offset:         80
        .size:           4
        .value_kind:     by_value
      - .offset:         88
        .size:           8
        .value_kind:     by_value
      - .offset:         96
        .size:           4
        .value_kind:     by_value
      - .offset:         104
        .size:           4
        .value_kind:     hidden_block_count_x
      - .offset:         108
        .size:           4
        .value_kind:     hidden_block_count_y
      - .offset:         112
        .size:           4
        .value_kind:     hidden_block_count_z
      - .offset:         116
        .size:           2
        .value_kind:     hidden_group_size_x
      - .offset:         118
        .size:           2
        .value_kind:     hidden_group_size_y
      - .offset:         120
        .size:           2
        .value_kind:     hidden_group_size_z
      - .offset:         122
        .size:           2
        .value_kind:     hidden_remainder_x
      - .offset:         124
        .size:           2
        .value_kind:     hidden_remainder_y
      - .offset:         126
        .size:           2
        .value_kind:     hidden_remainder_z
      - .offset:         144
        .size:           8
        .value_kind:     hidden_global_offset_x
      - .offset:         152
        .size:           8
        .value_kind:     hidden_global_offset_y
      - .offset:         160
        .size:           8
        .value_kind:     hidden_global_offset_z
      - .offset:         168
        .size:           2
        .value_kind:     hidden_grid_dims
    .group_segment_fixed_size: 3200
    .kernarg_segment_align: 8
    .kernarg_segment_size: 360
    .language:       OpenCL C
    .language_version:
      - 2
      - 0
    .max_flat_workgroup_size: 20
    .name:           _ZL30rocblas_trsm_small_left_deviceILi20ELi20ELb0E19rocblas_complex_numIfES1_PKS1_PS1_Ev13rocblas_fill_18rocblas_operation_17rocblas_diagonal_iiT3_T4_lilT5_lili
    .private_segment_fixed_size: 176
    .sgpr_count:     50
    .sgpr_spill_count: 0
    .symbol:         _ZL30rocblas_trsm_small_left_deviceILi20ELi20ELb0E19rocblas_complex_numIfES1_PKS1_PS1_Ev13rocblas_fill_18rocblas_operation_17rocblas_diagonal_iiT3_T4_lilT5_lili.kd
    .uniform_work_group_size: 1
    .uses_dynamic_stack: false
    .vgpr_count:     26
    .vgpr_spill_count: 0
    .wavefront_size: 64
  - .agpr_count:     0
    .args:
      - .offset:         0
        .size:           4
        .value_kind:     by_value
      - .offset:         4
        .size:           4
        .value_kind:     by_value
      - .offset:         8
        .size:           4
        .value_kind:     by_value
      - .offset:         12
        .size:           4
        .value_kind:     by_value
      - .offset:         16
        .size:           4
        .value_kind:     by_value
      - .offset:         20
        .size:           8
        .value_kind:     by_value
      - .address_space:  global
        .offset:         32
        .size:           8
        .value_kind:     global_buffer
      - .offset:         40
        .size:           8
        .value_kind:     by_value
      - .offset:         48
        .size:           4
        .value_kind:     by_value
      - .offset:         56
        .size:           8
        .value_kind:     by_value
      - .address_space:  global
        .offset:         64
        .size:           8
        .value_kind:     global_buffer
      - .offset:         72
        .size:           8
        .value_kind:     by_value
      - .offset:         80
        .size:           4
        .value_kind:     by_value
      - .offset:         88
        .size:           8
        .value_kind:     by_value
      - .offset:         96
        .size:           4
        .value_kind:     by_value
      - .offset:         104
        .size:           4
        .value_kind:     hidden_block_count_x
      - .offset:         108
        .size:           4
        .value_kind:     hidden_block_count_y
      - .offset:         112
        .size:           4
        .value_kind:     hidden_block_count_z
      - .offset:         116
        .size:           2
        .value_kind:     hidden_group_size_x
      - .offset:         118
        .size:           2
        .value_kind:     hidden_group_size_y
      - .offset:         120
        .size:           2
        .value_kind:     hidden_group_size_z
      - .offset:         122
        .size:           2
        .value_kind:     hidden_remainder_x
      - .offset:         124
        .size:           2
        .value_kind:     hidden_remainder_y
      - .offset:         126
        .size:           2
        .value_kind:     hidden_remainder_z
      - .offset:         144
        .size:           8
        .value_kind:     hidden_global_offset_x
      - .offset:         152
        .size:           8
        .value_kind:     hidden_global_offset_y
      - .offset:         160
        .size:           8
        .value_kind:     hidden_global_offset_z
      - .offset:         168
        .size:           2
        .value_kind:     hidden_grid_dims
    .group_segment_fixed_size: 6400
    .kernarg_segment_align: 8
    .kernarg_segment_size: 360
    .language:       OpenCL C
    .language_version:
      - 2
      - 0
    .max_flat_workgroup_size: 20
    .name:           _ZL38rocblas_trsm_small_left_device_sharedBILi20ELi20ELb1E19rocblas_complex_numIfES1_PKS1_PS1_Ev13rocblas_fill_18rocblas_operation_17rocblas_diagonal_iiT3_T4_lilT5_lili
    .private_segment_fixed_size: 176
    .sgpr_count:     58
    .sgpr_spill_count: 0
    .symbol:         _ZL38rocblas_trsm_small_left_device_sharedBILi20ELi20ELb1E19rocblas_complex_numIfES1_PKS1_PS1_Ev13rocblas_fill_18rocblas_operation_17rocblas_diagonal_iiT3_T4_lilT5_lili.kd
    .uniform_work_group_size: 1
    .uses_dynamic_stack: false
    .vgpr_count:     43
    .vgpr_spill_count: 0
    .wavefront_size: 64
  - .agpr_count:     0
    .args:
      - .offset:         0
        .size:           4
        .value_kind:     by_value
      - .offset:         4
        .size:           4
        .value_kind:     by_value
      - .offset:         8
        .size:           4
        .value_kind:     by_value
      - .offset:         12
        .size:           4
        .value_kind:     by_value
      - .offset:         16
        .size:           4
        .value_kind:     by_value
      - .offset:         20
        .size:           8
        .value_kind:     by_value
      - .address_space:  global
        .offset:         32
        .size:           8
        .value_kind:     global_buffer
      - .offset:         40
        .size:           8
        .value_kind:     by_value
      - .offset:         48
        .size:           4
        .value_kind:     by_value
      - .offset:         56
        .size:           8
        .value_kind:     by_value
      - .address_space:  global
        .offset:         64
        .size:           8
        .value_kind:     global_buffer
      - .offset:         72
        .size:           8
        .value_kind:     by_value
      - .offset:         80
        .size:           4
        .value_kind:     by_value
      - .offset:         88
        .size:           8
        .value_kind:     by_value
      - .offset:         96
        .size:           4
        .value_kind:     by_value
      - .offset:         104
        .size:           4
        .value_kind:     hidden_block_count_x
      - .offset:         108
        .size:           4
        .value_kind:     hidden_block_count_y
      - .offset:         112
        .size:           4
        .value_kind:     hidden_block_count_z
      - .offset:         116
        .size:           2
        .value_kind:     hidden_group_size_x
      - .offset:         118
        .size:           2
        .value_kind:     hidden_group_size_y
      - .offset:         120
        .size:           2
        .value_kind:     hidden_group_size_z
      - .offset:         122
        .size:           2
        .value_kind:     hidden_remainder_x
      - .offset:         124
        .size:           2
        .value_kind:     hidden_remainder_y
      - .offset:         126
        .size:           2
        .value_kind:     hidden_remainder_z
      - .offset:         144
        .size:           8
        .value_kind:     hidden_global_offset_x
      - .offset:         152
        .size:           8
        .value_kind:     hidden_global_offset_y
      - .offset:         160
        .size:           8
        .value_kind:     hidden_global_offset_z
      - .offset:         168
        .size:           2
        .value_kind:     hidden_grid_dims
    .group_segment_fixed_size: 3200
    .kernarg_segment_align: 8
    .kernarg_segment_size: 360
    .language:       OpenCL C
    .language_version:
      - 2
      - 0
    .max_flat_workgroup_size: 20
    .name:           _ZL30rocblas_trsm_small_left_deviceILi20ELi20ELb1E19rocblas_complex_numIfES1_PKS1_PS1_Ev13rocblas_fill_18rocblas_operation_17rocblas_diagonal_iiT3_T4_lilT5_lili
    .private_segment_fixed_size: 176
    .sgpr_count:     50
    .sgpr_spill_count: 0
    .symbol:         _ZL30rocblas_trsm_small_left_deviceILi20ELi20ELb1E19rocblas_complex_numIfES1_PKS1_PS1_Ev13rocblas_fill_18rocblas_operation_17rocblas_diagonal_iiT3_T4_lilT5_lili.kd
    .uniform_work_group_size: 1
    .uses_dynamic_stack: false
    .vgpr_count:     26
    .vgpr_spill_count: 0
    .wavefront_size: 64
  - .agpr_count:     0
    .args:
      - .offset:         0
        .size:           4
        .value_kind:     by_value
      - .offset:         4
        .size:           4
        .value_kind:     by_value
      - .offset:         8
        .size:           4
        .value_kind:     by_value
      - .offset:         12
        .size:           4
        .value_kind:     by_value
      - .offset:         16
        .size:           4
        .value_kind:     by_value
      - .offset:         20
        .size:           8
        .value_kind:     by_value
      - .address_space:  global
        .offset:         32
        .size:           8
        .value_kind:     global_buffer
      - .offset:         40
        .size:           8
        .value_kind:     by_value
      - .offset:         48
        .size:           4
        .value_kind:     by_value
      - .offset:         56
        .size:           8
        .value_kind:     by_value
      - .address_space:  global
        .offset:         64
        .size:           8
        .value_kind:     global_buffer
      - .offset:         72
        .size:           8
        .value_kind:     by_value
      - .offset:         80
        .size:           4
        .value_kind:     by_value
      - .offset:         88
        .size:           8
        .value_kind:     by_value
      - .offset:         96
        .size:           4
        .value_kind:     by_value
      - .offset:         104
        .size:           4
        .value_kind:     hidden_block_count_x
      - .offset:         108
        .size:           4
        .value_kind:     hidden_block_count_y
      - .offset:         112
        .size:           4
        .value_kind:     hidden_block_count_z
      - .offset:         116
        .size:           2
        .value_kind:     hidden_group_size_x
      - .offset:         118
        .size:           2
        .value_kind:     hidden_group_size_y
      - .offset:         120
        .size:           2
        .value_kind:     hidden_group_size_z
      - .offset:         122
        .size:           2
        .value_kind:     hidden_remainder_x
      - .offset:         124
        .size:           2
        .value_kind:     hidden_remainder_y
      - .offset:         126
        .size:           2
        .value_kind:     hidden_remainder_z
      - .offset:         144
        .size:           8
        .value_kind:     hidden_global_offset_x
      - .offset:         152
        .size:           8
        .value_kind:     hidden_global_offset_y
      - .offset:         160
        .size:           8
        .value_kind:     hidden_global_offset_z
      - .offset:         168
        .size:           2
        .value_kind:     hidden_grid_dims
    .group_segment_fixed_size: 6400
    .kernarg_segment_align: 8
    .kernarg_segment_size: 360
    .language:       OpenCL C
    .language_version:
      - 2
      - 0
    .max_flat_workgroup_size: 20
    .name:           _ZL31rocblas_trsm_small_right_deviceI19rocblas_complex_numIfES1_PKS1_PS1_Li20EEv13rocblas_fill_18rocblas_operation_17rocblas_diagonal_iiT0_T1_lilT2_lili
    .private_segment_fixed_size: 0
    .sgpr_count:     52
    .sgpr_spill_count: 0
    .symbol:         _ZL31rocblas_trsm_small_right_deviceI19rocblas_complex_numIfES1_PKS1_PS1_Li20EEv13rocblas_fill_18rocblas_operation_17rocblas_diagonal_iiT0_T1_lilT2_lili.kd
    .uniform_work_group_size: 1
    .uses_dynamic_stack: false
    .vgpr_count:     56
    .vgpr_spill_count: 0
    .wavefront_size: 64
  - .agpr_count:     0
    .args:
      - .offset:         0
        .size:           4
        .value_kind:     by_value
      - .offset:         4
        .size:           4
        .value_kind:     by_value
      - .offset:         8
        .size:           4
        .value_kind:     by_value
      - .offset:         12
        .size:           4
        .value_kind:     by_value
      - .offset:         16
        .size:           4
        .value_kind:     by_value
      - .offset:         20
        .size:           8
        .value_kind:     by_value
      - .address_space:  global
        .offset:         32
        .size:           8
        .value_kind:     global_buffer
      - .offset:         40
        .size:           8
        .value_kind:     by_value
      - .offset:         48
        .size:           4
        .value_kind:     by_value
      - .offset:         56
        .size:           8
        .value_kind:     by_value
      - .address_space:  global
        .offset:         64
        .size:           8
        .value_kind:     global_buffer
      - .offset:         72
        .size:           8
        .value_kind:     by_value
      - .offset:         80
        .size:           4
        .value_kind:     by_value
      - .offset:         88
        .size:           8
        .value_kind:     by_value
      - .offset:         96
        .size:           4
        .value_kind:     by_value
      - .offset:         104
        .size:           4
        .value_kind:     hidden_block_count_x
      - .offset:         108
        .size:           4
        .value_kind:     hidden_block_count_y
      - .offset:         112
        .size:           4
        .value_kind:     hidden_block_count_z
      - .offset:         116
        .size:           2
        .value_kind:     hidden_group_size_x
      - .offset:         118
        .size:           2
        .value_kind:     hidden_group_size_y
      - .offset:         120
        .size:           2
        .value_kind:     hidden_group_size_z
      - .offset:         122
        .size:           2
        .value_kind:     hidden_remainder_x
      - .offset:         124
        .size:           2
        .value_kind:     hidden_remainder_y
      - .offset:         126
        .size:           2
        .value_kind:     hidden_remainder_z
      - .offset:         144
        .size:           8
        .value_kind:     hidden_global_offset_x
      - .offset:         152
        .size:           8
        .value_kind:     hidden_global_offset_y
      - .offset:         160
        .size:           8
        .value_kind:     hidden_global_offset_z
      - .offset:         168
        .size:           2
        .value_kind:     hidden_grid_dims
    .group_segment_fixed_size: 9216
    .kernarg_segment_align: 8
    .kernarg_segment_size: 360
    .language:       OpenCL C
    .language_version:
      - 2
      - 0
    .max_flat_workgroup_size: 24
    .name:           _ZL38rocblas_trsm_small_left_device_sharedBILi24ELi24ELb0E19rocblas_complex_numIfES1_PKS1_PS1_Ev13rocblas_fill_18rocblas_operation_17rocblas_diagonal_iiT3_T4_lilT5_lili
    .private_segment_fixed_size: 208
    .sgpr_count:     58
    .sgpr_spill_count: 0
    .symbol:         _ZL38rocblas_trsm_small_left_device_sharedBILi24ELi24ELb0E19rocblas_complex_numIfES1_PKS1_PS1_Ev13rocblas_fill_18rocblas_operation_17rocblas_diagonal_iiT3_T4_lilT5_lili.kd
    .uniform_work_group_size: 1
    .uses_dynamic_stack: false
    .vgpr_count:     43
    .vgpr_spill_count: 0
    .wavefront_size: 64
  - .agpr_count:     0
    .args:
      - .offset:         0
        .size:           4
        .value_kind:     by_value
      - .offset:         4
        .size:           4
        .value_kind:     by_value
      - .offset:         8
        .size:           4
        .value_kind:     by_value
      - .offset:         12
        .size:           4
        .value_kind:     by_value
      - .offset:         16
        .size:           4
        .value_kind:     by_value
      - .offset:         20
        .size:           8
        .value_kind:     by_value
      - .address_space:  global
        .offset:         32
        .size:           8
        .value_kind:     global_buffer
      - .offset:         40
        .size:           8
        .value_kind:     by_value
      - .offset:         48
        .size:           4
        .value_kind:     by_value
      - .offset:         56
        .size:           8
        .value_kind:     by_value
      - .address_space:  global
        .offset:         64
        .size:           8
        .value_kind:     global_buffer
      - .offset:         72
        .size:           8
        .value_kind:     by_value
      - .offset:         80
        .size:           4
        .value_kind:     by_value
      - .offset:         88
        .size:           8
        .value_kind:     by_value
      - .offset:         96
        .size:           4
        .value_kind:     by_value
      - .offset:         104
        .size:           4
        .value_kind:     hidden_block_count_x
      - .offset:         108
        .size:           4
        .value_kind:     hidden_block_count_y
      - .offset:         112
        .size:           4
        .value_kind:     hidden_block_count_z
      - .offset:         116
        .size:           2
        .value_kind:     hidden_group_size_x
      - .offset:         118
        .size:           2
        .value_kind:     hidden_group_size_y
      - .offset:         120
        .size:           2
        .value_kind:     hidden_group_size_z
      - .offset:         122
        .size:           2
        .value_kind:     hidden_remainder_x
      - .offset:         124
        .size:           2
        .value_kind:     hidden_remainder_y
      - .offset:         126
        .size:           2
        .value_kind:     hidden_remainder_z
      - .offset:         144
        .size:           8
        .value_kind:     hidden_global_offset_x
      - .offset:         152
        .size:           8
        .value_kind:     hidden_global_offset_y
      - .offset:         160
        .size:           8
        .value_kind:     hidden_global_offset_z
      - .offset:         168
        .size:           2
        .value_kind:     hidden_grid_dims
    .group_segment_fixed_size: 4608
    .kernarg_segment_align: 8
    .kernarg_segment_size: 360
    .language:       OpenCL C
    .language_version:
      - 2
      - 0
    .max_flat_workgroup_size: 24
    .name:           _ZL30rocblas_trsm_small_left_deviceILi24ELi24ELb0E19rocblas_complex_numIfES1_PKS1_PS1_Ev13rocblas_fill_18rocblas_operation_17rocblas_diagonal_iiT3_T4_lilT5_lili
    .private_segment_fixed_size: 208
    .sgpr_count:     50
    .sgpr_spill_count: 0
    .symbol:         _ZL30rocblas_trsm_small_left_deviceILi24ELi24ELb0E19rocblas_complex_numIfES1_PKS1_PS1_Ev13rocblas_fill_18rocblas_operation_17rocblas_diagonal_iiT3_T4_lilT5_lili.kd
    .uniform_work_group_size: 1
    .uses_dynamic_stack: false
    .vgpr_count:     26
    .vgpr_spill_count: 0
    .wavefront_size: 64
  - .agpr_count:     0
    .args:
      - .offset:         0
        .size:           4
        .value_kind:     by_value
      - .offset:         4
        .size:           4
        .value_kind:     by_value
      - .offset:         8
        .size:           4
        .value_kind:     by_value
      - .offset:         12
        .size:           4
        .value_kind:     by_value
      - .offset:         16
        .size:           4
        .value_kind:     by_value
      - .offset:         20
        .size:           8
        .value_kind:     by_value
      - .address_space:  global
        .offset:         32
        .size:           8
        .value_kind:     global_buffer
      - .offset:         40
        .size:           8
        .value_kind:     by_value
      - .offset:         48
        .size:           4
        .value_kind:     by_value
      - .offset:         56
        .size:           8
        .value_kind:     by_value
      - .address_space:  global
        .offset:         64
        .size:           8
        .value_kind:     global_buffer
      - .offset:         72
        .size:           8
        .value_kind:     by_value
      - .offset:         80
        .size:           4
        .value_kind:     by_value
      - .offset:         88
        .size:           8
        .value_kind:     by_value
      - .offset:         96
        .size:           4
        .value_kind:     by_value
      - .offset:         104
        .size:           4
        .value_kind:     hidden_block_count_x
      - .offset:         108
        .size:           4
        .value_kind:     hidden_block_count_y
      - .offset:         112
        .size:           4
        .value_kind:     hidden_block_count_z
      - .offset:         116
        .size:           2
        .value_kind:     hidden_group_size_x
      - .offset:         118
        .size:           2
        .value_kind:     hidden_group_size_y
      - .offset:         120
        .size:           2
        .value_kind:     hidden_group_size_z
      - .offset:         122
        .size:           2
        .value_kind:     hidden_remainder_x
      - .offset:         124
        .size:           2
        .value_kind:     hidden_remainder_y
      - .offset:         126
        .size:           2
        .value_kind:     hidden_remainder_z
      - .offset:         144
        .size:           8
        .value_kind:     hidden_global_offset_x
      - .offset:         152
        .size:           8
        .value_kind:     hidden_global_offset_y
      - .offset:         160
        .size:           8
        .value_kind:     hidden_global_offset_z
      - .offset:         168
        .size:           2
        .value_kind:     hidden_grid_dims
    .group_segment_fixed_size: 9216
    .kernarg_segment_align: 8
    .kernarg_segment_size: 360
    .language:       OpenCL C
    .language_version:
      - 2
      - 0
    .max_flat_workgroup_size: 24
    .name:           _ZL38rocblas_trsm_small_left_device_sharedBILi24ELi24ELb1E19rocblas_complex_numIfES1_PKS1_PS1_Ev13rocblas_fill_18rocblas_operation_17rocblas_diagonal_iiT3_T4_lilT5_lili
    .private_segment_fixed_size: 208
    .sgpr_count:     58
    .sgpr_spill_count: 0
    .symbol:         _ZL38rocblas_trsm_small_left_device_sharedBILi24ELi24ELb1E19rocblas_complex_numIfES1_PKS1_PS1_Ev13rocblas_fill_18rocblas_operation_17rocblas_diagonal_iiT3_T4_lilT5_lili.kd
    .uniform_work_group_size: 1
    .uses_dynamic_stack: false
    .vgpr_count:     43
    .vgpr_spill_count: 0
    .wavefront_size: 64
  - .agpr_count:     0
    .args:
      - .offset:         0
        .size:           4
        .value_kind:     by_value
      - .offset:         4
        .size:           4
        .value_kind:     by_value
      - .offset:         8
        .size:           4
        .value_kind:     by_value
      - .offset:         12
        .size:           4
        .value_kind:     by_value
      - .offset:         16
        .size:           4
        .value_kind:     by_value
      - .offset:         20
        .size:           8
        .value_kind:     by_value
      - .address_space:  global
        .offset:         32
        .size:           8
        .value_kind:     global_buffer
      - .offset:         40
        .size:           8
        .value_kind:     by_value
      - .offset:         48
        .size:           4
        .value_kind:     by_value
      - .offset:         56
        .size:           8
        .value_kind:     by_value
      - .address_space:  global
        .offset:         64
        .size:           8
        .value_kind:     global_buffer
      - .offset:         72
        .size:           8
        .value_kind:     by_value
      - .offset:         80
        .size:           4
        .value_kind:     by_value
      - .offset:         88
        .size:           8
        .value_kind:     by_value
      - .offset:         96
        .size:           4
        .value_kind:     by_value
      - .offset:         104
        .size:           4
        .value_kind:     hidden_block_count_x
      - .offset:         108
        .size:           4
        .value_kind:     hidden_block_count_y
      - .offset:         112
        .size:           4
        .value_kind:     hidden_block_count_z
      - .offset:         116
        .size:           2
        .value_kind:     hidden_group_size_x
      - .offset:         118
        .size:           2
        .value_kind:     hidden_group_size_y
      - .offset:         120
        .size:           2
        .value_kind:     hidden_group_size_z
      - .offset:         122
        .size:           2
        .value_kind:     hidden_remainder_x
      - .offset:         124
        .size:           2
        .value_kind:     hidden_remainder_y
      - .offset:         126
        .size:           2
        .value_kind:     hidden_remainder_z
      - .offset:         144
        .size:           8
        .value_kind:     hidden_global_offset_x
      - .offset:         152
        .size:           8
        .value_kind:     hidden_global_offset_y
      - .offset:         160
        .size:           8
        .value_kind:     hidden_global_offset_z
      - .offset:         168
        .size:           2
        .value_kind:     hidden_grid_dims
    .group_segment_fixed_size: 4608
    .kernarg_segment_align: 8
    .kernarg_segment_size: 360
    .language:       OpenCL C
    .language_version:
      - 2
      - 0
    .max_flat_workgroup_size: 24
    .name:           _ZL30rocblas_trsm_small_left_deviceILi24ELi24ELb1E19rocblas_complex_numIfES1_PKS1_PS1_Ev13rocblas_fill_18rocblas_operation_17rocblas_diagonal_iiT3_T4_lilT5_lili
    .private_segment_fixed_size: 208
    .sgpr_count:     50
    .sgpr_spill_count: 0
    .symbol:         _ZL30rocblas_trsm_small_left_deviceILi24ELi24ELb1E19rocblas_complex_numIfES1_PKS1_PS1_Ev13rocblas_fill_18rocblas_operation_17rocblas_diagonal_iiT3_T4_lilT5_lili.kd
    .uniform_work_group_size: 1
    .uses_dynamic_stack: false
    .vgpr_count:     26
    .vgpr_spill_count: 0
    .wavefront_size: 64
  - .agpr_count:     0
    .args:
      - .offset:         0
        .size:           4
        .value_kind:     by_value
      - .offset:         4
        .size:           4
        .value_kind:     by_value
      - .offset:         8
        .size:           4
        .value_kind:     by_value
      - .offset:         12
        .size:           4
        .value_kind:     by_value
      - .offset:         16
        .size:           4
        .value_kind:     by_value
      - .offset:         20
        .size:           8
        .value_kind:     by_value
      - .address_space:  global
        .offset:         32
        .size:           8
        .value_kind:     global_buffer
      - .offset:         40
        .size:           8
        .value_kind:     by_value
      - .offset:         48
        .size:           4
        .value_kind:     by_value
      - .offset:         56
        .size:           8
        .value_kind:     by_value
      - .address_space:  global
        .offset:         64
        .size:           8
        .value_kind:     global_buffer
      - .offset:         72
        .size:           8
        .value_kind:     by_value
      - .offset:         80
        .size:           4
        .value_kind:     by_value
      - .offset:         88
        .size:           8
        .value_kind:     by_value
      - .offset:         96
        .size:           4
        .value_kind:     by_value
      - .offset:         104
        .size:           4
        .value_kind:     hidden_block_count_x
      - .offset:         108
        .size:           4
        .value_kind:     hidden_block_count_y
      - .offset:         112
        .size:           4
        .value_kind:     hidden_block_count_z
      - .offset:         116
        .size:           2
        .value_kind:     hidden_group_size_x
      - .offset:         118
        .size:           2
        .value_kind:     hidden_group_size_y
      - .offset:         120
        .size:           2
        .value_kind:     hidden_group_size_z
      - .offset:         122
        .size:           2
        .value_kind:     hidden_remainder_x
      - .offset:         124
        .size:           2
        .value_kind:     hidden_remainder_y
      - .offset:         126
        .size:           2
        .value_kind:     hidden_remainder_z
      - .offset:         144
        .size:           8
        .value_kind:     hidden_global_offset_x
      - .offset:         152
        .size:           8
        .value_kind:     hidden_global_offset_y
      - .offset:         160
        .size:           8
        .value_kind:     hidden_global_offset_z
      - .offset:         168
        .size:           2
        .value_kind:     hidden_grid_dims
    .group_segment_fixed_size: 9216
    .kernarg_segment_align: 8
    .kernarg_segment_size: 360
    .language:       OpenCL C
    .language_version:
      - 2
      - 0
    .max_flat_workgroup_size: 24
    .name:           _ZL31rocblas_trsm_small_right_deviceI19rocblas_complex_numIfES1_PKS1_PS1_Li24EEv13rocblas_fill_18rocblas_operation_17rocblas_diagonal_iiT0_T1_lilT2_lili
    .private_segment_fixed_size: 0
    .sgpr_count:     52
    .sgpr_spill_count: 0
    .symbol:         _ZL31rocblas_trsm_small_right_deviceI19rocblas_complex_numIfES1_PKS1_PS1_Li24EEv13rocblas_fill_18rocblas_operation_17rocblas_diagonal_iiT0_T1_lilT2_lili.kd
    .uniform_work_group_size: 1
    .uses_dynamic_stack: false
    .vgpr_count:     56
    .vgpr_spill_count: 0
    .wavefront_size: 64
  - .agpr_count:     0
    .args:
      - .offset:         0
        .size:           4
        .value_kind:     by_value
      - .offset:         4
        .size:           4
        .value_kind:     by_value
      - .offset:         8
        .size:           4
        .value_kind:     by_value
      - .offset:         12
        .size:           4
        .value_kind:     by_value
      - .offset:         16
        .size:           4
        .value_kind:     by_value
      - .offset:         20
        .size:           8
        .value_kind:     by_value
      - .address_space:  global
        .offset:         32
        .size:           8
        .value_kind:     global_buffer
      - .offset:         40
        .size:           8
        .value_kind:     by_value
      - .offset:         48
        .size:           4
        .value_kind:     by_value
      - .offset:         56
        .size:           8
        .value_kind:     by_value
      - .address_space:  global
        .offset:         64
        .size:           8
        .value_kind:     global_buffer
      - .offset:         72
        .size:           8
        .value_kind:     by_value
      - .offset:         80
        .size:           4
        .value_kind:     by_value
      - .offset:         88
        .size:           8
        .value_kind:     by_value
      - .offset:         96
        .size:           4
        .value_kind:     by_value
      - .offset:         104
        .size:           4
        .value_kind:     hidden_block_count_x
      - .offset:         108
        .size:           4
        .value_kind:     hidden_block_count_y
      - .offset:         112
        .size:           4
        .value_kind:     hidden_block_count_z
      - .offset:         116
        .size:           2
        .value_kind:     hidden_group_size_x
      - .offset:         118
        .size:           2
        .value_kind:     hidden_group_size_y
      - .offset:         120
        .size:           2
        .value_kind:     hidden_group_size_z
      - .offset:         122
        .size:           2
        .value_kind:     hidden_remainder_x
      - .offset:         124
        .size:           2
        .value_kind:     hidden_remainder_y
      - .offset:         126
        .size:           2
        .value_kind:     hidden_remainder_z
      - .offset:         144
        .size:           8
        .value_kind:     hidden_global_offset_x
      - .offset:         152
        .size:           8
        .value_kind:     hidden_global_offset_y
      - .offset:         160
        .size:           8
        .value_kind:     hidden_global_offset_z
      - .offset:         168
        .size:           2
        .value_kind:     hidden_grid_dims
    .group_segment_fixed_size: 12544
    .kernarg_segment_align: 8
    .kernarg_segment_size: 360
    .language:       OpenCL C
    .language_version:
      - 2
      - 0
    .max_flat_workgroup_size: 28
    .name:           _ZL38rocblas_trsm_small_left_device_sharedBILi28ELi28ELb0E19rocblas_complex_numIfES1_PKS1_PS1_Ev13rocblas_fill_18rocblas_operation_17rocblas_diagonal_iiT3_T4_lilT5_lili
    .private_segment_fixed_size: 240
    .sgpr_count:     58
    .sgpr_spill_count: 0
    .symbol:         _ZL38rocblas_trsm_small_left_device_sharedBILi28ELi28ELb0E19rocblas_complex_numIfES1_PKS1_PS1_Ev13rocblas_fill_18rocblas_operation_17rocblas_diagonal_iiT3_T4_lilT5_lili.kd
    .uniform_work_group_size: 1
    .uses_dynamic_stack: false
    .vgpr_count:     43
    .vgpr_spill_count: 0
    .wavefront_size: 64
  - .agpr_count:     0
    .args:
      - .offset:         0
        .size:           4
        .value_kind:     by_value
      - .offset:         4
        .size:           4
        .value_kind:     by_value
      - .offset:         8
        .size:           4
        .value_kind:     by_value
      - .offset:         12
        .size:           4
        .value_kind:     by_value
      - .offset:         16
        .size:           4
        .value_kind:     by_value
      - .offset:         20
        .size:           8
        .value_kind:     by_value
      - .address_space:  global
        .offset:         32
        .size:           8
        .value_kind:     global_buffer
      - .offset:         40
        .size:           8
        .value_kind:     by_value
      - .offset:         48
        .size:           4
        .value_kind:     by_value
      - .offset:         56
        .size:           8
        .value_kind:     by_value
      - .address_space:  global
        .offset:         64
        .size:           8
        .value_kind:     global_buffer
      - .offset:         72
        .size:           8
        .value_kind:     by_value
      - .offset:         80
        .size:           4
        .value_kind:     by_value
      - .offset:         88
        .size:           8
        .value_kind:     by_value
      - .offset:         96
        .size:           4
        .value_kind:     by_value
      - .offset:         104
        .size:           4
        .value_kind:     hidden_block_count_x
      - .offset:         108
        .size:           4
        .value_kind:     hidden_block_count_y
      - .offset:         112
        .size:           4
        .value_kind:     hidden_block_count_z
      - .offset:         116
        .size:           2
        .value_kind:     hidden_group_size_x
      - .offset:         118
        .size:           2
        .value_kind:     hidden_group_size_y
      - .offset:         120
        .size:           2
        .value_kind:     hidden_group_size_z
      - .offset:         122
        .size:           2
        .value_kind:     hidden_remainder_x
      - .offset:         124
        .size:           2
        .value_kind:     hidden_remainder_y
      - .offset:         126
        .size:           2
        .value_kind:     hidden_remainder_z
      - .offset:         144
        .size:           8
        .value_kind:     hidden_global_offset_x
      - .offset:         152
        .size:           8
        .value_kind:     hidden_global_offset_y
      - .offset:         160
        .size:           8
        .value_kind:     hidden_global_offset_z
      - .offset:         168
        .size:           2
        .value_kind:     hidden_grid_dims
    .group_segment_fixed_size: 6272
    .kernarg_segment_align: 8
    .kernarg_segment_size: 360
    .language:       OpenCL C
    .language_version:
      - 2
      - 0
    .max_flat_workgroup_size: 28
    .name:           _ZL30rocblas_trsm_small_left_deviceILi28ELi28ELb0E19rocblas_complex_numIfES1_PKS1_PS1_Ev13rocblas_fill_18rocblas_operation_17rocblas_diagonal_iiT3_T4_lilT5_lili
    .private_segment_fixed_size: 240
    .sgpr_count:     50
    .sgpr_spill_count: 0
    .symbol:         _ZL30rocblas_trsm_small_left_deviceILi28ELi28ELb0E19rocblas_complex_numIfES1_PKS1_PS1_Ev13rocblas_fill_18rocblas_operation_17rocblas_diagonal_iiT3_T4_lilT5_lili.kd
    .uniform_work_group_size: 1
    .uses_dynamic_stack: false
    .vgpr_count:     26
    .vgpr_spill_count: 0
    .wavefront_size: 64
  - .agpr_count:     0
    .args:
      - .offset:         0
        .size:           4
        .value_kind:     by_value
      - .offset:         4
        .size:           4
        .value_kind:     by_value
      - .offset:         8
        .size:           4
        .value_kind:     by_value
      - .offset:         12
        .size:           4
        .value_kind:     by_value
      - .offset:         16
        .size:           4
        .value_kind:     by_value
      - .offset:         20
        .size:           8
        .value_kind:     by_value
      - .address_space:  global
        .offset:         32
        .size:           8
        .value_kind:     global_buffer
      - .offset:         40
        .size:           8
        .value_kind:     by_value
      - .offset:         48
        .size:           4
        .value_kind:     by_value
      - .offset:         56
        .size:           8
        .value_kind:     by_value
      - .address_space:  global
        .offset:         64
        .size:           8
        .value_kind:     global_buffer
      - .offset:         72
        .size:           8
        .value_kind:     by_value
      - .offset:         80
        .size:           4
        .value_kind:     by_value
      - .offset:         88
        .size:           8
        .value_kind:     by_value
      - .offset:         96
        .size:           4
        .value_kind:     by_value
      - .offset:         104
        .size:           4
        .value_kind:     hidden_block_count_x
      - .offset:         108
        .size:           4
        .value_kind:     hidden_block_count_y
      - .offset:         112
        .size:           4
        .value_kind:     hidden_block_count_z
      - .offset:         116
        .size:           2
        .value_kind:     hidden_group_size_x
      - .offset:         118
        .size:           2
        .value_kind:     hidden_group_size_y
      - .offset:         120
        .size:           2
        .value_kind:     hidden_group_size_z
      - .offset:         122
        .size:           2
        .value_kind:     hidden_remainder_x
      - .offset:         124
        .size:           2
        .value_kind:     hidden_remainder_y
      - .offset:         126
        .size:           2
        .value_kind:     hidden_remainder_z
      - .offset:         144
        .size:           8
        .value_kind:     hidden_global_offset_x
      - .offset:         152
        .size:           8
        .value_kind:     hidden_global_offset_y
      - .offset:         160
        .size:           8
        .value_kind:     hidden_global_offset_z
      - .offset:         168
        .size:           2
        .value_kind:     hidden_grid_dims
    .group_segment_fixed_size: 12544
    .kernarg_segment_align: 8
    .kernarg_segment_size: 360
    .language:       OpenCL C
    .language_version:
      - 2
      - 0
    .max_flat_workgroup_size: 28
    .name:           _ZL38rocblas_trsm_small_left_device_sharedBILi28ELi28ELb1E19rocblas_complex_numIfES1_PKS1_PS1_Ev13rocblas_fill_18rocblas_operation_17rocblas_diagonal_iiT3_T4_lilT5_lili
    .private_segment_fixed_size: 240
    .sgpr_count:     58
    .sgpr_spill_count: 0
    .symbol:         _ZL38rocblas_trsm_small_left_device_sharedBILi28ELi28ELb1E19rocblas_complex_numIfES1_PKS1_PS1_Ev13rocblas_fill_18rocblas_operation_17rocblas_diagonal_iiT3_T4_lilT5_lili.kd
    .uniform_work_group_size: 1
    .uses_dynamic_stack: false
    .vgpr_count:     43
    .vgpr_spill_count: 0
    .wavefront_size: 64
  - .agpr_count:     0
    .args:
      - .offset:         0
        .size:           4
        .value_kind:     by_value
      - .offset:         4
        .size:           4
        .value_kind:     by_value
      - .offset:         8
        .size:           4
        .value_kind:     by_value
      - .offset:         12
        .size:           4
        .value_kind:     by_value
      - .offset:         16
        .size:           4
        .value_kind:     by_value
      - .offset:         20
        .size:           8
        .value_kind:     by_value
      - .address_space:  global
        .offset:         32
        .size:           8
        .value_kind:     global_buffer
      - .offset:         40
        .size:           8
        .value_kind:     by_value
      - .offset:         48
        .size:           4
        .value_kind:     by_value
      - .offset:         56
        .size:           8
        .value_kind:     by_value
      - .address_space:  global
        .offset:         64
        .size:           8
        .value_kind:     global_buffer
      - .offset:         72
        .size:           8
        .value_kind:     by_value
      - .offset:         80
        .size:           4
        .value_kind:     by_value
      - .offset:         88
        .size:           8
        .value_kind:     by_value
      - .offset:         96
        .size:           4
        .value_kind:     by_value
      - .offset:         104
        .size:           4
        .value_kind:     hidden_block_count_x
      - .offset:         108
        .size:           4
        .value_kind:     hidden_block_count_y
      - .offset:         112
        .size:           4
        .value_kind:     hidden_block_count_z
      - .offset:         116
        .size:           2
        .value_kind:     hidden_group_size_x
      - .offset:         118
        .size:           2
        .value_kind:     hidden_group_size_y
      - .offset:         120
        .size:           2
        .value_kind:     hidden_group_size_z
      - .offset:         122
        .size:           2
        .value_kind:     hidden_remainder_x
      - .offset:         124
        .size:           2
        .value_kind:     hidden_remainder_y
      - .offset:         126
        .size:           2
        .value_kind:     hidden_remainder_z
      - .offset:         144
        .size:           8
        .value_kind:     hidden_global_offset_x
      - .offset:         152
        .size:           8
        .value_kind:     hidden_global_offset_y
      - .offset:         160
        .size:           8
        .value_kind:     hidden_global_offset_z
      - .offset:         168
        .size:           2
        .value_kind:     hidden_grid_dims
    .group_segment_fixed_size: 6272
    .kernarg_segment_align: 8
    .kernarg_segment_size: 360
    .language:       OpenCL C
    .language_version:
      - 2
      - 0
    .max_flat_workgroup_size: 28
    .name:           _ZL30rocblas_trsm_small_left_deviceILi28ELi28ELb1E19rocblas_complex_numIfES1_PKS1_PS1_Ev13rocblas_fill_18rocblas_operation_17rocblas_diagonal_iiT3_T4_lilT5_lili
    .private_segment_fixed_size: 240
    .sgpr_count:     50
    .sgpr_spill_count: 0
    .symbol:         _ZL30rocblas_trsm_small_left_deviceILi28ELi28ELb1E19rocblas_complex_numIfES1_PKS1_PS1_Ev13rocblas_fill_18rocblas_operation_17rocblas_diagonal_iiT3_T4_lilT5_lili.kd
    .uniform_work_group_size: 1
    .uses_dynamic_stack: false
    .vgpr_count:     26
    .vgpr_spill_count: 0
    .wavefront_size: 64
  - .agpr_count:     0
    .args:
      - .offset:         0
        .size:           4
        .value_kind:     by_value
      - .offset:         4
        .size:           4
        .value_kind:     by_value
      - .offset:         8
        .size:           4
        .value_kind:     by_value
      - .offset:         12
        .size:           4
        .value_kind:     by_value
      - .offset:         16
        .size:           4
        .value_kind:     by_value
      - .offset:         20
        .size:           8
        .value_kind:     by_value
      - .address_space:  global
        .offset:         32
        .size:           8
        .value_kind:     global_buffer
      - .offset:         40
        .size:           8
        .value_kind:     by_value
      - .offset:         48
        .size:           4
        .value_kind:     by_value
      - .offset:         56
        .size:           8
        .value_kind:     by_value
      - .address_space:  global
        .offset:         64
        .size:           8
        .value_kind:     global_buffer
      - .offset:         72
        .size:           8
        .value_kind:     by_value
      - .offset:         80
        .size:           4
        .value_kind:     by_value
      - .offset:         88
        .size:           8
        .value_kind:     by_value
      - .offset:         96
        .size:           4
        .value_kind:     by_value
      - .offset:         104
        .size:           4
        .value_kind:     hidden_block_count_x
      - .offset:         108
        .size:           4
        .value_kind:     hidden_block_count_y
      - .offset:         112
        .size:           4
        .value_kind:     hidden_block_count_z
      - .offset:         116
        .size:           2
        .value_kind:     hidden_group_size_x
      - .offset:         118
        .size:           2
        .value_kind:     hidden_group_size_y
      - .offset:         120
        .size:           2
        .value_kind:     hidden_group_size_z
      - .offset:         122
        .size:           2
        .value_kind:     hidden_remainder_x
      - .offset:         124
        .size:           2
        .value_kind:     hidden_remainder_y
      - .offset:         126
        .size:           2
        .value_kind:     hidden_remainder_z
      - .offset:         144
        .size:           8
        .value_kind:     hidden_global_offset_x
      - .offset:         152
        .size:           8
        .value_kind:     hidden_global_offset_y
      - .offset:         160
        .size:           8
        .value_kind:     hidden_global_offset_z
      - .offset:         168
        .size:           2
        .value_kind:     hidden_grid_dims
    .group_segment_fixed_size: 12544
    .kernarg_segment_align: 8
    .kernarg_segment_size: 360
    .language:       OpenCL C
    .language_version:
      - 2
      - 0
    .max_flat_workgroup_size: 28
    .name:           _ZL31rocblas_trsm_small_right_deviceI19rocblas_complex_numIfES1_PKS1_PS1_Li28EEv13rocblas_fill_18rocblas_operation_17rocblas_diagonal_iiT0_T1_lilT2_lili
    .private_segment_fixed_size: 0
    .sgpr_count:     52
    .sgpr_spill_count: 0
    .symbol:         _ZL31rocblas_trsm_small_right_deviceI19rocblas_complex_numIfES1_PKS1_PS1_Li28EEv13rocblas_fill_18rocblas_operation_17rocblas_diagonal_iiT0_T1_lilT2_lili.kd
    .uniform_work_group_size: 1
    .uses_dynamic_stack: false
    .vgpr_count:     56
    .vgpr_spill_count: 0
    .wavefront_size: 64
  - .agpr_count:     0
    .args:
      - .offset:         0
        .size:           4
        .value_kind:     by_value
      - .offset:         4
        .size:           4
        .value_kind:     by_value
      - .offset:         8
        .size:           4
        .value_kind:     by_value
      - .offset:         12
        .size:           4
        .value_kind:     by_value
      - .offset:         16
        .size:           4
        .value_kind:     by_value
      - .offset:         20
        .size:           8
        .value_kind:     by_value
      - .address_space:  global
        .offset:         32
        .size:           8
        .value_kind:     global_buffer
      - .offset:         40
        .size:           8
        .value_kind:     by_value
      - .offset:         48
        .size:           4
        .value_kind:     by_value
      - .offset:         56
        .size:           8
        .value_kind:     by_value
      - .address_space:  global
        .offset:         64
        .size:           8
        .value_kind:     global_buffer
      - .offset:         72
        .size:           8
        .value_kind:     by_value
      - .offset:         80
        .size:           4
        .value_kind:     by_value
      - .offset:         88
        .size:           8
        .value_kind:     by_value
      - .offset:         96
        .size:           4
        .value_kind:     by_value
      - .offset:         104
        .size:           4
        .value_kind:     hidden_block_count_x
      - .offset:         108
        .size:           4
        .value_kind:     hidden_block_count_y
      - .offset:         112
        .size:           4
        .value_kind:     hidden_block_count_z
      - .offset:         116
        .size:           2
        .value_kind:     hidden_group_size_x
      - .offset:         118
        .size:           2
        .value_kind:     hidden_group_size_y
      - .offset:         120
        .size:           2
        .value_kind:     hidden_group_size_z
      - .offset:         122
        .size:           2
        .value_kind:     hidden_remainder_x
      - .offset:         124
        .size:           2
        .value_kind:     hidden_remainder_y
      - .offset:         126
        .size:           2
        .value_kind:     hidden_remainder_z
      - .offset:         144
        .size:           8
        .value_kind:     hidden_global_offset_x
      - .offset:         152
        .size:           8
        .value_kind:     hidden_global_offset_y
      - .offset:         160
        .size:           8
        .value_kind:     hidden_global_offset_z
      - .offset:         168
        .size:           2
        .value_kind:     hidden_grid_dims
    .group_segment_fixed_size: 16384
    .kernarg_segment_align: 8
    .kernarg_segment_size: 360
    .language:       OpenCL C
    .language_version:
      - 2
      - 0
    .max_flat_workgroup_size: 32
    .name:           _ZL38rocblas_trsm_small_left_device_sharedBILi32ELi32ELb0E19rocblas_complex_numIfES1_PKS1_PS1_Ev13rocblas_fill_18rocblas_operation_17rocblas_diagonal_iiT3_T4_lilT5_lili
    .private_segment_fixed_size: 272
    .sgpr_count:     70
    .sgpr_spill_count: 0
    .symbol:         _ZL38rocblas_trsm_small_left_device_sharedBILi32ELi32ELb0E19rocblas_complex_numIfES1_PKS1_PS1_Ev13rocblas_fill_18rocblas_operation_17rocblas_diagonal_iiT3_T4_lilT5_lili.kd
    .uniform_work_group_size: 1
    .uses_dynamic_stack: false
    .vgpr_count:     44
    .vgpr_spill_count: 0
    .wavefront_size: 64
  - .agpr_count:     0
    .args:
      - .offset:         0
        .size:           4
        .value_kind:     by_value
      - .offset:         4
        .size:           4
        .value_kind:     by_value
      - .offset:         8
        .size:           4
        .value_kind:     by_value
      - .offset:         12
        .size:           4
        .value_kind:     by_value
      - .offset:         16
        .size:           4
        .value_kind:     by_value
      - .offset:         20
        .size:           8
        .value_kind:     by_value
      - .address_space:  global
        .offset:         32
        .size:           8
        .value_kind:     global_buffer
      - .offset:         40
        .size:           8
        .value_kind:     by_value
      - .offset:         48
        .size:           4
        .value_kind:     by_value
      - .offset:         56
        .size:           8
        .value_kind:     by_value
      - .address_space:  global
        .offset:         64
        .size:           8
        .value_kind:     global_buffer
      - .offset:         72
        .size:           8
        .value_kind:     by_value
      - .offset:         80
        .size:           4
        .value_kind:     by_value
      - .offset:         88
        .size:           8
        .value_kind:     by_value
      - .offset:         96
        .size:           4
        .value_kind:     by_value
      - .offset:         104
        .size:           4
        .value_kind:     hidden_block_count_x
      - .offset:         108
        .size:           4
        .value_kind:     hidden_block_count_y
      - .offset:         112
        .size:           4
        .value_kind:     hidden_block_count_z
      - .offset:         116
        .size:           2
        .value_kind:     hidden_group_size_x
      - .offset:         118
        .size:           2
        .value_kind:     hidden_group_size_y
      - .offset:         120
        .size:           2
        .value_kind:     hidden_group_size_z
      - .offset:         122
        .size:           2
        .value_kind:     hidden_remainder_x
      - .offset:         124
        .size:           2
        .value_kind:     hidden_remainder_y
      - .offset:         126
        .size:           2
        .value_kind:     hidden_remainder_z
      - .offset:         144
        .size:           8
        .value_kind:     hidden_global_offset_x
      - .offset:         152
        .size:           8
        .value_kind:     hidden_global_offset_y
      - .offset:         160
        .size:           8
        .value_kind:     hidden_global_offset_z
      - .offset:         168
        .size:           2
        .value_kind:     hidden_grid_dims
    .group_segment_fixed_size: 8192
    .kernarg_segment_align: 8
    .kernarg_segment_size: 360
    .language:       OpenCL C
    .language_version:
      - 2
      - 0
    .max_flat_workgroup_size: 32
    .name:           _ZL30rocblas_trsm_small_left_deviceILi32ELi32ELb0E19rocblas_complex_numIfES1_PKS1_PS1_Ev13rocblas_fill_18rocblas_operation_17rocblas_diagonal_iiT3_T4_lilT5_lili
    .private_segment_fixed_size: 272
    .sgpr_count:     50
    .sgpr_spill_count: 0
    .symbol:         _ZL30rocblas_trsm_small_left_deviceILi32ELi32ELb0E19rocblas_complex_numIfES1_PKS1_PS1_Ev13rocblas_fill_18rocblas_operation_17rocblas_diagonal_iiT3_T4_lilT5_lili.kd
    .uniform_work_group_size: 1
    .uses_dynamic_stack: false
    .vgpr_count:     26
    .vgpr_spill_count: 0
    .wavefront_size: 64
  - .agpr_count:     0
    .args:
      - .offset:         0
        .size:           4
        .value_kind:     by_value
      - .offset:         4
        .size:           4
        .value_kind:     by_value
      - .offset:         8
        .size:           4
        .value_kind:     by_value
      - .offset:         12
        .size:           4
        .value_kind:     by_value
      - .offset:         16
        .size:           4
        .value_kind:     by_value
      - .offset:         20
        .size:           8
        .value_kind:     by_value
      - .address_space:  global
        .offset:         32
        .size:           8
        .value_kind:     global_buffer
      - .offset:         40
        .size:           8
        .value_kind:     by_value
      - .offset:         48
        .size:           4
        .value_kind:     by_value
      - .offset:         56
        .size:           8
        .value_kind:     by_value
      - .address_space:  global
        .offset:         64
        .size:           8
        .value_kind:     global_buffer
      - .offset:         72
        .size:           8
        .value_kind:     by_value
      - .offset:         80
        .size:           4
        .value_kind:     by_value
      - .offset:         88
        .size:           8
        .value_kind:     by_value
      - .offset:         96
        .size:           4
        .value_kind:     by_value
      - .offset:         104
        .size:           4
        .value_kind:     hidden_block_count_x
      - .offset:         108
        .size:           4
        .value_kind:     hidden_block_count_y
      - .offset:         112
        .size:           4
        .value_kind:     hidden_block_count_z
      - .offset:         116
        .size:           2
        .value_kind:     hidden_group_size_x
      - .offset:         118
        .size:           2
        .value_kind:     hidden_group_size_y
      - .offset:         120
        .size:           2
        .value_kind:     hidden_group_size_z
      - .offset:         122
        .size:           2
        .value_kind:     hidden_remainder_x
      - .offset:         124
        .size:           2
        .value_kind:     hidden_remainder_y
      - .offset:         126
        .size:           2
        .value_kind:     hidden_remainder_z
      - .offset:         144
        .size:           8
        .value_kind:     hidden_global_offset_x
      - .offset:         152
        .size:           8
        .value_kind:     hidden_global_offset_y
      - .offset:         160
        .size:           8
        .value_kind:     hidden_global_offset_z
      - .offset:         168
        .size:           2
        .value_kind:     hidden_grid_dims
    .group_segment_fixed_size: 16384
    .kernarg_segment_align: 8
    .kernarg_segment_size: 360
    .language:       OpenCL C
    .language_version:
      - 2
      - 0
    .max_flat_workgroup_size: 32
    .name:           _ZL38rocblas_trsm_small_left_device_sharedBILi32ELi32ELb1E19rocblas_complex_numIfES1_PKS1_PS1_Ev13rocblas_fill_18rocblas_operation_17rocblas_diagonal_iiT3_T4_lilT5_lili
    .private_segment_fixed_size: 272
    .sgpr_count:     70
    .sgpr_spill_count: 0
    .symbol:         _ZL38rocblas_trsm_small_left_device_sharedBILi32ELi32ELb1E19rocblas_complex_numIfES1_PKS1_PS1_Ev13rocblas_fill_18rocblas_operation_17rocblas_diagonal_iiT3_T4_lilT5_lili.kd
    .uniform_work_group_size: 1
    .uses_dynamic_stack: false
    .vgpr_count:     44
    .vgpr_spill_count: 0
    .wavefront_size: 64
  - .agpr_count:     0
    .args:
      - .offset:         0
        .size:           4
        .value_kind:     by_value
      - .offset:         4
        .size:           4
        .value_kind:     by_value
      - .offset:         8
        .size:           4
        .value_kind:     by_value
      - .offset:         12
        .size:           4
        .value_kind:     by_value
      - .offset:         16
        .size:           4
        .value_kind:     by_value
      - .offset:         20
        .size:           8
        .value_kind:     by_value
      - .address_space:  global
        .offset:         32
        .size:           8
        .value_kind:     global_buffer
      - .offset:         40
        .size:           8
        .value_kind:     by_value
      - .offset:         48
        .size:           4
        .value_kind:     by_value
      - .offset:         56
        .size:           8
        .value_kind:     by_value
      - .address_space:  global
        .offset:         64
        .size:           8
        .value_kind:     global_buffer
      - .offset:         72
        .size:           8
        .value_kind:     by_value
      - .offset:         80
        .size:           4
        .value_kind:     by_value
      - .offset:         88
        .size:           8
        .value_kind:     by_value
      - .offset:         96
        .size:           4
        .value_kind:     by_value
      - .offset:         104
        .size:           4
        .value_kind:     hidden_block_count_x
      - .offset:         108
        .size:           4
        .value_kind:     hidden_block_count_y
      - .offset:         112
        .size:           4
        .value_kind:     hidden_block_count_z
      - .offset:         116
        .size:           2
        .value_kind:     hidden_group_size_x
      - .offset:         118
        .size:           2
        .value_kind:     hidden_group_size_y
      - .offset:         120
        .size:           2
        .value_kind:     hidden_group_size_z
      - .offset:         122
        .size:           2
        .value_kind:     hidden_remainder_x
      - .offset:         124
        .size:           2
        .value_kind:     hidden_remainder_y
      - .offset:         126
        .size:           2
        .value_kind:     hidden_remainder_z
      - .offset:         144
        .size:           8
        .value_kind:     hidden_global_offset_x
      - .offset:         152
        .size:           8
        .value_kind:     hidden_global_offset_y
      - .offset:         160
        .size:           8
        .value_kind:     hidden_global_offset_z
      - .offset:         168
        .size:           2
        .value_kind:     hidden_grid_dims
    .group_segment_fixed_size: 8192
    .kernarg_segment_align: 8
    .kernarg_segment_size: 360
    .language:       OpenCL C
    .language_version:
      - 2
      - 0
    .max_flat_workgroup_size: 32
    .name:           _ZL30rocblas_trsm_small_left_deviceILi32ELi32ELb1E19rocblas_complex_numIfES1_PKS1_PS1_Ev13rocblas_fill_18rocblas_operation_17rocblas_diagonal_iiT3_T4_lilT5_lili
    .private_segment_fixed_size: 272
    .sgpr_count:     50
    .sgpr_spill_count: 0
    .symbol:         _ZL30rocblas_trsm_small_left_deviceILi32ELi32ELb1E19rocblas_complex_numIfES1_PKS1_PS1_Ev13rocblas_fill_18rocblas_operation_17rocblas_diagonal_iiT3_T4_lilT5_lili.kd
    .uniform_work_group_size: 1
    .uses_dynamic_stack: false
    .vgpr_count:     26
    .vgpr_spill_count: 0
    .wavefront_size: 64
  - .agpr_count:     0
    .args:
      - .offset:         0
        .size:           4
        .value_kind:     by_value
      - .offset:         4
        .size:           4
        .value_kind:     by_value
      - .offset:         8
        .size:           4
        .value_kind:     by_value
      - .offset:         12
        .size:           4
        .value_kind:     by_value
      - .offset:         16
        .size:           4
        .value_kind:     by_value
      - .offset:         20
        .size:           8
        .value_kind:     by_value
      - .address_space:  global
        .offset:         32
        .size:           8
        .value_kind:     global_buffer
      - .offset:         40
        .size:           8
        .value_kind:     by_value
      - .offset:         48
        .size:           4
        .value_kind:     by_value
      - .offset:         56
        .size:           8
        .value_kind:     by_value
      - .address_space:  global
        .offset:         64
        .size:           8
        .value_kind:     global_buffer
      - .offset:         72
        .size:           8
        .value_kind:     by_value
      - .offset:         80
        .size:           4
        .value_kind:     by_value
      - .offset:         88
        .size:           8
        .value_kind:     by_value
      - .offset:         96
        .size:           4
        .value_kind:     by_value
      - .offset:         104
        .size:           4
        .value_kind:     hidden_block_count_x
      - .offset:         108
        .size:           4
        .value_kind:     hidden_block_count_y
      - .offset:         112
        .size:           4
        .value_kind:     hidden_block_count_z
      - .offset:         116
        .size:           2
        .value_kind:     hidden_group_size_x
      - .offset:         118
        .size:           2
        .value_kind:     hidden_group_size_y
      - .offset:         120
        .size:           2
        .value_kind:     hidden_group_size_z
      - .offset:         122
        .size:           2
        .value_kind:     hidden_remainder_x
      - .offset:         124
        .size:           2
        .value_kind:     hidden_remainder_y
      - .offset:         126
        .size:           2
        .value_kind:     hidden_remainder_z
      - .offset:         144
        .size:           8
        .value_kind:     hidden_global_offset_x
      - .offset:         152
        .size:           8
        .value_kind:     hidden_global_offset_y
      - .offset:         160
        .size:           8
        .value_kind:     hidden_global_offset_z
      - .offset:         168
        .size:           2
        .value_kind:     hidden_grid_dims
    .group_segment_fixed_size: 16384
    .kernarg_segment_align: 8
    .kernarg_segment_size: 360
    .language:       OpenCL C
    .language_version:
      - 2
      - 0
    .max_flat_workgroup_size: 32
    .name:           _ZL31rocblas_trsm_small_right_deviceI19rocblas_complex_numIfES1_PKS1_PS1_Li32EEv13rocblas_fill_18rocblas_operation_17rocblas_diagonal_iiT0_T1_lilT2_lili
    .private_segment_fixed_size: 0
    .sgpr_count:     64
    .sgpr_spill_count: 0
    .symbol:         _ZL31rocblas_trsm_small_right_deviceI19rocblas_complex_numIfES1_PKS1_PS1_Li32EEv13rocblas_fill_18rocblas_operation_17rocblas_diagonal_iiT0_T1_lilT2_lili.kd
    .uniform_work_group_size: 1
    .uses_dynamic_stack: false
    .vgpr_count:     58
    .vgpr_spill_count: 0
    .wavefront_size: 64
  - .agpr_count:     0
    .args:
      - .offset:         0
        .size:           4
        .value_kind:     by_value
      - .offset:         4
        .size:           4
        .value_kind:     by_value
      - .offset:         8
        .size:           4
        .value_kind:     by_value
      - .offset:         12
        .size:           4
        .value_kind:     by_value
      - .offset:         16
        .size:           4
        .value_kind:     by_value
      - .offset:         20
        .size:           8
        .value_kind:     by_value
      - .address_space:  global
        .offset:         32
        .size:           8
        .value_kind:     global_buffer
      - .offset:         40
        .size:           8
        .value_kind:     by_value
      - .offset:         48
        .size:           4
        .value_kind:     by_value
      - .offset:         56
        .size:           8
        .value_kind:     by_value
      - .address_space:  global
        .offset:         64
        .size:           8
        .value_kind:     global_buffer
      - .offset:         72
        .size:           8
        .value_kind:     by_value
      - .offset:         80
        .size:           4
        .value_kind:     by_value
      - .offset:         88
        .size:           8
        .value_kind:     by_value
      - .offset:         96
        .size:           4
        .value_kind:     by_value
      - .offset:         104
        .size:           4
        .value_kind:     hidden_block_count_x
      - .offset:         108
        .size:           4
        .value_kind:     hidden_block_count_y
      - .offset:         112
        .size:           4
        .value_kind:     hidden_block_count_z
      - .offset:         116
        .size:           2
        .value_kind:     hidden_group_size_x
      - .offset:         118
        .size:           2
        .value_kind:     hidden_group_size_y
      - .offset:         120
        .size:           2
        .value_kind:     hidden_group_size_z
      - .offset:         122
        .size:           2
        .value_kind:     hidden_remainder_x
      - .offset:         124
        .size:           2
        .value_kind:     hidden_remainder_y
      - .offset:         126
        .size:           2
        .value_kind:     hidden_remainder_z
      - .offset:         144
        .size:           8
        .value_kind:     hidden_global_offset_x
      - .offset:         152
        .size:           8
        .value_kind:     hidden_global_offset_y
      - .offset:         160
        .size:           8
        .value_kind:     hidden_global_offset_z
      - .offset:         168
        .size:           2
        .value_kind:     hidden_grid_dims
    .group_segment_fixed_size: 65536
    .kernarg_segment_align: 8
    .kernarg_segment_size: 360
    .language:       OpenCL C
    .language_version:
      - 2
      - 0
    .max_flat_workgroup_size: 64
    .name:           _ZL38rocblas_trsm_small_left_device_sharedBILi64ELi32ELb0E19rocblas_complex_numIfES1_PKS1_PS1_Ev13rocblas_fill_18rocblas_operation_17rocblas_diagonal_iiT3_T4_lilT5_lili
    .private_segment_fixed_size: 272
    .sgpr_count:     70
    .sgpr_spill_count: 0
    .symbol:         _ZL38rocblas_trsm_small_left_device_sharedBILi64ELi32ELb0E19rocblas_complex_numIfES1_PKS1_PS1_Ev13rocblas_fill_18rocblas_operation_17rocblas_diagonal_iiT3_T4_lilT5_lili.kd
    .uniform_work_group_size: 1
    .uses_dynamic_stack: false
    .vgpr_count:     44
    .vgpr_spill_count: 0
    .wavefront_size: 64
  - .agpr_count:     0
    .args:
      - .offset:         0
        .size:           4
        .value_kind:     by_value
      - .offset:         4
        .size:           4
        .value_kind:     by_value
      - .offset:         8
        .size:           4
        .value_kind:     by_value
      - .offset:         12
        .size:           4
        .value_kind:     by_value
      - .offset:         16
        .size:           4
        .value_kind:     by_value
      - .offset:         20
        .size:           8
        .value_kind:     by_value
      - .address_space:  global
        .offset:         32
        .size:           8
        .value_kind:     global_buffer
      - .offset:         40
        .size:           8
        .value_kind:     by_value
      - .offset:         48
        .size:           4
        .value_kind:     by_value
      - .offset:         56
        .size:           8
        .value_kind:     by_value
      - .address_space:  global
        .offset:         64
        .size:           8
        .value_kind:     global_buffer
      - .offset:         72
        .size:           8
        .value_kind:     by_value
      - .offset:         80
        .size:           4
        .value_kind:     by_value
      - .offset:         88
        .size:           8
        .value_kind:     by_value
      - .offset:         96
        .size:           4
        .value_kind:     by_value
      - .offset:         104
        .size:           4
        .value_kind:     hidden_block_count_x
      - .offset:         108
        .size:           4
        .value_kind:     hidden_block_count_y
      - .offset:         112
        .size:           4
        .value_kind:     hidden_block_count_z
      - .offset:         116
        .size:           2
        .value_kind:     hidden_group_size_x
      - .offset:         118
        .size:           2
        .value_kind:     hidden_group_size_y
      - .offset:         120
        .size:           2
        .value_kind:     hidden_group_size_z
      - .offset:         122
        .size:           2
        .value_kind:     hidden_remainder_x
      - .offset:         124
        .size:           2
        .value_kind:     hidden_remainder_y
      - .offset:         126
        .size:           2
        .value_kind:     hidden_remainder_z
      - .offset:         144
        .size:           8
        .value_kind:     hidden_global_offset_x
      - .offset:         152
        .size:           8
        .value_kind:     hidden_global_offset_y
      - .offset:         160
        .size:           8
        .value_kind:     hidden_global_offset_z
      - .offset:         168
        .size:           2
        .value_kind:     hidden_grid_dims
    .group_segment_fixed_size: 32768
    .kernarg_segment_align: 8
    .kernarg_segment_size: 360
    .language:       OpenCL C
    .language_version:
      - 2
      - 0
    .max_flat_workgroup_size: 64
    .name:           _ZL30rocblas_trsm_small_left_deviceILi64ELi32ELb0E19rocblas_complex_numIfES1_PKS1_PS1_Ev13rocblas_fill_18rocblas_operation_17rocblas_diagonal_iiT3_T4_lilT5_lili
    .private_segment_fixed_size: 272
    .sgpr_count:     50
    .sgpr_spill_count: 0
    .symbol:         _ZL30rocblas_trsm_small_left_deviceILi64ELi32ELb0E19rocblas_complex_numIfES1_PKS1_PS1_Ev13rocblas_fill_18rocblas_operation_17rocblas_diagonal_iiT3_T4_lilT5_lili.kd
    .uniform_work_group_size: 1
    .uses_dynamic_stack: false
    .vgpr_count:     26
    .vgpr_spill_count: 0
    .wavefront_size: 64
  - .agpr_count:     0
    .args:
      - .offset:         0
        .size:           4
        .value_kind:     by_value
      - .offset:         4
        .size:           4
        .value_kind:     by_value
      - .offset:         8
        .size:           4
        .value_kind:     by_value
      - .offset:         12
        .size:           4
        .value_kind:     by_value
      - .offset:         16
        .size:           4
        .value_kind:     by_value
      - .offset:         20
        .size:           8
        .value_kind:     by_value
      - .address_space:  global
        .offset:         32
        .size:           8
        .value_kind:     global_buffer
      - .offset:         40
        .size:           8
        .value_kind:     by_value
      - .offset:         48
        .size:           4
        .value_kind:     by_value
      - .offset:         56
        .size:           8
        .value_kind:     by_value
      - .address_space:  global
        .offset:         64
        .size:           8
        .value_kind:     global_buffer
      - .offset:         72
        .size:           8
        .value_kind:     by_value
      - .offset:         80
        .size:           4
        .value_kind:     by_value
      - .offset:         88
        .size:           8
        .value_kind:     by_value
      - .offset:         96
        .size:           4
        .value_kind:     by_value
      - .offset:         104
        .size:           4
        .value_kind:     hidden_block_count_x
      - .offset:         108
        .size:           4
        .value_kind:     hidden_block_count_y
      - .offset:         112
        .size:           4
        .value_kind:     hidden_block_count_z
      - .offset:         116
        .size:           2
        .value_kind:     hidden_group_size_x
      - .offset:         118
        .size:           2
        .value_kind:     hidden_group_size_y
      - .offset:         120
        .size:           2
        .value_kind:     hidden_group_size_z
      - .offset:         122
        .size:           2
        .value_kind:     hidden_remainder_x
      - .offset:         124
        .size:           2
        .value_kind:     hidden_remainder_y
      - .offset:         126
        .size:           2
        .value_kind:     hidden_remainder_z
      - .offset:         144
        .size:           8
        .value_kind:     hidden_global_offset_x
      - .offset:         152
        .size:           8
        .value_kind:     hidden_global_offset_y
      - .offset:         160
        .size:           8
        .value_kind:     hidden_global_offset_z
      - .offset:         168
        .size:           2
        .value_kind:     hidden_grid_dims
    .group_segment_fixed_size: 65536
    .kernarg_segment_align: 8
    .kernarg_segment_size: 360
    .language:       OpenCL C
    .language_version:
      - 2
      - 0
    .max_flat_workgroup_size: 64
    .name:           _ZL38rocblas_trsm_small_left_device_sharedBILi64ELi32ELb1E19rocblas_complex_numIfES1_PKS1_PS1_Ev13rocblas_fill_18rocblas_operation_17rocblas_diagonal_iiT3_T4_lilT5_lili
    .private_segment_fixed_size: 272
    .sgpr_count:     70
    .sgpr_spill_count: 0
    .symbol:         _ZL38rocblas_trsm_small_left_device_sharedBILi64ELi32ELb1E19rocblas_complex_numIfES1_PKS1_PS1_Ev13rocblas_fill_18rocblas_operation_17rocblas_diagonal_iiT3_T4_lilT5_lili.kd
    .uniform_work_group_size: 1
    .uses_dynamic_stack: false
    .vgpr_count:     44
    .vgpr_spill_count: 0
    .wavefront_size: 64
  - .agpr_count:     0
    .args:
      - .offset:         0
        .size:           4
        .value_kind:     by_value
      - .offset:         4
        .size:           4
        .value_kind:     by_value
      - .offset:         8
        .size:           4
        .value_kind:     by_value
      - .offset:         12
        .size:           4
        .value_kind:     by_value
      - .offset:         16
        .size:           4
        .value_kind:     by_value
      - .offset:         20
        .size:           8
        .value_kind:     by_value
      - .address_space:  global
        .offset:         32
        .size:           8
        .value_kind:     global_buffer
      - .offset:         40
        .size:           8
        .value_kind:     by_value
      - .offset:         48
        .size:           4
        .value_kind:     by_value
      - .offset:         56
        .size:           8
        .value_kind:     by_value
      - .address_space:  global
        .offset:         64
        .size:           8
        .value_kind:     global_buffer
      - .offset:         72
        .size:           8
        .value_kind:     by_value
      - .offset:         80
        .size:           4
        .value_kind:     by_value
      - .offset:         88
        .size:           8
        .value_kind:     by_value
      - .offset:         96
        .size:           4
        .value_kind:     by_value
      - .offset:         104
        .size:           4
        .value_kind:     hidden_block_count_x
      - .offset:         108
        .size:           4
        .value_kind:     hidden_block_count_y
      - .offset:         112
        .size:           4
        .value_kind:     hidden_block_count_z
      - .offset:         116
        .size:           2
        .value_kind:     hidden_group_size_x
      - .offset:         118
        .size:           2
        .value_kind:     hidden_group_size_y
      - .offset:         120
        .size:           2
        .value_kind:     hidden_group_size_z
      - .offset:         122
        .size:           2
        .value_kind:     hidden_remainder_x
      - .offset:         124
        .size:           2
        .value_kind:     hidden_remainder_y
      - .offset:         126
        .size:           2
        .value_kind:     hidden_remainder_z
      - .offset:         144
        .size:           8
        .value_kind:     hidden_global_offset_x
      - .offset:         152
        .size:           8
        .value_kind:     hidden_global_offset_y
      - .offset:         160
        .size:           8
        .value_kind:     hidden_global_offset_z
      - .offset:         168
        .size:           2
        .value_kind:     hidden_grid_dims
    .group_segment_fixed_size: 32768
    .kernarg_segment_align: 8
    .kernarg_segment_size: 360
    .language:       OpenCL C
    .language_version:
      - 2
      - 0
    .max_flat_workgroup_size: 64
    .name:           _ZL30rocblas_trsm_small_left_deviceILi64ELi32ELb1E19rocblas_complex_numIfES1_PKS1_PS1_Ev13rocblas_fill_18rocblas_operation_17rocblas_diagonal_iiT3_T4_lilT5_lili
    .private_segment_fixed_size: 272
    .sgpr_count:     50
    .sgpr_spill_count: 0
    .symbol:         _ZL30rocblas_trsm_small_left_deviceILi64ELi32ELb1E19rocblas_complex_numIfES1_PKS1_PS1_Ev13rocblas_fill_18rocblas_operation_17rocblas_diagonal_iiT3_T4_lilT5_lili.kd
    .uniform_work_group_size: 1
    .uses_dynamic_stack: false
    .vgpr_count:     26
    .vgpr_spill_count: 0
    .wavefront_size: 64
  - .agpr_count:     0
    .args:
      - .offset:         0
        .size:           4
        .value_kind:     by_value
      - .offset:         4
        .size:           4
        .value_kind:     by_value
      - .offset:         8
        .size:           4
        .value_kind:     by_value
      - .offset:         12
        .size:           4
        .value_kind:     by_value
      - .offset:         16
        .size:           4
        .value_kind:     by_value
      - .offset:         20
        .size:           8
        .value_kind:     by_value
      - .address_space:  global
        .offset:         32
        .size:           8
        .value_kind:     global_buffer
      - .offset:         40
        .size:           8
        .value_kind:     by_value
      - .offset:         48
        .size:           4
        .value_kind:     by_value
      - .offset:         56
        .size:           8
        .value_kind:     by_value
      - .address_space:  global
        .offset:         64
        .size:           8
        .value_kind:     global_buffer
      - .offset:         72
        .size:           8
        .value_kind:     by_value
      - .offset:         80
        .size:           4
        .value_kind:     by_value
      - .offset:         88
        .size:           8
        .value_kind:     by_value
      - .offset:         96
        .size:           4
        .value_kind:     by_value
      - .offset:         104
        .size:           4
        .value_kind:     hidden_block_count_x
      - .offset:         108
        .size:           4
        .value_kind:     hidden_block_count_y
      - .offset:         112
        .size:           4
        .value_kind:     hidden_block_count_z
      - .offset:         116
        .size:           2
        .value_kind:     hidden_group_size_x
      - .offset:         118
        .size:           2
        .value_kind:     hidden_group_size_y
      - .offset:         120
        .size:           2
        .value_kind:     hidden_group_size_z
      - .offset:         122
        .size:           2
        .value_kind:     hidden_remainder_x
      - .offset:         124
        .size:           2
        .value_kind:     hidden_remainder_y
      - .offset:         126
        .size:           2
        .value_kind:     hidden_remainder_z
      - .offset:         144
        .size:           8
        .value_kind:     hidden_global_offset_x
      - .offset:         152
        .size:           8
        .value_kind:     hidden_global_offset_y
      - .offset:         160
        .size:           8
        .value_kind:     hidden_global_offset_z
      - .offset:         168
        .size:           2
        .value_kind:     hidden_grid_dims
    .group_segment_fixed_size: 65536
    .kernarg_segment_align: 8
    .kernarg_segment_size: 360
    .language:       OpenCL C
    .language_version:
      - 2
      - 0
    .max_flat_workgroup_size: 64
    .name:           _ZL31rocblas_trsm_small_right_deviceI19rocblas_complex_numIfES1_PKS1_PS1_Li64EEv13rocblas_fill_18rocblas_operation_17rocblas_diagonal_iiT0_T1_lilT2_lili
    .private_segment_fixed_size: 0
    .sgpr_count:     64
    .sgpr_spill_count: 0
    .symbol:         _ZL31rocblas_trsm_small_right_deviceI19rocblas_complex_numIfES1_PKS1_PS1_Li64EEv13rocblas_fill_18rocblas_operation_17rocblas_diagonal_iiT0_T1_lilT2_lili.kd
    .uniform_work_group_size: 1
    .uses_dynamic_stack: false
    .vgpr_count:     58
    .vgpr_spill_count: 0
    .wavefront_size: 64
  - .agpr_count:     0
    .args:
      - .offset:         0
        .size:           4
        .value_kind:     by_value
      - .offset:         8
        .size:           8
        .value_kind:     by_value
      - .offset:         16
        .size:           8
        .value_kind:     by_value
      - .offset:         24
        .size:           8
        .value_kind:     by_value
      - .address_space:  global
        .offset:         32
        .size:           8
        .value_kind:     global_buffer
      - .offset:         40
        .size:           8
        .value_kind:     by_value
      - .offset:         48
        .size:           8
        .value_kind:     by_value
      - .offset:         56
        .size:           8
        .value_kind:     by_value
      - .address_space:  global
        .offset:         64
        .size:           8
        .value_kind:     global_buffer
      - .offset:         72
        .size:           8
        .value_kind:     by_value
      - .offset:         80
        .size:           8
        .value_kind:     by_value
      - .offset:         88
        .size:           8
        .value_kind:     by_value
      - .offset:         96
        .size:           4
        .value_kind:     by_value
      - .offset:         100
        .size:           1
        .value_kind:     by_value
      - .offset:         104
        .size:           4
        .value_kind:     hidden_block_count_x
      - .offset:         108
        .size:           4
        .value_kind:     hidden_block_count_y
      - .offset:         112
        .size:           4
        .value_kind:     hidden_block_count_z
      - .offset:         116
        .size:           2
        .value_kind:     hidden_group_size_x
      - .offset:         118
        .size:           2
        .value_kind:     hidden_group_size_y
      - .offset:         120
        .size:           2
        .value_kind:     hidden_group_size_z
      - .offset:         122
        .size:           2
        .value_kind:     hidden_remainder_x
      - .offset:         124
        .size:           2
        .value_kind:     hidden_remainder_y
      - .offset:         126
        .size:           2
        .value_kind:     hidden_remainder_z
      - .offset:         144
        .size:           8
        .value_kind:     hidden_global_offset_x
      - .offset:         152
        .size:           8
        .value_kind:     hidden_global_offset_y
      - .offset:         160
        .size:           8
        .value_kind:     hidden_global_offset_z
      - .offset:         168
        .size:           2
        .value_kind:     hidden_grid_dims
      - .offset:         224
        .size:           4
        .value_kind:     hidden_dynamic_lds_size
    .group_segment_fixed_size: 0
    .kernarg_segment_align: 8
    .kernarg_segment_size: 360
    .language:       OpenCL C
    .language_version:
      - 2
      - 0
    .max_flat_workgroup_size: 1024
    .name:           _ZL39rocblas_trsm_block_forward_substitutionI19rocblas_complex_numIfES1_PKS1_PS1_Lb0ELb0ELb0EEv18rocblas_operation_llT0_T1_lllT2_lllib
    .private_segment_fixed_size: 0
    .sgpr_count:     46
    .sgpr_spill_count: 0
    .symbol:         _ZL39rocblas_trsm_block_forward_substitutionI19rocblas_complex_numIfES1_PKS1_PS1_Lb0ELb0ELb0EEv18rocblas_operation_llT0_T1_lllT2_lllib.kd
    .uniform_work_group_size: 1
    .uses_dynamic_stack: false
    .vgpr_count:     18
    .vgpr_spill_count: 0
    .wavefront_size: 64
  - .agpr_count:     0
    .args:
      - .offset:         0
        .size:           4
        .value_kind:     by_value
      - .offset:         8
        .size:           8
        .value_kind:     by_value
      - .offset:         16
        .size:           8
        .value_kind:     by_value
      - .offset:         24
        .size:           8
        .value_kind:     by_value
      - .address_space:  global
        .offset:         32
        .size:           8
        .value_kind:     global_buffer
      - .offset:         40
        .size:           8
        .value_kind:     by_value
      - .offset:         48
        .size:           8
        .value_kind:     by_value
      - .offset:         56
        .size:           8
        .value_kind:     by_value
      - .address_space:  global
        .offset:         64
        .size:           8
        .value_kind:     global_buffer
      - .offset:         72
        .size:           8
        .value_kind:     by_value
      - .offset:         80
        .size:           8
        .value_kind:     by_value
      - .offset:         88
        .size:           8
        .value_kind:     by_value
      - .offset:         96
        .size:           4
        .value_kind:     by_value
      - .offset:         100
        .size:           1
        .value_kind:     by_value
      - .offset:         104
        .size:           4
        .value_kind:     hidden_block_count_x
      - .offset:         108
        .size:           4
        .value_kind:     hidden_block_count_y
      - .offset:         112
        .size:           4
        .value_kind:     hidden_block_count_z
      - .offset:         116
        .size:           2
        .value_kind:     hidden_group_size_x
      - .offset:         118
        .size:           2
        .value_kind:     hidden_group_size_y
      - .offset:         120
        .size:           2
        .value_kind:     hidden_group_size_z
      - .offset:         122
        .size:           2
        .value_kind:     hidden_remainder_x
      - .offset:         124
        .size:           2
        .value_kind:     hidden_remainder_y
      - .offset:         126
        .size:           2
        .value_kind:     hidden_remainder_z
      - .offset:         144
        .size:           8
        .value_kind:     hidden_global_offset_x
      - .offset:         152
        .size:           8
        .value_kind:     hidden_global_offset_y
      - .offset:         160
        .size:           8
        .value_kind:     hidden_global_offset_z
      - .offset:         168
        .size:           2
        .value_kind:     hidden_grid_dims
      - .offset:         224
        .size:           4
        .value_kind:     hidden_dynamic_lds_size
    .group_segment_fixed_size: 0
    .kernarg_segment_align: 8
    .kernarg_segment_size: 360
    .language:       OpenCL C
    .language_version:
      - 2
      - 0
    .max_flat_workgroup_size: 1024
    .name:           _ZL40rocblas_trsm_block_backward_substitutionI19rocblas_complex_numIfES1_PKS1_PS1_Lb0ELb0ELb0EEv18rocblas_operation_llT0_T1_lllT2_lllib
    .private_segment_fixed_size: 0
    .sgpr_count:     50
    .sgpr_spill_count: 0
    .symbol:         _ZL40rocblas_trsm_block_backward_substitutionI19rocblas_complex_numIfES1_PKS1_PS1_Lb0ELb0ELb0EEv18rocblas_operation_llT0_T1_lllT2_lllib.kd
    .uniform_work_group_size: 1
    .uses_dynamic_stack: false
    .vgpr_count:     18
    .vgpr_spill_count: 0
    .wavefront_size: 64
  - .agpr_count:     0
    .args:
      - .offset:         0
        .size:           4
        .value_kind:     by_value
      - .offset:         8
        .size:           8
        .value_kind:     by_value
      - .offset:         16
        .size:           8
        .value_kind:     by_value
      - .offset:         24
        .size:           8
        .value_kind:     by_value
      - .address_space:  global
        .offset:         32
        .size:           8
        .value_kind:     global_buffer
      - .offset:         40
        .size:           8
        .value_kind:     by_value
      - .offset:         48
        .size:           8
        .value_kind:     by_value
      - .offset:         56
        .size:           8
        .value_kind:     by_value
      - .address_space:  global
        .offset:         64
        .size:           8
        .value_kind:     global_buffer
      - .offset:         72
        .size:           8
        .value_kind:     by_value
      - .offset:         80
        .size:           8
        .value_kind:     by_value
      - .offset:         88
        .size:           8
        .value_kind:     by_value
      - .offset:         96
        .size:           4
        .value_kind:     by_value
      - .offset:         100
        .size:           1
        .value_kind:     by_value
      - .offset:         104
        .size:           4
        .value_kind:     hidden_block_count_x
      - .offset:         108
        .size:           4
        .value_kind:     hidden_block_count_y
      - .offset:         112
        .size:           4
        .value_kind:     hidden_block_count_z
      - .offset:         116
        .size:           2
        .value_kind:     hidden_group_size_x
      - .offset:         118
        .size:           2
        .value_kind:     hidden_group_size_y
      - .offset:         120
        .size:           2
        .value_kind:     hidden_group_size_z
      - .offset:         122
        .size:           2
        .value_kind:     hidden_remainder_x
      - .offset:         124
        .size:           2
        .value_kind:     hidden_remainder_y
      - .offset:         126
        .size:           2
        .value_kind:     hidden_remainder_z
      - .offset:         144
        .size:           8
        .value_kind:     hidden_global_offset_x
      - .offset:         152
        .size:           8
        .value_kind:     hidden_global_offset_y
      - .offset:         160
        .size:           8
        .value_kind:     hidden_global_offset_z
      - .offset:         168
        .size:           2
        .value_kind:     hidden_grid_dims
      - .offset:         224
        .size:           4
        .value_kind:     hidden_dynamic_lds_size
    .group_segment_fixed_size: 0
    .kernarg_segment_align: 8
    .kernarg_segment_size: 360
    .language:       OpenCL C
    .language_version:
      - 2
      - 0
    .max_flat_workgroup_size: 1024
    .name:           _ZL39rocblas_trsm_block_forward_substitutionI19rocblas_complex_numIfES1_PKS1_PS1_Lb0ELb0ELb1EEv18rocblas_operation_llT0_T1_lllT2_lllib
    .private_segment_fixed_size: 0
    .sgpr_count:     40
    .sgpr_spill_count: 0
    .symbol:         _ZL39rocblas_trsm_block_forward_substitutionI19rocblas_complex_numIfES1_PKS1_PS1_Lb0ELb0ELb1EEv18rocblas_operation_llT0_T1_lllT2_lllib.kd
    .uniform_work_group_size: 1
    .uses_dynamic_stack: false
    .vgpr_count:     20
    .vgpr_spill_count: 0
    .wavefront_size: 64
  - .agpr_count:     0
    .args:
      - .offset:         0
        .size:           4
        .value_kind:     by_value
      - .offset:         8
        .size:           8
        .value_kind:     by_value
      - .offset:         16
        .size:           8
        .value_kind:     by_value
      - .offset:         24
        .size:           8
        .value_kind:     by_value
      - .address_space:  global
        .offset:         32
        .size:           8
        .value_kind:     global_buffer
      - .offset:         40
        .size:           8
        .value_kind:     by_value
      - .offset:         48
        .size:           8
        .value_kind:     by_value
      - .offset:         56
        .size:           8
        .value_kind:     by_value
      - .address_space:  global
        .offset:         64
        .size:           8
        .value_kind:     global_buffer
      - .offset:         72
        .size:           8
        .value_kind:     by_value
      - .offset:         80
        .size:           8
        .value_kind:     by_value
      - .offset:         88
        .size:           8
        .value_kind:     by_value
      - .offset:         96
        .size:           4
        .value_kind:     by_value
      - .offset:         100
        .size:           1
        .value_kind:     by_value
      - .offset:         104
        .size:           4
        .value_kind:     hidden_block_count_x
      - .offset:         108
        .size:           4
        .value_kind:     hidden_block_count_y
      - .offset:         112
        .size:           4
        .value_kind:     hidden_block_count_z
      - .offset:         116
        .size:           2
        .value_kind:     hidden_group_size_x
      - .offset:         118
        .size:           2
        .value_kind:     hidden_group_size_y
      - .offset:         120
        .size:           2
        .value_kind:     hidden_group_size_z
      - .offset:         122
        .size:           2
        .value_kind:     hidden_remainder_x
      - .offset:         124
        .size:           2
        .value_kind:     hidden_remainder_y
      - .offset:         126
        .size:           2
        .value_kind:     hidden_remainder_z
      - .offset:         144
        .size:           8
        .value_kind:     hidden_global_offset_x
      - .offset:         152
        .size:           8
        .value_kind:     hidden_global_offset_y
      - .offset:         160
        .size:           8
        .value_kind:     hidden_global_offset_z
      - .offset:         168
        .size:           2
        .value_kind:     hidden_grid_dims
      - .offset:         224
        .size:           4
        .value_kind:     hidden_dynamic_lds_size
    .group_segment_fixed_size: 0
    .kernarg_segment_align: 8
    .kernarg_segment_size: 360
    .language:       OpenCL C
    .language_version:
      - 2
      - 0
    .max_flat_workgroup_size: 1024
    .name:           _ZL40rocblas_trsm_block_backward_substitutionI19rocblas_complex_numIfES1_PKS1_PS1_Lb0ELb0ELb1EEv18rocblas_operation_llT0_T1_lllT2_lllib
    .private_segment_fixed_size: 0
    .sgpr_count:     40
    .sgpr_spill_count: 0
    .symbol:         _ZL40rocblas_trsm_block_backward_substitutionI19rocblas_complex_numIfES1_PKS1_PS1_Lb0ELb0ELb1EEv18rocblas_operation_llT0_T1_lllT2_lllib.kd
    .uniform_work_group_size: 1
    .uses_dynamic_stack: false
    .vgpr_count:     18
    .vgpr_spill_count: 0
    .wavefront_size: 64
  - .agpr_count:     0
    .args:
      - .offset:         0
        .size:           4
        .value_kind:     by_value
      - .offset:         8
        .size:           8
        .value_kind:     by_value
      - .offset:         16
        .size:           8
        .value_kind:     by_value
      - .offset:         24
        .size:           8
        .value_kind:     by_value
      - .address_space:  global
        .offset:         32
        .size:           8
        .value_kind:     global_buffer
      - .offset:         40
        .size:           8
        .value_kind:     by_value
      - .offset:         48
        .size:           8
        .value_kind:     by_value
      - .offset:         56
        .size:           8
        .value_kind:     by_value
      - .address_space:  global
        .offset:         64
        .size:           8
        .value_kind:     global_buffer
      - .offset:         72
        .size:           8
        .value_kind:     by_value
      - .offset:         80
        .size:           8
        .value_kind:     by_value
      - .offset:         88
        .size:           8
        .value_kind:     by_value
      - .offset:         96
        .size:           4
        .value_kind:     by_value
      - .offset:         100
        .size:           1
        .value_kind:     by_value
      - .offset:         104
        .size:           4
        .value_kind:     hidden_block_count_x
      - .offset:         108
        .size:           4
        .value_kind:     hidden_block_count_y
      - .offset:         112
        .size:           4
        .value_kind:     hidden_block_count_z
      - .offset:         116
        .size:           2
        .value_kind:     hidden_group_size_x
      - .offset:         118
        .size:           2
        .value_kind:     hidden_group_size_y
      - .offset:         120
        .size:           2
        .value_kind:     hidden_group_size_z
      - .offset:         122
        .size:           2
        .value_kind:     hidden_remainder_x
      - .offset:         124
        .size:           2
        .value_kind:     hidden_remainder_y
      - .offset:         126
        .size:           2
        .value_kind:     hidden_remainder_z
      - .offset:         144
        .size:           8
        .value_kind:     hidden_global_offset_x
      - .offset:         152
        .size:           8
        .value_kind:     hidden_global_offset_y
      - .offset:         160
        .size:           8
        .value_kind:     hidden_global_offset_z
      - .offset:         168
        .size:           2
        .value_kind:     hidden_grid_dims
      - .offset:         224
        .size:           4
        .value_kind:     hidden_dynamic_lds_size
    .group_segment_fixed_size: 0
    .kernarg_segment_align: 8
    .kernarg_segment_size: 360
    .language:       OpenCL C
    .language_version:
      - 2
      - 0
    .max_flat_workgroup_size: 1024
    .name:           _ZL39rocblas_trsm_block_forward_substitutionI19rocblas_complex_numIfES1_PKS1_PS1_Lb0ELb1ELb0EEv18rocblas_operation_llT0_T1_lllT2_lllib
    .private_segment_fixed_size: 0
    .sgpr_count:     46
    .sgpr_spill_count: 0
    .symbol:         _ZL39rocblas_trsm_block_forward_substitutionI19rocblas_complex_numIfES1_PKS1_PS1_Lb0ELb1ELb0EEv18rocblas_operation_llT0_T1_lllT2_lllib.kd
    .uniform_work_group_size: 1
    .uses_dynamic_stack: false
    .vgpr_count:     18
    .vgpr_spill_count: 0
    .wavefront_size: 64
  - .agpr_count:     0
    .args:
      - .offset:         0
        .size:           4
        .value_kind:     by_value
      - .offset:         8
        .size:           8
        .value_kind:     by_value
      - .offset:         16
        .size:           8
        .value_kind:     by_value
      - .offset:         24
        .size:           8
        .value_kind:     by_value
      - .address_space:  global
        .offset:         32
        .size:           8
        .value_kind:     global_buffer
      - .offset:         40
        .size:           8
        .value_kind:     by_value
      - .offset:         48
        .size:           8
        .value_kind:     by_value
      - .offset:         56
        .size:           8
        .value_kind:     by_value
      - .address_space:  global
        .offset:         64
        .size:           8
        .value_kind:     global_buffer
      - .offset:         72
        .size:           8
        .value_kind:     by_value
      - .offset:         80
        .size:           8
        .value_kind:     by_value
      - .offset:         88
        .size:           8
        .value_kind:     by_value
      - .offset:         96
        .size:           4
        .value_kind:     by_value
      - .offset:         100
        .size:           1
        .value_kind:     by_value
      - .offset:         104
        .size:           4
        .value_kind:     hidden_block_count_x
      - .offset:         108
        .size:           4
        .value_kind:     hidden_block_count_y
      - .offset:         112
        .size:           4
        .value_kind:     hidden_block_count_z
      - .offset:         116
        .size:           2
        .value_kind:     hidden_group_size_x
      - .offset:         118
        .size:           2
        .value_kind:     hidden_group_size_y
      - .offset:         120
        .size:           2
        .value_kind:     hidden_group_size_z
      - .offset:         122
        .size:           2
        .value_kind:     hidden_remainder_x
      - .offset:         124
        .size:           2
        .value_kind:     hidden_remainder_y
      - .offset:         126
        .size:           2
        .value_kind:     hidden_remainder_z
      - .offset:         144
        .size:           8
        .value_kind:     hidden_global_offset_x
      - .offset:         152
        .size:           8
        .value_kind:     hidden_global_offset_y
      - .offset:         160
        .size:           8
        .value_kind:     hidden_global_offset_z
      - .offset:         168
        .size:           2
        .value_kind:     hidden_grid_dims
      - .offset:         224
        .size:           4
        .value_kind:     hidden_dynamic_lds_size
    .group_segment_fixed_size: 0
    .kernarg_segment_align: 8
    .kernarg_segment_size: 360
    .language:       OpenCL C
    .language_version:
      - 2
      - 0
    .max_flat_workgroup_size: 1024
    .name:           _ZL40rocblas_trsm_block_backward_substitutionI19rocblas_complex_numIfES1_PKS1_PS1_Lb0ELb1ELb0EEv18rocblas_operation_llT0_T1_lllT2_lllib
    .private_segment_fixed_size: 0
    .sgpr_count:     50
    .sgpr_spill_count: 0
    .symbol:         _ZL40rocblas_trsm_block_backward_substitutionI19rocblas_complex_numIfES1_PKS1_PS1_Lb0ELb1ELb0EEv18rocblas_operation_llT0_T1_lllT2_lllib.kd
    .uniform_work_group_size: 1
    .uses_dynamic_stack: false
    .vgpr_count:     18
    .vgpr_spill_count: 0
    .wavefront_size: 64
  - .agpr_count:     0
    .args:
      - .offset:         0
        .size:           4
        .value_kind:     by_value
      - .offset:         8
        .size:           8
        .value_kind:     by_value
      - .offset:         16
        .size:           8
        .value_kind:     by_value
      - .offset:         24
        .size:           8
        .value_kind:     by_value
      - .address_space:  global
        .offset:         32
        .size:           8
        .value_kind:     global_buffer
      - .offset:         40
        .size:           8
        .value_kind:     by_value
      - .offset:         48
        .size:           8
        .value_kind:     by_value
      - .offset:         56
        .size:           8
        .value_kind:     by_value
      - .address_space:  global
        .offset:         64
        .size:           8
        .value_kind:     global_buffer
      - .offset:         72
        .size:           8
        .value_kind:     by_value
      - .offset:         80
        .size:           8
        .value_kind:     by_value
      - .offset:         88
        .size:           8
        .value_kind:     by_value
      - .offset:         96
        .size:           4
        .value_kind:     by_value
      - .offset:         100
        .size:           1
        .value_kind:     by_value
      - .offset:         104
        .size:           4
        .value_kind:     hidden_block_count_x
      - .offset:         108
        .size:           4
        .value_kind:     hidden_block_count_y
      - .offset:         112
        .size:           4
        .value_kind:     hidden_block_count_z
      - .offset:         116
        .size:           2
        .value_kind:     hidden_group_size_x
      - .offset:         118
        .size:           2
        .value_kind:     hidden_group_size_y
      - .offset:         120
        .size:           2
        .value_kind:     hidden_group_size_z
      - .offset:         122
        .size:           2
        .value_kind:     hidden_remainder_x
      - .offset:         124
        .size:           2
        .value_kind:     hidden_remainder_y
      - .offset:         126
        .size:           2
        .value_kind:     hidden_remainder_z
      - .offset:         144
        .size:           8
        .value_kind:     hidden_global_offset_x
      - .offset:         152
        .size:           8
        .value_kind:     hidden_global_offset_y
      - .offset:         160
        .size:           8
        .value_kind:     hidden_global_offset_z
      - .offset:         168
        .size:           2
        .value_kind:     hidden_grid_dims
      - .offset:         224
        .size:           4
        .value_kind:     hidden_dynamic_lds_size
    .group_segment_fixed_size: 0
    .kernarg_segment_align: 8
    .kernarg_segment_size: 360
    .language:       OpenCL C
    .language_version:
      - 2
      - 0
    .max_flat_workgroup_size: 1024
    .name:           _ZL39rocblas_trsm_block_forward_substitutionI19rocblas_complex_numIfES1_PKS1_PS1_Lb0ELb1ELb1EEv18rocblas_operation_llT0_T1_lllT2_lllib
    .private_segment_fixed_size: 0
    .sgpr_count:     40
    .sgpr_spill_count: 0
    .symbol:         _ZL39rocblas_trsm_block_forward_substitutionI19rocblas_complex_numIfES1_PKS1_PS1_Lb0ELb1ELb1EEv18rocblas_operation_llT0_T1_lllT2_lllib.kd
    .uniform_work_group_size: 1
    .uses_dynamic_stack: false
    .vgpr_count:     20
    .vgpr_spill_count: 0
    .wavefront_size: 64
  - .agpr_count:     0
    .args:
      - .offset:         0
        .size:           4
        .value_kind:     by_value
      - .offset:         8
        .size:           8
        .value_kind:     by_value
      - .offset:         16
        .size:           8
        .value_kind:     by_value
      - .offset:         24
        .size:           8
        .value_kind:     by_value
      - .address_space:  global
        .offset:         32
        .size:           8
        .value_kind:     global_buffer
      - .offset:         40
        .size:           8
        .value_kind:     by_value
      - .offset:         48
        .size:           8
        .value_kind:     by_value
      - .offset:         56
        .size:           8
        .value_kind:     by_value
      - .address_space:  global
        .offset:         64
        .size:           8
        .value_kind:     global_buffer
      - .offset:         72
        .size:           8
        .value_kind:     by_value
      - .offset:         80
        .size:           8
        .value_kind:     by_value
      - .offset:         88
        .size:           8
        .value_kind:     by_value
      - .offset:         96
        .size:           4
        .value_kind:     by_value
      - .offset:         100
        .size:           1
        .value_kind:     by_value
      - .offset:         104
        .size:           4
        .value_kind:     hidden_block_count_x
      - .offset:         108
        .size:           4
        .value_kind:     hidden_block_count_y
      - .offset:         112
        .size:           4
        .value_kind:     hidden_block_count_z
      - .offset:         116
        .size:           2
        .value_kind:     hidden_group_size_x
      - .offset:         118
        .size:           2
        .value_kind:     hidden_group_size_y
      - .offset:         120
        .size:           2
        .value_kind:     hidden_group_size_z
      - .offset:         122
        .size:           2
        .value_kind:     hidden_remainder_x
      - .offset:         124
        .size:           2
        .value_kind:     hidden_remainder_y
      - .offset:         126
        .size:           2
        .value_kind:     hidden_remainder_z
      - .offset:         144
        .size:           8
        .value_kind:     hidden_global_offset_x
      - .offset:         152
        .size:           8
        .value_kind:     hidden_global_offset_y
      - .offset:         160
        .size:           8
        .value_kind:     hidden_global_offset_z
      - .offset:         168
        .size:           2
        .value_kind:     hidden_grid_dims
      - .offset:         224
        .size:           4
        .value_kind:     hidden_dynamic_lds_size
    .group_segment_fixed_size: 0
    .kernarg_segment_align: 8
    .kernarg_segment_size: 360
    .language:       OpenCL C
    .language_version:
      - 2
      - 0
    .max_flat_workgroup_size: 1024
    .name:           _ZL40rocblas_trsm_block_backward_substitutionI19rocblas_complex_numIfES1_PKS1_PS1_Lb0ELb1ELb1EEv18rocblas_operation_llT0_T1_lllT2_lllib
    .private_segment_fixed_size: 0
    .sgpr_count:     40
    .sgpr_spill_count: 0
    .symbol:         _ZL40rocblas_trsm_block_backward_substitutionI19rocblas_complex_numIfES1_PKS1_PS1_Lb0ELb1ELb1EEv18rocblas_operation_llT0_T1_lllT2_lllib.kd
    .uniform_work_group_size: 1
    .uses_dynamic_stack: false
    .vgpr_count:     18
    .vgpr_spill_count: 0
    .wavefront_size: 64
  - .agpr_count:     0
    .args:
      - .offset:         0
        .size:           4
        .value_kind:     by_value
      - .offset:         8
        .size:           8
        .value_kind:     by_value
      - .offset:         16
        .size:           8
        .value_kind:     by_value
      - .offset:         24
        .size:           8
        .value_kind:     by_value
      - .address_space:  global
        .offset:         32
        .size:           8
        .value_kind:     global_buffer
      - .offset:         40
        .size:           8
        .value_kind:     by_value
      - .offset:         48
        .size:           8
        .value_kind:     by_value
      - .offset:         56
        .size:           8
        .value_kind:     by_value
      - .address_space:  global
        .offset:         64
        .size:           8
        .value_kind:     global_buffer
      - .offset:         72
        .size:           8
        .value_kind:     by_value
      - .offset:         80
        .size:           8
        .value_kind:     by_value
      - .offset:         88
        .size:           8
        .value_kind:     by_value
      - .offset:         96
        .size:           4
        .value_kind:     by_value
      - .offset:         100
        .size:           1
        .value_kind:     by_value
      - .offset:         104
        .size:           4
        .value_kind:     hidden_block_count_x
      - .offset:         108
        .size:           4
        .value_kind:     hidden_block_count_y
      - .offset:         112
        .size:           4
        .value_kind:     hidden_block_count_z
      - .offset:         116
        .size:           2
        .value_kind:     hidden_group_size_x
      - .offset:         118
        .size:           2
        .value_kind:     hidden_group_size_y
      - .offset:         120
        .size:           2
        .value_kind:     hidden_group_size_z
      - .offset:         122
        .size:           2
        .value_kind:     hidden_remainder_x
      - .offset:         124
        .size:           2
        .value_kind:     hidden_remainder_y
      - .offset:         126
        .size:           2
        .value_kind:     hidden_remainder_z
      - .offset:         144
        .size:           8
        .value_kind:     hidden_global_offset_x
      - .offset:         152
        .size:           8
        .value_kind:     hidden_global_offset_y
      - .offset:         160
        .size:           8
        .value_kind:     hidden_global_offset_z
      - .offset:         168
        .size:           2
        .value_kind:     hidden_grid_dims
      - .offset:         224
        .size:           4
        .value_kind:     hidden_dynamic_lds_size
    .group_segment_fixed_size: 0
    .kernarg_segment_align: 8
    .kernarg_segment_size: 360
    .language:       OpenCL C
    .language_version:
      - 2
      - 0
    .max_flat_workgroup_size: 1024
    .name:           _ZL39rocblas_trsm_block_forward_substitutionI19rocblas_complex_numIfES1_PKS1_PS1_Lb1ELb1ELb0EEv18rocblas_operation_llT0_T1_lllT2_lllib
    .private_segment_fixed_size: 0
    .sgpr_count:     46
    .sgpr_spill_count: 0
    .symbol:         _ZL39rocblas_trsm_block_forward_substitutionI19rocblas_complex_numIfES1_PKS1_PS1_Lb1ELb1ELb0EEv18rocblas_operation_llT0_T1_lllT2_lllib.kd
    .uniform_work_group_size: 1
    .uses_dynamic_stack: false
    .vgpr_count:     18
    .vgpr_spill_count: 0
    .wavefront_size: 64
  - .agpr_count:     0
    .args:
      - .offset:         0
        .size:           4
        .value_kind:     by_value
      - .offset:         8
        .size:           8
        .value_kind:     by_value
      - .offset:         16
        .size:           8
        .value_kind:     by_value
      - .offset:         24
        .size:           8
        .value_kind:     by_value
      - .address_space:  global
        .offset:         32
        .size:           8
        .value_kind:     global_buffer
      - .offset:         40
        .size:           8
        .value_kind:     by_value
      - .offset:         48
        .size:           8
        .value_kind:     by_value
      - .offset:         56
        .size:           8
        .value_kind:     by_value
      - .address_space:  global
        .offset:         64
        .size:           8
        .value_kind:     global_buffer
      - .offset:         72
        .size:           8
        .value_kind:     by_value
      - .offset:         80
        .size:           8
        .value_kind:     by_value
      - .offset:         88
        .size:           8
        .value_kind:     by_value
      - .offset:         96
        .size:           4
        .value_kind:     by_value
      - .offset:         100
        .size:           1
        .value_kind:     by_value
      - .offset:         104
        .size:           4
        .value_kind:     hidden_block_count_x
      - .offset:         108
        .size:           4
        .value_kind:     hidden_block_count_y
      - .offset:         112
        .size:           4
        .value_kind:     hidden_block_count_z
      - .offset:         116
        .size:           2
        .value_kind:     hidden_group_size_x
      - .offset:         118
        .size:           2
        .value_kind:     hidden_group_size_y
      - .offset:         120
        .size:           2
        .value_kind:     hidden_group_size_z
      - .offset:         122
        .size:           2
        .value_kind:     hidden_remainder_x
      - .offset:         124
        .size:           2
        .value_kind:     hidden_remainder_y
      - .offset:         126
        .size:           2
        .value_kind:     hidden_remainder_z
      - .offset:         144
        .size:           8
        .value_kind:     hidden_global_offset_x
      - .offset:         152
        .size:           8
        .value_kind:     hidden_global_offset_y
      - .offset:         160
        .size:           8
        .value_kind:     hidden_global_offset_z
      - .offset:         168
        .size:           2
        .value_kind:     hidden_grid_dims
      - .offset:         224
        .size:           4
        .value_kind:     hidden_dynamic_lds_size
    .group_segment_fixed_size: 0
    .kernarg_segment_align: 8
    .kernarg_segment_size: 360
    .language:       OpenCL C
    .language_version:
      - 2
      - 0
    .max_flat_workgroup_size: 1024
    .name:           _ZL40rocblas_trsm_block_backward_substitutionI19rocblas_complex_numIfES1_PKS1_PS1_Lb1ELb1ELb0EEv18rocblas_operation_llT0_T1_lllT2_lllib
    .private_segment_fixed_size: 0
    .sgpr_count:     50
    .sgpr_spill_count: 0
    .symbol:         _ZL40rocblas_trsm_block_backward_substitutionI19rocblas_complex_numIfES1_PKS1_PS1_Lb1ELb1ELb0EEv18rocblas_operation_llT0_T1_lllT2_lllib.kd
    .uniform_work_group_size: 1
    .uses_dynamic_stack: false
    .vgpr_count:     18
    .vgpr_spill_count: 0
    .wavefront_size: 64
  - .agpr_count:     0
    .args:
      - .offset:         0
        .size:           4
        .value_kind:     by_value
      - .offset:         8
        .size:           8
        .value_kind:     by_value
      - .offset:         16
        .size:           8
        .value_kind:     by_value
      - .offset:         24
        .size:           8
        .value_kind:     by_value
      - .address_space:  global
        .offset:         32
        .size:           8
        .value_kind:     global_buffer
      - .offset:         40
        .size:           8
        .value_kind:     by_value
      - .offset:         48
        .size:           8
        .value_kind:     by_value
      - .offset:         56
        .size:           8
        .value_kind:     by_value
      - .address_space:  global
        .offset:         64
        .size:           8
        .value_kind:     global_buffer
      - .offset:         72
        .size:           8
        .value_kind:     by_value
      - .offset:         80
        .size:           8
        .value_kind:     by_value
      - .offset:         88
        .size:           8
        .value_kind:     by_value
      - .offset:         96
        .size:           4
        .value_kind:     by_value
      - .offset:         100
        .size:           1
        .value_kind:     by_value
      - .offset:         104
        .size:           4
        .value_kind:     hidden_block_count_x
      - .offset:         108
        .size:           4
        .value_kind:     hidden_block_count_y
      - .offset:         112
        .size:           4
        .value_kind:     hidden_block_count_z
      - .offset:         116
        .size:           2
        .value_kind:     hidden_group_size_x
      - .offset:         118
        .size:           2
        .value_kind:     hidden_group_size_y
      - .offset:         120
        .size:           2
        .value_kind:     hidden_group_size_z
      - .offset:         122
        .size:           2
        .value_kind:     hidden_remainder_x
      - .offset:         124
        .size:           2
        .value_kind:     hidden_remainder_y
      - .offset:         126
        .size:           2
        .value_kind:     hidden_remainder_z
      - .offset:         144
        .size:           8
        .value_kind:     hidden_global_offset_x
      - .offset:         152
        .size:           8
        .value_kind:     hidden_global_offset_y
      - .offset:         160
        .size:           8
        .value_kind:     hidden_global_offset_z
      - .offset:         168
        .size:           2
        .value_kind:     hidden_grid_dims
      - .offset:         224
        .size:           4
        .value_kind:     hidden_dynamic_lds_size
    .group_segment_fixed_size: 0
    .kernarg_segment_align: 8
    .kernarg_segment_size: 360
    .language:       OpenCL C
    .language_version:
      - 2
      - 0
    .max_flat_workgroup_size: 1024
    .name:           _ZL39rocblas_trsm_block_forward_substitutionI19rocblas_complex_numIfES1_PKS1_PS1_Lb1ELb1ELb1EEv18rocblas_operation_llT0_T1_lllT2_lllib
    .private_segment_fixed_size: 0
    .sgpr_count:     40
    .sgpr_spill_count: 0
    .symbol:         _ZL39rocblas_trsm_block_forward_substitutionI19rocblas_complex_numIfES1_PKS1_PS1_Lb1ELb1ELb1EEv18rocblas_operation_llT0_T1_lllT2_lllib.kd
    .uniform_work_group_size: 1
    .uses_dynamic_stack: false
    .vgpr_count:     18
    .vgpr_spill_count: 0
    .wavefront_size: 64
  - .agpr_count:     0
    .args:
      - .offset:         0
        .size:           4
        .value_kind:     by_value
      - .offset:         8
        .size:           8
        .value_kind:     by_value
      - .offset:         16
        .size:           8
        .value_kind:     by_value
      - .offset:         24
        .size:           8
        .value_kind:     by_value
      - .address_space:  global
        .offset:         32
        .size:           8
        .value_kind:     global_buffer
      - .offset:         40
        .size:           8
        .value_kind:     by_value
      - .offset:         48
        .size:           8
        .value_kind:     by_value
      - .offset:         56
        .size:           8
        .value_kind:     by_value
      - .address_space:  global
        .offset:         64
        .size:           8
        .value_kind:     global_buffer
      - .offset:         72
        .size:           8
        .value_kind:     by_value
      - .offset:         80
        .size:           8
        .value_kind:     by_value
      - .offset:         88
        .size:           8
        .value_kind:     by_value
      - .offset:         96
        .size:           4
        .value_kind:     by_value
      - .offset:         100
        .size:           1
        .value_kind:     by_value
      - .offset:         104
        .size:           4
        .value_kind:     hidden_block_count_x
      - .offset:         108
        .size:           4
        .value_kind:     hidden_block_count_y
      - .offset:         112
        .size:           4
        .value_kind:     hidden_block_count_z
      - .offset:         116
        .size:           2
        .value_kind:     hidden_group_size_x
      - .offset:         118
        .size:           2
        .value_kind:     hidden_group_size_y
      - .offset:         120
        .size:           2
        .value_kind:     hidden_group_size_z
      - .offset:         122
        .size:           2
        .value_kind:     hidden_remainder_x
      - .offset:         124
        .size:           2
        .value_kind:     hidden_remainder_y
      - .offset:         126
        .size:           2
        .value_kind:     hidden_remainder_z
      - .offset:         144
        .size:           8
        .value_kind:     hidden_global_offset_x
      - .offset:         152
        .size:           8
        .value_kind:     hidden_global_offset_y
      - .offset:         160
        .size:           8
        .value_kind:     hidden_global_offset_z
      - .offset:         168
        .size:           2
        .value_kind:     hidden_grid_dims
      - .offset:         224
        .size:           4
        .value_kind:     hidden_dynamic_lds_size
    .group_segment_fixed_size: 0
    .kernarg_segment_align: 8
    .kernarg_segment_size: 360
    .language:       OpenCL C
    .language_version:
      - 2
      - 0
    .max_flat_workgroup_size: 1024
    .name:           _ZL40rocblas_trsm_block_backward_substitutionI19rocblas_complex_numIfES1_PKS1_PS1_Lb1ELb1ELb1EEv18rocblas_operation_llT0_T1_lllT2_lllib
    .private_segment_fixed_size: 0
    .sgpr_count:     40
    .sgpr_spill_count: 0
    .symbol:         _ZL40rocblas_trsm_block_backward_substitutionI19rocblas_complex_numIfES1_PKS1_PS1_Lb1ELb1ELb1EEv18rocblas_operation_llT0_T1_lllT2_lllib.kd
    .uniform_work_group_size: 1
    .uses_dynamic_stack: false
    .vgpr_count:     20
    .vgpr_spill_count: 0
    .wavefront_size: 64
  - .agpr_count:     0
    .args:
      - .offset:         0
        .size:           4
        .value_kind:     by_value
      - .offset:         8
        .size:           8
        .value_kind:     by_value
      - .offset:         16
        .size:           8
        .value_kind:     by_value
      - .offset:         24
        .size:           8
        .value_kind:     by_value
      - .address_space:  global
        .offset:         32
        .size:           8
        .value_kind:     global_buffer
      - .offset:         40
        .size:           8
        .value_kind:     by_value
      - .offset:         48
        .size:           8
        .value_kind:     by_value
      - .offset:         56
        .size:           8
        .value_kind:     by_value
      - .address_space:  global
        .offset:         64
        .size:           8
        .value_kind:     global_buffer
      - .offset:         72
        .size:           8
        .value_kind:     by_value
      - .offset:         80
        .size:           8
        .value_kind:     by_value
      - .offset:         88
        .size:           8
        .value_kind:     by_value
      - .offset:         96
        .size:           4
        .value_kind:     by_value
      - .offset:         100
        .size:           1
        .value_kind:     by_value
      - .offset:         104
        .size:           4
        .value_kind:     hidden_block_count_x
      - .offset:         108
        .size:           4
        .value_kind:     hidden_block_count_y
      - .offset:         112
        .size:           4
        .value_kind:     hidden_block_count_z
      - .offset:         116
        .size:           2
        .value_kind:     hidden_group_size_x
      - .offset:         118
        .size:           2
        .value_kind:     hidden_group_size_y
      - .offset:         120
        .size:           2
        .value_kind:     hidden_group_size_z
      - .offset:         122
        .size:           2
        .value_kind:     hidden_remainder_x
      - .offset:         124
        .size:           2
        .value_kind:     hidden_remainder_y
      - .offset:         126
        .size:           2
        .value_kind:     hidden_remainder_z
      - .offset:         144
        .size:           8
        .value_kind:     hidden_global_offset_x
      - .offset:         152
        .size:           8
        .value_kind:     hidden_global_offset_y
      - .offset:         160
        .size:           8
        .value_kind:     hidden_global_offset_z
      - .offset:         168
        .size:           2
        .value_kind:     hidden_grid_dims
      - .offset:         224
        .size:           4
        .value_kind:     hidden_dynamic_lds_size
    .group_segment_fixed_size: 0
    .kernarg_segment_align: 8
    .kernarg_segment_size: 360
    .language:       OpenCL C
    .language_version:
      - 2
      - 0
    .max_flat_workgroup_size: 1024
    .name:           _ZL39rocblas_trsm_block_forward_substitutionI19rocblas_complex_numIfES1_PKS1_PS1_Lb1ELb0ELb0EEv18rocblas_operation_llT0_T1_lllT2_lllib
    .private_segment_fixed_size: 0
    .sgpr_count:     46
    .sgpr_spill_count: 0
    .symbol:         _ZL39rocblas_trsm_block_forward_substitutionI19rocblas_complex_numIfES1_PKS1_PS1_Lb1ELb0ELb0EEv18rocblas_operation_llT0_T1_lllT2_lllib.kd
    .uniform_work_group_size: 1
    .uses_dynamic_stack: false
    .vgpr_count:     18
    .vgpr_spill_count: 0
    .wavefront_size: 64
  - .agpr_count:     0
    .args:
      - .offset:         0
        .size:           4
        .value_kind:     by_value
      - .offset:         8
        .size:           8
        .value_kind:     by_value
      - .offset:         16
        .size:           8
        .value_kind:     by_value
      - .offset:         24
        .size:           8
        .value_kind:     by_value
      - .address_space:  global
        .offset:         32
        .size:           8
        .value_kind:     global_buffer
      - .offset:         40
        .size:           8
        .value_kind:     by_value
      - .offset:         48
        .size:           8
        .value_kind:     by_value
      - .offset:         56
        .size:           8
        .value_kind:     by_value
      - .address_space:  global
        .offset:         64
        .size:           8
        .value_kind:     global_buffer
      - .offset:         72
        .size:           8
        .value_kind:     by_value
      - .offset:         80
        .size:           8
        .value_kind:     by_value
      - .offset:         88
        .size:           8
        .value_kind:     by_value
      - .offset:         96
        .size:           4
        .value_kind:     by_value
      - .offset:         100
        .size:           1
        .value_kind:     by_value
      - .offset:         104
        .size:           4
        .value_kind:     hidden_block_count_x
      - .offset:         108
        .size:           4
        .value_kind:     hidden_block_count_y
      - .offset:         112
        .size:           4
        .value_kind:     hidden_block_count_z
      - .offset:         116
        .size:           2
        .value_kind:     hidden_group_size_x
      - .offset:         118
        .size:           2
        .value_kind:     hidden_group_size_y
      - .offset:         120
        .size:           2
        .value_kind:     hidden_group_size_z
      - .offset:         122
        .size:           2
        .value_kind:     hidden_remainder_x
      - .offset:         124
        .size:           2
        .value_kind:     hidden_remainder_y
      - .offset:         126
        .size:           2
        .value_kind:     hidden_remainder_z
      - .offset:         144
        .size:           8
        .value_kind:     hidden_global_offset_x
      - .offset:         152
        .size:           8
        .value_kind:     hidden_global_offset_y
      - .offset:         160
        .size:           8
        .value_kind:     hidden_global_offset_z
      - .offset:         168
        .size:           2
        .value_kind:     hidden_grid_dims
      - .offset:         224
        .size:           4
        .value_kind:     hidden_dynamic_lds_size
    .group_segment_fixed_size: 0
    .kernarg_segment_align: 8
    .kernarg_segment_size: 360
    .language:       OpenCL C
    .language_version:
      - 2
      - 0
    .max_flat_workgroup_size: 1024
    .name:           _ZL40rocblas_trsm_block_backward_substitutionI19rocblas_complex_numIfES1_PKS1_PS1_Lb1ELb0ELb0EEv18rocblas_operation_llT0_T1_lllT2_lllib
    .private_segment_fixed_size: 0
    .sgpr_count:     50
    .sgpr_spill_count: 0
    .symbol:         _ZL40rocblas_trsm_block_backward_substitutionI19rocblas_complex_numIfES1_PKS1_PS1_Lb1ELb0ELb0EEv18rocblas_operation_llT0_T1_lllT2_lllib.kd
    .uniform_work_group_size: 1
    .uses_dynamic_stack: false
    .vgpr_count:     18
    .vgpr_spill_count: 0
    .wavefront_size: 64
  - .agpr_count:     0
    .args:
      - .offset:         0
        .size:           4
        .value_kind:     by_value
      - .offset:         8
        .size:           8
        .value_kind:     by_value
      - .offset:         16
        .size:           8
        .value_kind:     by_value
      - .offset:         24
        .size:           8
        .value_kind:     by_value
      - .address_space:  global
        .offset:         32
        .size:           8
        .value_kind:     global_buffer
      - .offset:         40
        .size:           8
        .value_kind:     by_value
      - .offset:         48
        .size:           8
        .value_kind:     by_value
      - .offset:         56
        .size:           8
        .value_kind:     by_value
      - .address_space:  global
        .offset:         64
        .size:           8
        .value_kind:     global_buffer
      - .offset:         72
        .size:           8
        .value_kind:     by_value
      - .offset:         80
        .size:           8
        .value_kind:     by_value
      - .offset:         88
        .size:           8
        .value_kind:     by_value
      - .offset:         96
        .size:           4
        .value_kind:     by_value
      - .offset:         100
        .size:           1
        .value_kind:     by_value
      - .offset:         104
        .size:           4
        .value_kind:     hidden_block_count_x
      - .offset:         108
        .size:           4
        .value_kind:     hidden_block_count_y
      - .offset:         112
        .size:           4
        .value_kind:     hidden_block_count_z
      - .offset:         116
        .size:           2
        .value_kind:     hidden_group_size_x
      - .offset:         118
        .size:           2
        .value_kind:     hidden_group_size_y
      - .offset:         120
        .size:           2
        .value_kind:     hidden_group_size_z
      - .offset:         122
        .size:           2
        .value_kind:     hidden_remainder_x
      - .offset:         124
        .size:           2
        .value_kind:     hidden_remainder_y
      - .offset:         126
        .size:           2
        .value_kind:     hidden_remainder_z
      - .offset:         144
        .size:           8
        .value_kind:     hidden_global_offset_x
      - .offset:         152
        .size:           8
        .value_kind:     hidden_global_offset_y
      - .offset:         160
        .size:           8
        .value_kind:     hidden_global_offset_z
      - .offset:         168
        .size:           2
        .value_kind:     hidden_grid_dims
      - .offset:         224
        .size:           4
        .value_kind:     hidden_dynamic_lds_size
    .group_segment_fixed_size: 0
    .kernarg_segment_align: 8
    .kernarg_segment_size: 360
    .language:       OpenCL C
    .language_version:
      - 2
      - 0
    .max_flat_workgroup_size: 1024
    .name:           _ZL39rocblas_trsm_block_forward_substitutionI19rocblas_complex_numIfES1_PKS1_PS1_Lb1ELb0ELb1EEv18rocblas_operation_llT0_T1_lllT2_lllib
    .private_segment_fixed_size: 0
    .sgpr_count:     40
    .sgpr_spill_count: 0
    .symbol:         _ZL39rocblas_trsm_block_forward_substitutionI19rocblas_complex_numIfES1_PKS1_PS1_Lb1ELb0ELb1EEv18rocblas_operation_llT0_T1_lllT2_lllib.kd
    .uniform_work_group_size: 1
    .uses_dynamic_stack: false
    .vgpr_count:     18
    .vgpr_spill_count: 0
    .wavefront_size: 64
  - .agpr_count:     0
    .args:
      - .offset:         0
        .size:           4
        .value_kind:     by_value
      - .offset:         8
        .size:           8
        .value_kind:     by_value
      - .offset:         16
        .size:           8
        .value_kind:     by_value
      - .offset:         24
        .size:           8
        .value_kind:     by_value
      - .address_space:  global
        .offset:         32
        .size:           8
        .value_kind:     global_buffer
      - .offset:         40
        .size:           8
        .value_kind:     by_value
      - .offset:         48
        .size:           8
        .value_kind:     by_value
      - .offset:         56
        .size:           8
        .value_kind:     by_value
      - .address_space:  global
        .offset:         64
        .size:           8
        .value_kind:     global_buffer
      - .offset:         72
        .size:           8
        .value_kind:     by_value
      - .offset:         80
        .size:           8
        .value_kind:     by_value
      - .offset:         88
        .size:           8
        .value_kind:     by_value
      - .offset:         96
        .size:           4
        .value_kind:     by_value
      - .offset:         100
        .size:           1
        .value_kind:     by_value
      - .offset:         104
        .size:           4
        .value_kind:     hidden_block_count_x
      - .offset:         108
        .size:           4
        .value_kind:     hidden_block_count_y
      - .offset:         112
        .size:           4
        .value_kind:     hidden_block_count_z
      - .offset:         116
        .size:           2
        .value_kind:     hidden_group_size_x
      - .offset:         118
        .size:           2
        .value_kind:     hidden_group_size_y
      - .offset:         120
        .size:           2
        .value_kind:     hidden_group_size_z
      - .offset:         122
        .size:           2
        .value_kind:     hidden_remainder_x
      - .offset:         124
        .size:           2
        .value_kind:     hidden_remainder_y
      - .offset:         126
        .size:           2
        .value_kind:     hidden_remainder_z
      - .offset:         144
        .size:           8
        .value_kind:     hidden_global_offset_x
      - .offset:         152
        .size:           8
        .value_kind:     hidden_global_offset_y
      - .offset:         160
        .size:           8
        .value_kind:     hidden_global_offset_z
      - .offset:         168
        .size:           2
        .value_kind:     hidden_grid_dims
      - .offset:         224
        .size:           4
        .value_kind:     hidden_dynamic_lds_size
    .group_segment_fixed_size: 0
    .kernarg_segment_align: 8
    .kernarg_segment_size: 360
    .language:       OpenCL C
    .language_version:
      - 2
      - 0
    .max_flat_workgroup_size: 1024
    .name:           _ZL40rocblas_trsm_block_backward_substitutionI19rocblas_complex_numIfES1_PKS1_PS1_Lb1ELb0ELb1EEv18rocblas_operation_llT0_T1_lllT2_lllib
    .private_segment_fixed_size: 0
    .sgpr_count:     40
    .sgpr_spill_count: 0
    .symbol:         _ZL40rocblas_trsm_block_backward_substitutionI19rocblas_complex_numIfES1_PKS1_PS1_Lb1ELb0ELb1EEv18rocblas_operation_llT0_T1_lllT2_lllib.kd
    .uniform_work_group_size: 1
    .uses_dynamic_stack: false
    .vgpr_count:     20
    .vgpr_spill_count: 0
    .wavefront_size: 64
  - .agpr_count:     0
    .args:
      - .address_space:  global
        .offset:         0
        .size:           8
        .value_kind:     global_buffer
      - .offset:         8
        .size:           8
        .value_kind:     by_value
      - .address_space:  global
        .offset:         16
        .size:           8
        .value_kind:     global_buffer
    .group_segment_fixed_size: 0
    .kernarg_segment_align: 8
    .kernarg_segment_size: 24
    .language:       OpenCL C
    .language_version:
      - 2
      - 0
    .max_flat_workgroup_size: 128
    .name:           _ZL26setup_batched_array_kernelILi128E19rocblas_complex_numIfEEvPT0_lPS3_
    .private_segment_fixed_size: 0
    .sgpr_count:     13
    .sgpr_spill_count: 0
    .symbol:         _ZL26setup_batched_array_kernelILi128E19rocblas_complex_numIfEEvPT0_lPS3_.kd
    .uniform_work_group_size: 1
    .uses_dynamic_stack: false
    .vgpr_count:     3
    .vgpr_spill_count: 0
    .wavefront_size: 64
  - .agpr_count:     0
    .args:
      - .offset:         0
        .size:           4
        .value_kind:     by_value
      - .offset:         4
        .size:           4
        .value_kind:     by_value
      - .address_space:  global
        .offset:         8
        .size:           8
        .value_kind:     global_buffer
      - .offset:         16
        .size:           8
        .value_kind:     by_value
      - .offset:         24
        .size:           4
        .value_kind:     by_value
      - .offset:         32
        .size:           8
        .value_kind:     by_value
      - .address_space:  global
        .offset:         40
        .size:           8
        .value_kind:     global_buffer
      - .offset:         48
        .size:           8
        .value_kind:     by_value
      - .offset:         56
        .size:           8
        .value_kind:     by_value
      - .offset:         64
        .size:           4
        .value_kind:     by_value
    .group_segment_fixed_size: 8192
    .kernarg_segment_align: 8
    .kernarg_segment_size: 68
    .language:       OpenCL C
    .language_version:
      - 2
      - 0
    .max_flat_workgroup_size: 256
    .name:           _ZL25rocblas_trtri_trsm_kernelILi128ELi16ELi8E19rocblas_complex_numIfEPKS1_PS1_Ev13rocblas_fill_17rocblas_diagonal_T3_lilT4_lli
    .private_segment_fixed_size: 0
    .sgpr_count:     44
    .sgpr_spill_count: 0
    .symbol:         _ZL25rocblas_trtri_trsm_kernelILi128ELi16ELi8E19rocblas_complex_numIfEPKS1_PS1_Ev13rocblas_fill_17rocblas_diagonal_T3_lilT4_lli.kd
    .uniform_work_group_size: 1
    .uses_dynamic_stack: false
    .vgpr_count:     62
    .vgpr_spill_count: 0
    .wavefront_size: 64
  - .agpr_count:     0
    .args:
      - .address_space:  global
        .offset:         0
        .size:           8
        .value_kind:     global_buffer
      - .offset:         8
        .size:           4
        .value_kind:     by_value
      - .offset:         12
        .size:           4
        .value_kind:     by_value
      - .offset:         16
        .size:           8
        .value_kind:     by_value
      - .offset:         24
        .size:           4
        .value_kind:     by_value
      - .offset:         32
        .size:           8
        .value_kind:     by_value
      - .address_space:  global
        .offset:         40
        .size:           8
        .value_kind:     global_buffer
      - .offset:         48
        .size:           8
        .value_kind:     by_value
      - .offset:         56
        .size:           8
        .value_kind:     by_value
      - .offset:         64
        .size:           4
        .value_kind:     by_value
      - .offset:         68
        .size:           4
        .value_kind:     by_value
      - .offset:         72
        .size:           4
        .value_kind:     hidden_block_count_x
      - .offset:         76
        .size:           4
        .value_kind:     hidden_block_count_y
      - .offset:         80
        .size:           4
        .value_kind:     hidden_block_count_z
      - .offset:         84
        .size:           2
        .value_kind:     hidden_group_size_x
      - .offset:         86
        .size:           2
        .value_kind:     hidden_group_size_y
      - .offset:         88
        .size:           2
        .value_kind:     hidden_group_size_z
      - .offset:         90
        .size:           2
        .value_kind:     hidden_remainder_x
      - .offset:         92
        .size:           2
        .value_kind:     hidden_remainder_y
      - .offset:         94
        .size:           2
        .value_kind:     hidden_remainder_z
      - .offset:         112
        .size:           8
        .value_kind:     hidden_global_offset_x
      - .offset:         120
        .size:           8
        .value_kind:     hidden_global_offset_y
      - .offset:         128
        .size:           8
        .value_kind:     hidden_global_offset_z
      - .offset:         136
        .size:           2
        .value_kind:     hidden_grid_dims
    .group_segment_fixed_size: 0
    .kernarg_segment_align: 8
    .kernarg_segment_size: 328
    .language:       OpenCL C
    .language_version:
      - 2
      - 0
    .max_flat_workgroup_size: 128
    .name:           _ZL18rocblas_trtri_fillILi128E19rocblas_complex_numIfEPS1_EvP15_rocblas_handle13rocblas_fill_ililT1_llii
    .private_segment_fixed_size: 0
    .sgpr_count:     32
    .sgpr_spill_count: 0
    .symbol:         _ZL18rocblas_trtri_fillILi128E19rocblas_complex_numIfEPS1_EvP15_rocblas_handle13rocblas_fill_ililT1_llii.kd
    .uniform_work_group_size: 1
    .uses_dynamic_stack: false
    .vgpr_count:     26
    .vgpr_spill_count: 0
    .wavefront_size: 64
  - .agpr_count:     0
    .args:
      - .offset:         0
        .size:           4
        .value_kind:     by_value
      - .offset:         4
        .size:           4
        .value_kind:     by_value
      - .offset:         8
        .size:           4
        .value_kind:     by_value
      - .address_space:  global
        .offset:         16
        .size:           8
        .value_kind:     global_buffer
      - .offset:         24
        .size:           4
        .value_kind:     by_value
      - .offset:         32
        .size:           8
        .value_kind:     by_value
      - .address_space:  global
        .offset:         40
        .size:           8
        .value_kind:     global_buffer
      - .offset:         48
        .size:           4
        .value_kind:     by_value
      - .offset:         56
        .size:           8
        .value_kind:     by_value
      - .offset:         64
        .size:           8
        .value_kind:     by_value
      - .offset:         72
        .size:           8
        .value_kind:     by_value
      - .offset:         80
        .size:           4
        .value_kind:     by_value
      - .offset:         88
        .size:           4
        .value_kind:     hidden_block_count_x
      - .offset:         92
        .size:           4
        .value_kind:     hidden_block_count_y
      - .offset:         96
        .size:           4
        .value_kind:     hidden_block_count_z
      - .offset:         100
        .size:           2
        .value_kind:     hidden_group_size_x
      - .offset:         102
        .size:           2
        .value_kind:     hidden_group_size_y
      - .offset:         104
        .size:           2
        .value_kind:     hidden_group_size_z
      - .offset:         106
        .size:           2
        .value_kind:     hidden_remainder_x
      - .offset:         108
        .size:           2
        .value_kind:     hidden_remainder_y
      - .offset:         110
        .size:           2
        .value_kind:     hidden_remainder_z
      - .offset:         128
        .size:           8
        .value_kind:     hidden_global_offset_x
      - .offset:         136
        .size:           8
        .value_kind:     hidden_global_offset_y
      - .offset:         144
        .size:           8
        .value_kind:     hidden_global_offset_z
      - .offset:         152
        .size:           2
        .value_kind:     hidden_grid_dims
    .group_segment_fixed_size: 0
    .kernarg_segment_align: 8
    .kernarg_segment_size: 344
    .language:       OpenCL C
    .language_version:
      - 2
      - 0
    .max_flat_workgroup_size: 1024
    .name:           _ZL24rocblas_copy_matrix_trsmILi128ELi8E19rocblas_complex_numIfEPKS1_PS1_EviiiT2_ilT3_illli
    .private_segment_fixed_size: 0
    .sgpr_count:     27
    .sgpr_spill_count: 0
    .symbol:         _ZL24rocblas_copy_matrix_trsmILi128ELi8E19rocblas_complex_numIfEPKS1_PS1_EviiiT2_ilT3_illli.kd
    .uniform_work_group_size: 1
    .uses_dynamic_stack: false
    .vgpr_count:     12
    .vgpr_spill_count: 0
    .wavefront_size: 64
  - .agpr_count:     0
    .args:
      - .offset:         0
        .size:           8
        .value_kind:     by_value
      - .offset:         8
        .size:           8
        .value_kind:     by_value
      - .offset:         16
        .size:           4
        .value_kind:     by_value
      - .address_space:  global
        .offset:         24
        .size:           8
        .value_kind:     global_buffer
      - .offset:         32
        .size:           8
        .value_kind:     by_value
      - .offset:         40
        .size:           8
        .value_kind:     by_value
      - .offset:         48
        .size:           16
        .value_kind:     by_value
      - .offset:         64
        .size:           8
        .value_kind:     by_value
      - .offset:         72
        .size:           4
        .value_kind:     by_value
    .group_segment_fixed_size: 0
    .kernarg_segment_align: 8
    .kernarg_segment_size: 76
    .language:       OpenCL C
    .language_version:
      - 2
      - 0
    .max_flat_workgroup_size: 1024
    .name:           _ZL23rocblas_set_matrix_trsmILi128ELi8E19rocblas_complex_numIdEPS1_EvlliT2_llT1_li
    .private_segment_fixed_size: 0
    .sgpr_count:     16
    .sgpr_spill_count: 0
    .symbol:         _ZL23rocblas_set_matrix_trsmILi128ELi8E19rocblas_complex_numIdEPS1_EvlliT2_llT1_li.kd
    .uniform_work_group_size: 1
    .uses_dynamic_stack: false
    .vgpr_count:     8
    .vgpr_spill_count: 0
    .wavefront_size: 64
  - .agpr_count:     0
    .args:
      - .offset:         0
        .size:           4
        .value_kind:     by_value
      - .offset:         4
        .size:           4
        .value_kind:     by_value
      - .offset:         8
        .size:           4
        .value_kind:     by_value
      - .offset:         12
        .size:           4
        .value_kind:     by_value
      - .offset:         16
        .size:           4
        .value_kind:     by_value
      - .offset:         24
        .size:           16
        .value_kind:     by_value
      - .address_space:  global
        .offset:         40
        .size:           8
        .value_kind:     global_buffer
      - .offset:         48
        .size:           8
        .value_kind:     by_value
      - .offset:         56
        .size:           4
        .value_kind:     by_value
      - .offset:         64
        .size:           8
        .value_kind:     by_value
      - .address_space:  global
        .offset:         72
        .size:           8
        .value_kind:     global_buffer
      - .offset:         80
        .size:           8
        .value_kind:     by_value
      - .offset:         88
        .size:           4
        .value_kind:     by_value
      - .offset:         96
        .size:           8
        .value_kind:     by_value
      - .offset:         104
        .size:           4
        .value_kind:     by_value
      - .offset:         112
        .size:           4
        .value_kind:     hidden_block_count_x
      - .offset:         116
        .size:           4
        .value_kind:     hidden_block_count_y
      - .offset:         120
        .size:           4
        .value_kind:     hidden_block_count_z
      - .offset:         124
        .size:           2
        .value_kind:     hidden_group_size_x
      - .offset:         126
        .size:           2
        .value_kind:     hidden_group_size_y
      - .offset:         128
        .size:           2
        .value_kind:     hidden_group_size_z
      - .offset:         130
        .size:           2
        .value_kind:     hidden_remainder_x
      - .offset:         132
        .size:           2
        .value_kind:     hidden_remainder_y
      - .offset:         134
        .size:           2
        .value_kind:     hidden_remainder_z
      - .offset:         152
        .size:           8
        .value_kind:     hidden_global_offset_x
      - .offset:         160
        .size:           8
        .value_kind:     hidden_global_offset_y
      - .offset:         168
        .size:           8
        .value_kind:     hidden_global_offset_z
      - .offset:         176
        .size:           2
        .value_kind:     hidden_grid_dims
    .group_segment_fixed_size: 768
    .kernarg_segment_align: 8
    .kernarg_segment_size: 368
    .language:       OpenCL C
    .language_version:
      - 2
      - 0
    .max_flat_workgroup_size: 4
    .name:           _ZL38rocblas_trsm_small_left_device_sharedBILi4ELi4ELb0E19rocblas_complex_numIdES1_PKS1_PS1_Ev13rocblas_fill_18rocblas_operation_17rocblas_diagonal_iiT3_T4_lilT5_lili
    .private_segment_fixed_size: 0
    .sgpr_count:     45
    .sgpr_spill_count: 0
    .symbol:         _ZL38rocblas_trsm_small_left_device_sharedBILi4ELi4ELb0E19rocblas_complex_numIdES1_PKS1_PS1_Ev13rocblas_fill_18rocblas_operation_17rocblas_diagonal_iiT3_T4_lilT5_lili.kd
    .uniform_work_group_size: 1
    .uses_dynamic_stack: false
    .vgpr_count:     24
    .vgpr_spill_count: 0
    .wavefront_size: 64
  - .agpr_count:     0
    .args:
      - .offset:         0
        .size:           4
        .value_kind:     by_value
      - .offset:         4
        .size:           4
        .value_kind:     by_value
      - .offset:         8
        .size:           4
        .value_kind:     by_value
      - .offset:         12
        .size:           4
        .value_kind:     by_value
      - .offset:         16
        .size:           4
        .value_kind:     by_value
      - .offset:         24
        .size:           16
        .value_kind:     by_value
      - .address_space:  global
        .offset:         40
        .size:           8
        .value_kind:     global_buffer
      - .offset:         48
        .size:           8
        .value_kind:     by_value
      - .offset:         56
        .size:           4
        .value_kind:     by_value
      - .offset:         64
        .size:           8
        .value_kind:     by_value
      - .address_space:  global
        .offset:         72
        .size:           8
        .value_kind:     global_buffer
      - .offset:         80
        .size:           8
        .value_kind:     by_value
      - .offset:         88
        .size:           4
        .value_kind:     by_value
      - .offset:         96
        .size:           8
        .value_kind:     by_value
      - .offset:         104
        .size:           4
        .value_kind:     by_value
      - .offset:         112
        .size:           4
        .value_kind:     hidden_block_count_x
      - .offset:         116
        .size:           4
        .value_kind:     hidden_block_count_y
      - .offset:         120
        .size:           4
        .value_kind:     hidden_block_count_z
      - .offset:         124
        .size:           2
        .value_kind:     hidden_group_size_x
      - .offset:         126
        .size:           2
        .value_kind:     hidden_group_size_y
      - .offset:         128
        .size:           2
        .value_kind:     hidden_group_size_z
      - .offset:         130
        .size:           2
        .value_kind:     hidden_remainder_x
      - .offset:         132
        .size:           2
        .value_kind:     hidden_remainder_y
      - .offset:         134
        .size:           2
        .value_kind:     hidden_remainder_z
      - .offset:         152
        .size:           8
        .value_kind:     hidden_global_offset_x
      - .offset:         160
        .size:           8
        .value_kind:     hidden_global_offset_y
      - .offset:         168
        .size:           8
        .value_kind:     hidden_global_offset_z
      - .offset:         176
        .size:           2
        .value_kind:     hidden_grid_dims
    .group_segment_fixed_size: 512
    .kernarg_segment_align: 8
    .kernarg_segment_size: 368
    .language:       OpenCL C
    .language_version:
      - 2
      - 0
    .max_flat_workgroup_size: 4
    .name:           _ZL30rocblas_trsm_small_left_deviceILi4ELi4ELb0E19rocblas_complex_numIdES1_PKS1_PS1_Ev13rocblas_fill_18rocblas_operation_17rocblas_diagonal_iiT3_T4_lilT5_lili
    .private_segment_fixed_size: 0
    .sgpr_count:     44
    .sgpr_spill_count: 0
    .symbol:         _ZL30rocblas_trsm_small_left_deviceILi4ELi4ELb0E19rocblas_complex_numIdES1_PKS1_PS1_Ev13rocblas_fill_18rocblas_operation_17rocblas_diagonal_iiT3_T4_lilT5_lili.kd
    .uniform_work_group_size: 1
    .uses_dynamic_stack: false
    .vgpr_count:     26
    .vgpr_spill_count: 0
    .wavefront_size: 64
  - .agpr_count:     0
    .args:
      - .offset:         0
        .size:           4
        .value_kind:     by_value
      - .offset:         4
        .size:           4
        .value_kind:     by_value
      - .offset:         8
        .size:           4
        .value_kind:     by_value
      - .offset:         12
        .size:           4
        .value_kind:     by_value
      - .offset:         16
        .size:           4
        .value_kind:     by_value
      - .offset:         24
        .size:           16
        .value_kind:     by_value
      - .address_space:  global
        .offset:         40
        .size:           8
        .value_kind:     global_buffer
      - .offset:         48
        .size:           8
        .value_kind:     by_value
      - .offset:         56
        .size:           4
        .value_kind:     by_value
      - .offset:         64
        .size:           8
        .value_kind:     by_value
      - .address_space:  global
        .offset:         72
        .size:           8
        .value_kind:     global_buffer
      - .offset:         80
        .size:           8
        .value_kind:     by_value
      - .offset:         88
        .size:           4
        .value_kind:     by_value
      - .offset:         96
        .size:           8
        .value_kind:     by_value
      - .offset:         104
        .size:           4
        .value_kind:     by_value
      - .offset:         112
        .size:           4
        .value_kind:     hidden_block_count_x
      - .offset:         116
        .size:           4
        .value_kind:     hidden_block_count_y
      - .offset:         120
        .size:           4
        .value_kind:     hidden_block_count_z
      - .offset:         124
        .size:           2
        .value_kind:     hidden_group_size_x
      - .offset:         126
        .size:           2
        .value_kind:     hidden_group_size_y
      - .offset:         128
        .size:           2
        .value_kind:     hidden_group_size_z
      - .offset:         130
        .size:           2
        .value_kind:     hidden_remainder_x
      - .offset:         132
        .size:           2
        .value_kind:     hidden_remainder_y
      - .offset:         134
        .size:           2
        .value_kind:     hidden_remainder_z
      - .offset:         152
        .size:           8
        .value_kind:     hidden_global_offset_x
      - .offset:         160
        .size:           8
        .value_kind:     hidden_global_offset_y
      - .offset:         168
        .size:           8
        .value_kind:     hidden_global_offset_z
      - .offset:         176
        .size:           2
        .value_kind:     hidden_grid_dims
    .group_segment_fixed_size: 768
    .kernarg_segment_align: 8
    .kernarg_segment_size: 368
    .language:       OpenCL C
    .language_version:
      - 2
      - 0
    .max_flat_workgroup_size: 4
    .name:           _ZL38rocblas_trsm_small_left_device_sharedBILi4ELi4ELb1E19rocblas_complex_numIdES1_PKS1_PS1_Ev13rocblas_fill_18rocblas_operation_17rocblas_diagonal_iiT3_T4_lilT5_lili
    .private_segment_fixed_size: 0
    .sgpr_count:     45
    .sgpr_spill_count: 0
    .symbol:         _ZL38rocblas_trsm_small_left_device_sharedBILi4ELi4ELb1E19rocblas_complex_numIdES1_PKS1_PS1_Ev13rocblas_fill_18rocblas_operation_17rocblas_diagonal_iiT3_T4_lilT5_lili.kd
    .uniform_work_group_size: 1
    .uses_dynamic_stack: false
    .vgpr_count:     24
    .vgpr_spill_count: 0
    .wavefront_size: 64
  - .agpr_count:     0
    .args:
      - .offset:         0
        .size:           4
        .value_kind:     by_value
      - .offset:         4
        .size:           4
        .value_kind:     by_value
      - .offset:         8
        .size:           4
        .value_kind:     by_value
      - .offset:         12
        .size:           4
        .value_kind:     by_value
      - .offset:         16
        .size:           4
        .value_kind:     by_value
      - .offset:         24
        .size:           16
        .value_kind:     by_value
      - .address_space:  global
        .offset:         40
        .size:           8
        .value_kind:     global_buffer
      - .offset:         48
        .size:           8
        .value_kind:     by_value
      - .offset:         56
        .size:           4
        .value_kind:     by_value
      - .offset:         64
        .size:           8
        .value_kind:     by_value
      - .address_space:  global
        .offset:         72
        .size:           8
        .value_kind:     global_buffer
      - .offset:         80
        .size:           8
        .value_kind:     by_value
      - .offset:         88
        .size:           4
        .value_kind:     by_value
      - .offset:         96
        .size:           8
        .value_kind:     by_value
      - .offset:         104
        .size:           4
        .value_kind:     by_value
      - .offset:         112
        .size:           4
        .value_kind:     hidden_block_count_x
      - .offset:         116
        .size:           4
        .value_kind:     hidden_block_count_y
      - .offset:         120
        .size:           4
        .value_kind:     hidden_block_count_z
      - .offset:         124
        .size:           2
        .value_kind:     hidden_group_size_x
      - .offset:         126
        .size:           2
        .value_kind:     hidden_group_size_y
      - .offset:         128
        .size:           2
        .value_kind:     hidden_group_size_z
      - .offset:         130
        .size:           2
        .value_kind:     hidden_remainder_x
      - .offset:         132
        .size:           2
        .value_kind:     hidden_remainder_y
      - .offset:         134
        .size:           2
        .value_kind:     hidden_remainder_z
      - .offset:         152
        .size:           8
        .value_kind:     hidden_global_offset_x
      - .offset:         160
        .size:           8
        .value_kind:     hidden_global_offset_y
      - .offset:         168
        .size:           8
        .value_kind:     hidden_global_offset_z
      - .offset:         176
        .size:           2
        .value_kind:     hidden_grid_dims
    .group_segment_fixed_size: 512
    .kernarg_segment_align: 8
    .kernarg_segment_size: 368
    .language:       OpenCL C
    .language_version:
      - 2
      - 0
    .max_flat_workgroup_size: 4
    .name:           _ZL30rocblas_trsm_small_left_deviceILi4ELi4ELb1E19rocblas_complex_numIdES1_PKS1_PS1_Ev13rocblas_fill_18rocblas_operation_17rocblas_diagonal_iiT3_T4_lilT5_lili
    .private_segment_fixed_size: 0
    .sgpr_count:     44
    .sgpr_spill_count: 0
    .symbol:         _ZL30rocblas_trsm_small_left_deviceILi4ELi4ELb1E19rocblas_complex_numIdES1_PKS1_PS1_Ev13rocblas_fill_18rocblas_operation_17rocblas_diagonal_iiT3_T4_lilT5_lili.kd
    .uniform_work_group_size: 1
    .uses_dynamic_stack: false
    .vgpr_count:     25
    .vgpr_spill_count: 0
    .wavefront_size: 64
  - .agpr_count:     0
    .args:
      - .offset:         0
        .size:           4
        .value_kind:     by_value
      - .offset:         4
        .size:           4
        .value_kind:     by_value
      - .offset:         8
        .size:           4
        .value_kind:     by_value
      - .offset:         12
        .size:           4
        .value_kind:     by_value
      - .offset:         16
        .size:           4
        .value_kind:     by_value
      - .offset:         24
        .size:           16
        .value_kind:     by_value
      - .address_space:  global
        .offset:         40
        .size:           8
        .value_kind:     global_buffer
      - .offset:         48
        .size:           8
        .value_kind:     by_value
      - .offset:         56
        .size:           4
        .value_kind:     by_value
      - .offset:         64
        .size:           8
        .value_kind:     by_value
      - .address_space:  global
        .offset:         72
        .size:           8
        .value_kind:     global_buffer
      - .offset:         80
        .size:           8
        .value_kind:     by_value
      - .offset:         88
        .size:           4
        .value_kind:     by_value
      - .offset:         96
        .size:           8
        .value_kind:     by_value
      - .offset:         104
        .size:           4
        .value_kind:     by_value
      - .offset:         112
        .size:           4
        .value_kind:     hidden_block_count_x
      - .offset:         116
        .size:           4
        .value_kind:     hidden_block_count_y
      - .offset:         120
        .size:           4
        .value_kind:     hidden_block_count_z
      - .offset:         124
        .size:           2
        .value_kind:     hidden_group_size_x
      - .offset:         126
        .size:           2
        .value_kind:     hidden_group_size_y
      - .offset:         128
        .size:           2
        .value_kind:     hidden_group_size_z
      - .offset:         130
        .size:           2
        .value_kind:     hidden_remainder_x
      - .offset:         132
        .size:           2
        .value_kind:     hidden_remainder_y
      - .offset:         134
        .size:           2
        .value_kind:     hidden_remainder_z
      - .offset:         152
        .size:           8
        .value_kind:     hidden_global_offset_x
      - .offset:         160
        .size:           8
        .value_kind:     hidden_global_offset_y
      - .offset:         168
        .size:           8
        .value_kind:     hidden_global_offset_z
      - .offset:         176
        .size:           2
        .value_kind:     hidden_grid_dims
    .group_segment_fixed_size: 512
    .kernarg_segment_align: 8
    .kernarg_segment_size: 368
    .language:       OpenCL C
    .language_version:
      - 2
      - 0
    .max_flat_workgroup_size: 4
    .name:           _ZL31rocblas_trsm_small_right_deviceI19rocblas_complex_numIdES1_PKS1_PS1_Li4EEv13rocblas_fill_18rocblas_operation_17rocblas_diagonal_iiT0_T1_lilT2_lili
    .private_segment_fixed_size: 0
    .sgpr_count:     43
    .sgpr_spill_count: 0
    .symbol:         _ZL31rocblas_trsm_small_right_deviceI19rocblas_complex_numIdES1_PKS1_PS1_Li4EEv13rocblas_fill_18rocblas_operation_17rocblas_diagonal_iiT0_T1_lilT2_lili.kd
    .uniform_work_group_size: 1
    .uses_dynamic_stack: false
    .vgpr_count:     38
    .vgpr_spill_count: 0
    .wavefront_size: 64
  - .agpr_count:     0
    .args:
      - .offset:         0
        .size:           4
        .value_kind:     by_value
      - .offset:         4
        .size:           4
        .value_kind:     by_value
      - .offset:         8
        .size:           4
        .value_kind:     by_value
      - .offset:         12
        .size:           4
        .value_kind:     by_value
      - .offset:         16
        .size:           4
        .value_kind:     by_value
      - .offset:         24
        .size:           16
        .value_kind:     by_value
      - .address_space:  global
        .offset:         40
        .size:           8
        .value_kind:     global_buffer
      - .offset:         48
        .size:           8
        .value_kind:     by_value
      - .offset:         56
        .size:           4
        .value_kind:     by_value
      - .offset:         64
        .size:           8
        .value_kind:     by_value
      - .address_space:  global
        .offset:         72
        .size:           8
        .value_kind:     global_buffer
      - .offset:         80
        .size:           8
        .value_kind:     by_value
      - .offset:         88
        .size:           4
        .value_kind:     by_value
      - .offset:         96
        .size:           8
        .value_kind:     by_value
      - .offset:         104
        .size:           4
        .value_kind:     by_value
      - .offset:         112
        .size:           4
        .value_kind:     hidden_block_count_x
      - .offset:         116
        .size:           4
        .value_kind:     hidden_block_count_y
      - .offset:         120
        .size:           4
        .value_kind:     hidden_block_count_z
      - .offset:         124
        .size:           2
        .value_kind:     hidden_group_size_x
      - .offset:         126
        .size:           2
        .value_kind:     hidden_group_size_y
      - .offset:         128
        .size:           2
        .value_kind:     hidden_group_size_z
      - .offset:         130
        .size:           2
        .value_kind:     hidden_remainder_x
      - .offset:         132
        .size:           2
        .value_kind:     hidden_remainder_y
      - .offset:         134
        .size:           2
        .value_kind:     hidden_remainder_z
      - .offset:         152
        .size:           8
        .value_kind:     hidden_global_offset_x
      - .offset:         160
        .size:           8
        .value_kind:     hidden_global_offset_y
      - .offset:         168
        .size:           8
        .value_kind:     hidden_global_offset_z
      - .offset:         176
        .size:           2
        .value_kind:     hidden_grid_dims
    .group_segment_fixed_size: 2048
    .kernarg_segment_align: 8
    .kernarg_segment_size: 368
    .language:       OpenCL C
    .language_version:
      - 2
      - 0
    .max_flat_workgroup_size: 8
    .name:           _ZL38rocblas_trsm_small_left_device_sharedBILi8ELi8ELb0E19rocblas_complex_numIdES1_PKS1_PS1_Ev13rocblas_fill_18rocblas_operation_17rocblas_diagonal_iiT3_T4_lilT5_lili
    .private_segment_fixed_size: 144
    .sgpr_count:     47
    .sgpr_spill_count: 0
    .symbol:         _ZL38rocblas_trsm_small_left_device_sharedBILi8ELi8ELb0E19rocblas_complex_numIdES1_PKS1_PS1_Ev13rocblas_fill_18rocblas_operation_17rocblas_diagonal_iiT3_T4_lilT5_lili.kd
    .uniform_work_group_size: 1
    .uses_dynamic_stack: false
    .vgpr_count:     23
    .vgpr_spill_count: 0
    .wavefront_size: 64
  - .agpr_count:     0
    .args:
      - .offset:         0
        .size:           4
        .value_kind:     by_value
      - .offset:         4
        .size:           4
        .value_kind:     by_value
      - .offset:         8
        .size:           4
        .value_kind:     by_value
      - .offset:         12
        .size:           4
        .value_kind:     by_value
      - .offset:         16
        .size:           4
        .value_kind:     by_value
      - .offset:         24
        .size:           16
        .value_kind:     by_value
      - .address_space:  global
        .offset:         40
        .size:           8
        .value_kind:     global_buffer
      - .offset:         48
        .size:           8
        .value_kind:     by_value
      - .offset:         56
        .size:           4
        .value_kind:     by_value
      - .offset:         64
        .size:           8
        .value_kind:     by_value
      - .address_space:  global
        .offset:         72
        .size:           8
        .value_kind:     global_buffer
      - .offset:         80
        .size:           8
        .value_kind:     by_value
      - .offset:         88
        .size:           4
        .value_kind:     by_value
      - .offset:         96
        .size:           8
        .value_kind:     by_value
      - .offset:         104
        .size:           4
        .value_kind:     by_value
      - .offset:         112
        .size:           4
        .value_kind:     hidden_block_count_x
      - .offset:         116
        .size:           4
        .value_kind:     hidden_block_count_y
      - .offset:         120
        .size:           4
        .value_kind:     hidden_block_count_z
      - .offset:         124
        .size:           2
        .value_kind:     hidden_group_size_x
      - .offset:         126
        .size:           2
        .value_kind:     hidden_group_size_y
      - .offset:         128
        .size:           2
        .value_kind:     hidden_group_size_z
      - .offset:         130
        .size:           2
        .value_kind:     hidden_remainder_x
      - .offset:         132
        .size:           2
        .value_kind:     hidden_remainder_y
      - .offset:         134
        .size:           2
        .value_kind:     hidden_remainder_z
      - .offset:         152
        .size:           8
        .value_kind:     hidden_global_offset_x
      - .offset:         160
        .size:           8
        .value_kind:     hidden_global_offset_y
      - .offset:         168
        .size:           8
        .value_kind:     hidden_global_offset_z
      - .offset:         176
        .size:           2
        .value_kind:     hidden_grid_dims
    .group_segment_fixed_size: 2048
    .kernarg_segment_align: 8
    .kernarg_segment_size: 368
    .language:       OpenCL C
    .language_version:
      - 2
      - 0
    .max_flat_workgroup_size: 8
    .name:           _ZL30rocblas_trsm_small_left_deviceILi8ELi8ELb0E19rocblas_complex_numIdES1_PKS1_PS1_Ev13rocblas_fill_18rocblas_operation_17rocblas_diagonal_iiT3_T4_lilT5_lili
    .private_segment_fixed_size: 0
    .sgpr_count:     44
    .sgpr_spill_count: 0
    .symbol:         _ZL30rocblas_trsm_small_left_deviceILi8ELi8ELb0E19rocblas_complex_numIdES1_PKS1_PS1_Ev13rocblas_fill_18rocblas_operation_17rocblas_diagonal_iiT3_T4_lilT5_lili.kd
    .uniform_work_group_size: 1
    .uses_dynamic_stack: false
    .vgpr_count:     26
    .vgpr_spill_count: 0
    .wavefront_size: 64
  - .agpr_count:     0
    .args:
      - .offset:         0
        .size:           4
        .value_kind:     by_value
      - .offset:         4
        .size:           4
        .value_kind:     by_value
      - .offset:         8
        .size:           4
        .value_kind:     by_value
      - .offset:         12
        .size:           4
        .value_kind:     by_value
      - .offset:         16
        .size:           4
        .value_kind:     by_value
      - .offset:         24
        .size:           16
        .value_kind:     by_value
      - .address_space:  global
        .offset:         40
        .size:           8
        .value_kind:     global_buffer
      - .offset:         48
        .size:           8
        .value_kind:     by_value
      - .offset:         56
        .size:           4
        .value_kind:     by_value
      - .offset:         64
        .size:           8
        .value_kind:     by_value
      - .address_space:  global
        .offset:         72
        .size:           8
        .value_kind:     global_buffer
      - .offset:         80
        .size:           8
        .value_kind:     by_value
      - .offset:         88
        .size:           4
        .value_kind:     by_value
      - .offset:         96
        .size:           8
        .value_kind:     by_value
      - .offset:         104
        .size:           4
        .value_kind:     by_value
      - .offset:         112
        .size:           4
        .value_kind:     hidden_block_count_x
      - .offset:         116
        .size:           4
        .value_kind:     hidden_block_count_y
      - .offset:         120
        .size:           4
        .value_kind:     hidden_block_count_z
      - .offset:         124
        .size:           2
        .value_kind:     hidden_group_size_x
      - .offset:         126
        .size:           2
        .value_kind:     hidden_group_size_y
      - .offset:         128
        .size:           2
        .value_kind:     hidden_group_size_z
      - .offset:         130
        .size:           2
        .value_kind:     hidden_remainder_x
      - .offset:         132
        .size:           2
        .value_kind:     hidden_remainder_y
      - .offset:         134
        .size:           2
        .value_kind:     hidden_remainder_z
      - .offset:         152
        .size:           8
        .value_kind:     hidden_global_offset_x
      - .offset:         160
        .size:           8
        .value_kind:     hidden_global_offset_y
      - .offset:         168
        .size:           8
        .value_kind:     hidden_global_offset_z
      - .offset:         176
        .size:           2
        .value_kind:     hidden_grid_dims
    .group_segment_fixed_size: 2048
    .kernarg_segment_align: 8
    .kernarg_segment_size: 368
    .language:       OpenCL C
    .language_version:
      - 2
      - 0
    .max_flat_workgroup_size: 8
    .name:           _ZL38rocblas_trsm_small_left_device_sharedBILi8ELi8ELb1E19rocblas_complex_numIdES1_PKS1_PS1_Ev13rocblas_fill_18rocblas_operation_17rocblas_diagonal_iiT3_T4_lilT5_lili
    .private_segment_fixed_size: 144
    .sgpr_count:     47
    .sgpr_spill_count: 0
    .symbol:         _ZL38rocblas_trsm_small_left_device_sharedBILi8ELi8ELb1E19rocblas_complex_numIdES1_PKS1_PS1_Ev13rocblas_fill_18rocblas_operation_17rocblas_diagonal_iiT3_T4_lilT5_lili.kd
    .uniform_work_group_size: 1
    .uses_dynamic_stack: false
    .vgpr_count:     23
    .vgpr_spill_count: 0
    .wavefront_size: 64
  - .agpr_count:     0
    .args:
      - .offset:         0
        .size:           4
        .value_kind:     by_value
      - .offset:         4
        .size:           4
        .value_kind:     by_value
      - .offset:         8
        .size:           4
        .value_kind:     by_value
      - .offset:         12
        .size:           4
        .value_kind:     by_value
      - .offset:         16
        .size:           4
        .value_kind:     by_value
      - .offset:         24
        .size:           16
        .value_kind:     by_value
      - .address_space:  global
        .offset:         40
        .size:           8
        .value_kind:     global_buffer
      - .offset:         48
        .size:           8
        .value_kind:     by_value
      - .offset:         56
        .size:           4
        .value_kind:     by_value
      - .offset:         64
        .size:           8
        .value_kind:     by_value
      - .address_space:  global
        .offset:         72
        .size:           8
        .value_kind:     global_buffer
      - .offset:         80
        .size:           8
        .value_kind:     by_value
      - .offset:         88
        .size:           4
        .value_kind:     by_value
      - .offset:         96
        .size:           8
        .value_kind:     by_value
      - .offset:         104
        .size:           4
        .value_kind:     by_value
      - .offset:         112
        .size:           4
        .value_kind:     hidden_block_count_x
      - .offset:         116
        .size:           4
        .value_kind:     hidden_block_count_y
      - .offset:         120
        .size:           4
        .value_kind:     hidden_block_count_z
      - .offset:         124
        .size:           2
        .value_kind:     hidden_group_size_x
      - .offset:         126
        .size:           2
        .value_kind:     hidden_group_size_y
      - .offset:         128
        .size:           2
        .value_kind:     hidden_group_size_z
      - .offset:         130
        .size:           2
        .value_kind:     hidden_remainder_x
      - .offset:         132
        .size:           2
        .value_kind:     hidden_remainder_y
      - .offset:         134
        .size:           2
        .value_kind:     hidden_remainder_z
      - .offset:         152
        .size:           8
        .value_kind:     hidden_global_offset_x
      - .offset:         160
        .size:           8
        .value_kind:     hidden_global_offset_y
      - .offset:         168
        .size:           8
        .value_kind:     hidden_global_offset_z
      - .offset:         176
        .size:           2
        .value_kind:     hidden_grid_dims
    .group_segment_fixed_size: 2048
    .kernarg_segment_align: 8
    .kernarg_segment_size: 368
    .language:       OpenCL C
    .language_version:
      - 2
      - 0
    .max_flat_workgroup_size: 8
    .name:           _ZL30rocblas_trsm_small_left_deviceILi8ELi8ELb1E19rocblas_complex_numIdES1_PKS1_PS1_Ev13rocblas_fill_18rocblas_operation_17rocblas_diagonal_iiT3_T4_lilT5_lili
    .private_segment_fixed_size: 0
    .sgpr_count:     44
    .sgpr_spill_count: 0
    .symbol:         _ZL30rocblas_trsm_small_left_deviceILi8ELi8ELb1E19rocblas_complex_numIdES1_PKS1_PS1_Ev13rocblas_fill_18rocblas_operation_17rocblas_diagonal_iiT3_T4_lilT5_lili.kd
    .uniform_work_group_size: 1
    .uses_dynamic_stack: false
    .vgpr_count:     25
    .vgpr_spill_count: 0
    .wavefront_size: 64
  - .agpr_count:     0
    .args:
      - .offset:         0
        .size:           4
        .value_kind:     by_value
      - .offset:         4
        .size:           4
        .value_kind:     by_value
      - .offset:         8
        .size:           4
        .value_kind:     by_value
      - .offset:         12
        .size:           4
        .value_kind:     by_value
      - .offset:         16
        .size:           4
        .value_kind:     by_value
      - .offset:         24
        .size:           16
        .value_kind:     by_value
      - .address_space:  global
        .offset:         40
        .size:           8
        .value_kind:     global_buffer
      - .offset:         48
        .size:           8
        .value_kind:     by_value
      - .offset:         56
        .size:           4
        .value_kind:     by_value
      - .offset:         64
        .size:           8
        .value_kind:     by_value
      - .address_space:  global
        .offset:         72
        .size:           8
        .value_kind:     global_buffer
      - .offset:         80
        .size:           8
        .value_kind:     by_value
      - .offset:         88
        .size:           4
        .value_kind:     by_value
      - .offset:         96
        .size:           8
        .value_kind:     by_value
      - .offset:         104
        .size:           4
        .value_kind:     by_value
      - .offset:         112
        .size:           4
        .value_kind:     hidden_block_count_x
      - .offset:         116
        .size:           4
        .value_kind:     hidden_block_count_y
      - .offset:         120
        .size:           4
        .value_kind:     hidden_block_count_z
      - .offset:         124
        .size:           2
        .value_kind:     hidden_group_size_x
      - .offset:         126
        .size:           2
        .value_kind:     hidden_group_size_y
      - .offset:         128
        .size:           2
        .value_kind:     hidden_group_size_z
      - .offset:         130
        .size:           2
        .value_kind:     hidden_remainder_x
      - .offset:         132
        .size:           2
        .value_kind:     hidden_remainder_y
      - .offset:         134
        .size:           2
        .value_kind:     hidden_remainder_z
      - .offset:         152
        .size:           8
        .value_kind:     hidden_global_offset_x
      - .offset:         160
        .size:           8
        .value_kind:     hidden_global_offset_y
      - .offset:         168
        .size:           8
        .value_kind:     hidden_global_offset_z
      - .offset:         176
        .size:           2
        .value_kind:     hidden_grid_dims
    .group_segment_fixed_size: 2048
    .kernarg_segment_align: 8
    .kernarg_segment_size: 368
    .language:       OpenCL C
    .language_version:
      - 2
      - 0
    .max_flat_workgroup_size: 8
    .name:           _ZL31rocblas_trsm_small_right_deviceI19rocblas_complex_numIdES1_PKS1_PS1_Li8EEv13rocblas_fill_18rocblas_operation_17rocblas_diagonal_iiT0_T1_lilT2_lili
    .private_segment_fixed_size: 0
    .sgpr_count:     43
    .sgpr_spill_count: 0
    .symbol:         _ZL31rocblas_trsm_small_right_deviceI19rocblas_complex_numIdES1_PKS1_PS1_Li8EEv13rocblas_fill_18rocblas_operation_17rocblas_diagonal_iiT0_T1_lilT2_lili.kd
    .uniform_work_group_size: 1
    .uses_dynamic_stack: false
    .vgpr_count:     62
    .vgpr_spill_count: 0
    .wavefront_size: 64
  - .agpr_count:     0
    .args:
      - .offset:         0
        .size:           4
        .value_kind:     by_value
      - .offset:         4
        .size:           4
        .value_kind:     by_value
      - .offset:         8
        .size:           4
        .value_kind:     by_value
      - .offset:         12
        .size:           4
        .value_kind:     by_value
      - .offset:         16
        .size:           4
        .value_kind:     by_value
      - .offset:         24
        .size:           16
        .value_kind:     by_value
      - .address_space:  global
        .offset:         40
        .size:           8
        .value_kind:     global_buffer
      - .offset:         48
        .size:           8
        .value_kind:     by_value
      - .offset:         56
        .size:           4
        .value_kind:     by_value
      - .offset:         64
        .size:           8
        .value_kind:     by_value
      - .address_space:  global
        .offset:         72
        .size:           8
        .value_kind:     global_buffer
      - .offset:         80
        .size:           8
        .value_kind:     by_value
      - .offset:         88
        .size:           4
        .value_kind:     by_value
      - .offset:         96
        .size:           8
        .value_kind:     by_value
      - .offset:         104
        .size:           4
        .value_kind:     by_value
      - .offset:         112
        .size:           4
        .value_kind:     hidden_block_count_x
      - .offset:         116
        .size:           4
        .value_kind:     hidden_block_count_y
      - .offset:         120
        .size:           4
        .value_kind:     hidden_block_count_z
      - .offset:         124
        .size:           2
        .value_kind:     hidden_group_size_x
      - .offset:         126
        .size:           2
        .value_kind:     hidden_group_size_y
      - .offset:         128
        .size:           2
        .value_kind:     hidden_group_size_z
      - .offset:         130
        .size:           2
        .value_kind:     hidden_remainder_x
      - .offset:         132
        .size:           2
        .value_kind:     hidden_remainder_y
      - .offset:         134
        .size:           2
        .value_kind:     hidden_remainder_z
      - .offset:         152
        .size:           8
        .value_kind:     hidden_global_offset_x
      - .offset:         160
        .size:           8
        .value_kind:     hidden_global_offset_y
      - .offset:         168
        .size:           8
        .value_kind:     hidden_global_offset_z
      - .offset:         176
        .size:           2
        .value_kind:     hidden_grid_dims
    .group_segment_fixed_size: 4608
    .kernarg_segment_align: 8
    .kernarg_segment_size: 368
    .language:       OpenCL C
    .language_version:
      - 2
      - 0
    .max_flat_workgroup_size: 12
    .name:           _ZL38rocblas_trsm_small_left_device_sharedBILi12ELi12ELb0E19rocblas_complex_numIdES1_PKS1_PS1_Ev13rocblas_fill_18rocblas_operation_17rocblas_diagonal_iiT3_T4_lilT5_lili
    .private_segment_fixed_size: 208
    .sgpr_count:     47
    .sgpr_spill_count: 0
    .symbol:         _ZL38rocblas_trsm_small_left_device_sharedBILi12ELi12ELb0E19rocblas_complex_numIdES1_PKS1_PS1_Ev13rocblas_fill_18rocblas_operation_17rocblas_diagonal_iiT3_T4_lilT5_lili.kd
    .uniform_work_group_size: 1
    .uses_dynamic_stack: false
    .vgpr_count:     54
    .vgpr_spill_count: 0
    .wavefront_size: 64
  - .agpr_count:     0
    .args:
      - .offset:         0
        .size:           4
        .value_kind:     by_value
      - .offset:         4
        .size:           4
        .value_kind:     by_value
      - .offset:         8
        .size:           4
        .value_kind:     by_value
      - .offset:         12
        .size:           4
        .value_kind:     by_value
      - .offset:         16
        .size:           4
        .value_kind:     by_value
      - .offset:         24
        .size:           16
        .value_kind:     by_value
      - .address_space:  global
        .offset:         40
        .size:           8
        .value_kind:     global_buffer
      - .offset:         48
        .size:           8
        .value_kind:     by_value
      - .offset:         56
        .size:           4
        .value_kind:     by_value
      - .offset:         64
        .size:           8
        .value_kind:     by_value
      - .address_space:  global
        .offset:         72
        .size:           8
        .value_kind:     global_buffer
      - .offset:         80
        .size:           8
        .value_kind:     by_value
      - .offset:         88
        .size:           4
        .value_kind:     by_value
      - .offset:         96
        .size:           8
        .value_kind:     by_value
      - .offset:         104
        .size:           4
        .value_kind:     by_value
      - .offset:         112
        .size:           4
        .value_kind:     hidden_block_count_x
      - .offset:         116
        .size:           4
        .value_kind:     hidden_block_count_y
      - .offset:         120
        .size:           4
        .value_kind:     hidden_block_count_z
      - .offset:         124
        .size:           2
        .value_kind:     hidden_group_size_x
      - .offset:         126
        .size:           2
        .value_kind:     hidden_group_size_y
      - .offset:         128
        .size:           2
        .value_kind:     hidden_group_size_z
      - .offset:         130
        .size:           2
        .value_kind:     hidden_remainder_x
      - .offset:         132
        .size:           2
        .value_kind:     hidden_remainder_y
      - .offset:         134
        .size:           2
        .value_kind:     hidden_remainder_z
      - .offset:         152
        .size:           8
        .value_kind:     hidden_global_offset_x
      - .offset:         160
        .size:           8
        .value_kind:     hidden_global_offset_y
      - .offset:         168
        .size:           8
        .value_kind:     hidden_global_offset_z
      - .offset:         176
        .size:           2
        .value_kind:     hidden_grid_dims
    .group_segment_fixed_size: 2304
    .kernarg_segment_align: 8
    .kernarg_segment_size: 368
    .language:       OpenCL C
    .language_version:
      - 2
      - 0
    .max_flat_workgroup_size: 12
    .name:           _ZL30rocblas_trsm_small_left_deviceILi12ELi12ELb0E19rocblas_complex_numIdES1_PKS1_PS1_Ev13rocblas_fill_18rocblas_operation_17rocblas_diagonal_iiT3_T4_lilT5_lili
    .private_segment_fixed_size: 208
    .sgpr_count:     46
    .sgpr_spill_count: 0
    .symbol:         _ZL30rocblas_trsm_small_left_deviceILi12ELi12ELb0E19rocblas_complex_numIdES1_PKS1_PS1_Ev13rocblas_fill_18rocblas_operation_17rocblas_diagonal_iiT3_T4_lilT5_lili.kd
    .uniform_work_group_size: 1
    .uses_dynamic_stack: false
    .vgpr_count:     26
    .vgpr_spill_count: 0
    .wavefront_size: 64
  - .agpr_count:     0
    .args:
      - .offset:         0
        .size:           4
        .value_kind:     by_value
      - .offset:         4
        .size:           4
        .value_kind:     by_value
      - .offset:         8
        .size:           4
        .value_kind:     by_value
      - .offset:         12
        .size:           4
        .value_kind:     by_value
      - .offset:         16
        .size:           4
        .value_kind:     by_value
      - .offset:         24
        .size:           16
        .value_kind:     by_value
      - .address_space:  global
        .offset:         40
        .size:           8
        .value_kind:     global_buffer
      - .offset:         48
        .size:           8
        .value_kind:     by_value
      - .offset:         56
        .size:           4
        .value_kind:     by_value
      - .offset:         64
        .size:           8
        .value_kind:     by_value
      - .address_space:  global
        .offset:         72
        .size:           8
        .value_kind:     global_buffer
      - .offset:         80
        .size:           8
        .value_kind:     by_value
      - .offset:         88
        .size:           4
        .value_kind:     by_value
      - .offset:         96
        .size:           8
        .value_kind:     by_value
      - .offset:         104
        .size:           4
        .value_kind:     by_value
      - .offset:         112
        .size:           4
        .value_kind:     hidden_block_count_x
      - .offset:         116
        .size:           4
        .value_kind:     hidden_block_count_y
      - .offset:         120
        .size:           4
        .value_kind:     hidden_block_count_z
      - .offset:         124
        .size:           2
        .value_kind:     hidden_group_size_x
      - .offset:         126
        .size:           2
        .value_kind:     hidden_group_size_y
      - .offset:         128
        .size:           2
        .value_kind:     hidden_group_size_z
      - .offset:         130
        .size:           2
        .value_kind:     hidden_remainder_x
      - .offset:         132
        .size:           2
        .value_kind:     hidden_remainder_y
      - .offset:         134
        .size:           2
        .value_kind:     hidden_remainder_z
      - .offset:         152
        .size:           8
        .value_kind:     hidden_global_offset_x
      - .offset:         160
        .size:           8
        .value_kind:     hidden_global_offset_y
      - .offset:         168
        .size:           8
        .value_kind:     hidden_global_offset_z
      - .offset:         176
        .size:           2
        .value_kind:     hidden_grid_dims
    .group_segment_fixed_size: 4608
    .kernarg_segment_align: 8
    .kernarg_segment_size: 368
    .language:       OpenCL C
    .language_version:
      - 2
      - 0
    .max_flat_workgroup_size: 12
    .name:           _ZL38rocblas_trsm_small_left_device_sharedBILi12ELi12ELb1E19rocblas_complex_numIdES1_PKS1_PS1_Ev13rocblas_fill_18rocblas_operation_17rocblas_diagonal_iiT3_T4_lilT5_lili
    .private_segment_fixed_size: 208
    .sgpr_count:     47
    .sgpr_spill_count: 0
    .symbol:         _ZL38rocblas_trsm_small_left_device_sharedBILi12ELi12ELb1E19rocblas_complex_numIdES1_PKS1_PS1_Ev13rocblas_fill_18rocblas_operation_17rocblas_diagonal_iiT3_T4_lilT5_lili.kd
    .uniform_work_group_size: 1
    .uses_dynamic_stack: false
    .vgpr_count:     54
    .vgpr_spill_count: 0
    .wavefront_size: 64
  - .agpr_count:     0
    .args:
      - .offset:         0
        .size:           4
        .value_kind:     by_value
      - .offset:         4
        .size:           4
        .value_kind:     by_value
      - .offset:         8
        .size:           4
        .value_kind:     by_value
      - .offset:         12
        .size:           4
        .value_kind:     by_value
      - .offset:         16
        .size:           4
        .value_kind:     by_value
      - .offset:         24
        .size:           16
        .value_kind:     by_value
      - .address_space:  global
        .offset:         40
        .size:           8
        .value_kind:     global_buffer
      - .offset:         48
        .size:           8
        .value_kind:     by_value
      - .offset:         56
        .size:           4
        .value_kind:     by_value
      - .offset:         64
        .size:           8
        .value_kind:     by_value
      - .address_space:  global
        .offset:         72
        .size:           8
        .value_kind:     global_buffer
      - .offset:         80
        .size:           8
        .value_kind:     by_value
      - .offset:         88
        .size:           4
        .value_kind:     by_value
      - .offset:         96
        .size:           8
        .value_kind:     by_value
      - .offset:         104
        .size:           4
        .value_kind:     by_value
      - .offset:         112
        .size:           4
        .value_kind:     hidden_block_count_x
      - .offset:         116
        .size:           4
        .value_kind:     hidden_block_count_y
      - .offset:         120
        .size:           4
        .value_kind:     hidden_block_count_z
      - .offset:         124
        .size:           2
        .value_kind:     hidden_group_size_x
      - .offset:         126
        .size:           2
        .value_kind:     hidden_group_size_y
      - .offset:         128
        .size:           2
        .value_kind:     hidden_group_size_z
      - .offset:         130
        .size:           2
        .value_kind:     hidden_remainder_x
      - .offset:         132
        .size:           2
        .value_kind:     hidden_remainder_y
      - .offset:         134
        .size:           2
        .value_kind:     hidden_remainder_z
      - .offset:         152
        .size:           8
        .value_kind:     hidden_global_offset_x
      - .offset:         160
        .size:           8
        .value_kind:     hidden_global_offset_y
      - .offset:         168
        .size:           8
        .value_kind:     hidden_global_offset_z
      - .offset:         176
        .size:           2
        .value_kind:     hidden_grid_dims
    .group_segment_fixed_size: 2304
    .kernarg_segment_align: 8
    .kernarg_segment_size: 368
    .language:       OpenCL C
    .language_version:
      - 2
      - 0
    .max_flat_workgroup_size: 12
    .name:           _ZL30rocblas_trsm_small_left_deviceILi12ELi12ELb1E19rocblas_complex_numIdES1_PKS1_PS1_Ev13rocblas_fill_18rocblas_operation_17rocblas_diagonal_iiT3_T4_lilT5_lili
    .private_segment_fixed_size: 208
    .sgpr_count:     46
    .sgpr_spill_count: 0
    .symbol:         _ZL30rocblas_trsm_small_left_deviceILi12ELi12ELb1E19rocblas_complex_numIdES1_PKS1_PS1_Ev13rocblas_fill_18rocblas_operation_17rocblas_diagonal_iiT3_T4_lilT5_lili.kd
    .uniform_work_group_size: 1
    .uses_dynamic_stack: false
    .vgpr_count:     24
    .vgpr_spill_count: 0
    .wavefront_size: 64
  - .agpr_count:     0
    .args:
      - .offset:         0
        .size:           4
        .value_kind:     by_value
      - .offset:         4
        .size:           4
        .value_kind:     by_value
      - .offset:         8
        .size:           4
        .value_kind:     by_value
      - .offset:         12
        .size:           4
        .value_kind:     by_value
      - .offset:         16
        .size:           4
        .value_kind:     by_value
      - .offset:         24
        .size:           16
        .value_kind:     by_value
      - .address_space:  global
        .offset:         40
        .size:           8
        .value_kind:     global_buffer
      - .offset:         48
        .size:           8
        .value_kind:     by_value
      - .offset:         56
        .size:           4
        .value_kind:     by_value
      - .offset:         64
        .size:           8
        .value_kind:     by_value
      - .address_space:  global
        .offset:         72
        .size:           8
        .value_kind:     global_buffer
      - .offset:         80
        .size:           8
        .value_kind:     by_value
      - .offset:         88
        .size:           4
        .value_kind:     by_value
      - .offset:         96
        .size:           8
        .value_kind:     by_value
      - .offset:         104
        .size:           4
        .value_kind:     by_value
      - .offset:         112
        .size:           4
        .value_kind:     hidden_block_count_x
      - .offset:         116
        .size:           4
        .value_kind:     hidden_block_count_y
      - .offset:         120
        .size:           4
        .value_kind:     hidden_block_count_z
      - .offset:         124
        .size:           2
        .value_kind:     hidden_group_size_x
      - .offset:         126
        .size:           2
        .value_kind:     hidden_group_size_y
      - .offset:         128
        .size:           2
        .value_kind:     hidden_group_size_z
      - .offset:         130
        .size:           2
        .value_kind:     hidden_remainder_x
      - .offset:         132
        .size:           2
        .value_kind:     hidden_remainder_y
      - .offset:         134
        .size:           2
        .value_kind:     hidden_remainder_z
      - .offset:         152
        .size:           8
        .value_kind:     hidden_global_offset_x
      - .offset:         160
        .size:           8
        .value_kind:     hidden_global_offset_y
      - .offset:         168
        .size:           8
        .value_kind:     hidden_global_offset_z
      - .offset:         176
        .size:           2
        .value_kind:     hidden_grid_dims
    .group_segment_fixed_size: 4608
    .kernarg_segment_align: 8
    .kernarg_segment_size: 368
    .language:       OpenCL C
    .language_version:
      - 2
      - 0
    .max_flat_workgroup_size: 12
    .name:           _ZL31rocblas_trsm_small_right_deviceI19rocblas_complex_numIdES1_PKS1_PS1_Li12EEv13rocblas_fill_18rocblas_operation_17rocblas_diagonal_iiT0_T1_lilT2_lili
    .private_segment_fixed_size: 0
    .sgpr_count:     43
    .sgpr_spill_count: 0
    .symbol:         _ZL31rocblas_trsm_small_right_deviceI19rocblas_complex_numIdES1_PKS1_PS1_Li12EEv13rocblas_fill_18rocblas_operation_17rocblas_diagonal_iiT0_T1_lilT2_lili.kd
    .uniform_work_group_size: 1
    .uses_dynamic_stack: false
    .vgpr_count:     88
    .vgpr_spill_count: 0
    .wavefront_size: 64
  - .agpr_count:     0
    .args:
      - .offset:         0
        .size:           4
        .value_kind:     by_value
      - .offset:         4
        .size:           4
        .value_kind:     by_value
      - .offset:         8
        .size:           4
        .value_kind:     by_value
      - .offset:         12
        .size:           4
        .value_kind:     by_value
      - .offset:         16
        .size:           4
        .value_kind:     by_value
      - .offset:         24
        .size:           16
        .value_kind:     by_value
      - .address_space:  global
        .offset:         40
        .size:           8
        .value_kind:     global_buffer
      - .offset:         48
        .size:           8
        .value_kind:     by_value
      - .offset:         56
        .size:           4
        .value_kind:     by_value
      - .offset:         64
        .size:           8
        .value_kind:     by_value
      - .address_space:  global
        .offset:         72
        .size:           8
        .value_kind:     global_buffer
      - .offset:         80
        .size:           8
        .value_kind:     by_value
      - .offset:         88
        .size:           4
        .value_kind:     by_value
      - .offset:         96
        .size:           8
        .value_kind:     by_value
      - .offset:         104
        .size:           4
        .value_kind:     by_value
      - .offset:         112
        .size:           4
        .value_kind:     hidden_block_count_x
      - .offset:         116
        .size:           4
        .value_kind:     hidden_block_count_y
      - .offset:         120
        .size:           4
        .value_kind:     hidden_block_count_z
      - .offset:         124
        .size:           2
        .value_kind:     hidden_group_size_x
      - .offset:         126
        .size:           2
        .value_kind:     hidden_group_size_y
      - .offset:         128
        .size:           2
        .value_kind:     hidden_group_size_z
      - .offset:         130
        .size:           2
        .value_kind:     hidden_remainder_x
      - .offset:         132
        .size:           2
        .value_kind:     hidden_remainder_y
      - .offset:         134
        .size:           2
        .value_kind:     hidden_remainder_z
      - .offset:         152
        .size:           8
        .value_kind:     hidden_global_offset_x
      - .offset:         160
        .size:           8
        .value_kind:     hidden_global_offset_y
      - .offset:         168
        .size:           8
        .value_kind:     hidden_global_offset_z
      - .offset:         176
        .size:           2
        .value_kind:     hidden_grid_dims
    .group_segment_fixed_size: 8192
    .kernarg_segment_align: 8
    .kernarg_segment_size: 368
    .language:       OpenCL C
    .language_version:
      - 2
      - 0
    .max_flat_workgroup_size: 16
    .name:           _ZL38rocblas_trsm_small_left_device_sharedBILi16ELi16ELb0E19rocblas_complex_numIdES1_PKS1_PS1_Ev13rocblas_fill_18rocblas_operation_17rocblas_diagonal_iiT3_T4_lilT5_lili
    .private_segment_fixed_size: 272
    .sgpr_count:     47
    .sgpr_spill_count: 0
    .symbol:         _ZL38rocblas_trsm_small_left_device_sharedBILi16ELi16ELb0E19rocblas_complex_numIdES1_PKS1_PS1_Ev13rocblas_fill_18rocblas_operation_17rocblas_diagonal_iiT3_T4_lilT5_lili.kd
    .uniform_work_group_size: 1
    .uses_dynamic_stack: false
    .vgpr_count:     54
    .vgpr_spill_count: 0
    .wavefront_size: 64
  - .agpr_count:     0
    .args:
      - .offset:         0
        .size:           4
        .value_kind:     by_value
      - .offset:         4
        .size:           4
        .value_kind:     by_value
      - .offset:         8
        .size:           4
        .value_kind:     by_value
      - .offset:         12
        .size:           4
        .value_kind:     by_value
      - .offset:         16
        .size:           4
        .value_kind:     by_value
      - .offset:         24
        .size:           16
        .value_kind:     by_value
      - .address_space:  global
        .offset:         40
        .size:           8
        .value_kind:     global_buffer
      - .offset:         48
        .size:           8
        .value_kind:     by_value
      - .offset:         56
        .size:           4
        .value_kind:     by_value
      - .offset:         64
        .size:           8
        .value_kind:     by_value
      - .address_space:  global
        .offset:         72
        .size:           8
        .value_kind:     global_buffer
      - .offset:         80
        .size:           8
        .value_kind:     by_value
      - .offset:         88
        .size:           4
        .value_kind:     by_value
      - .offset:         96
        .size:           8
        .value_kind:     by_value
      - .offset:         104
        .size:           4
        .value_kind:     by_value
      - .offset:         112
        .size:           4
        .value_kind:     hidden_block_count_x
      - .offset:         116
        .size:           4
        .value_kind:     hidden_block_count_y
      - .offset:         120
        .size:           4
        .value_kind:     hidden_block_count_z
      - .offset:         124
        .size:           2
        .value_kind:     hidden_group_size_x
      - .offset:         126
        .size:           2
        .value_kind:     hidden_group_size_y
      - .offset:         128
        .size:           2
        .value_kind:     hidden_group_size_z
      - .offset:         130
        .size:           2
        .value_kind:     hidden_remainder_x
      - .offset:         132
        .size:           2
        .value_kind:     hidden_remainder_y
      - .offset:         134
        .size:           2
        .value_kind:     hidden_remainder_z
      - .offset:         152
        .size:           8
        .value_kind:     hidden_global_offset_x
      - .offset:         160
        .size:           8
        .value_kind:     hidden_global_offset_y
      - .offset:         168
        .size:           8
        .value_kind:     hidden_global_offset_z
      - .offset:         176
        .size:           2
        .value_kind:     hidden_grid_dims
    .group_segment_fixed_size: 4096
    .kernarg_segment_align: 8
    .kernarg_segment_size: 368
    .language:       OpenCL C
    .language_version:
      - 2
      - 0
    .max_flat_workgroup_size: 16
    .name:           _ZL30rocblas_trsm_small_left_deviceILi16ELi16ELb0E19rocblas_complex_numIdES1_PKS1_PS1_Ev13rocblas_fill_18rocblas_operation_17rocblas_diagonal_iiT3_T4_lilT5_lili
    .private_segment_fixed_size: 272
    .sgpr_count:     46
    .sgpr_spill_count: 0
    .symbol:         _ZL30rocblas_trsm_small_left_deviceILi16ELi16ELb0E19rocblas_complex_numIdES1_PKS1_PS1_Ev13rocblas_fill_18rocblas_operation_17rocblas_diagonal_iiT3_T4_lilT5_lili.kd
    .uniform_work_group_size: 1
    .uses_dynamic_stack: false
    .vgpr_count:     26
    .vgpr_spill_count: 0
    .wavefront_size: 64
  - .agpr_count:     0
    .args:
      - .offset:         0
        .size:           4
        .value_kind:     by_value
      - .offset:         4
        .size:           4
        .value_kind:     by_value
      - .offset:         8
        .size:           4
        .value_kind:     by_value
      - .offset:         12
        .size:           4
        .value_kind:     by_value
      - .offset:         16
        .size:           4
        .value_kind:     by_value
      - .offset:         24
        .size:           16
        .value_kind:     by_value
      - .address_space:  global
        .offset:         40
        .size:           8
        .value_kind:     global_buffer
      - .offset:         48
        .size:           8
        .value_kind:     by_value
      - .offset:         56
        .size:           4
        .value_kind:     by_value
      - .offset:         64
        .size:           8
        .value_kind:     by_value
      - .address_space:  global
        .offset:         72
        .size:           8
        .value_kind:     global_buffer
      - .offset:         80
        .size:           8
        .value_kind:     by_value
      - .offset:         88
        .size:           4
        .value_kind:     by_value
      - .offset:         96
        .size:           8
        .value_kind:     by_value
      - .offset:         104
        .size:           4
        .value_kind:     by_value
      - .offset:         112
        .size:           4
        .value_kind:     hidden_block_count_x
      - .offset:         116
        .size:           4
        .value_kind:     hidden_block_count_y
      - .offset:         120
        .size:           4
        .value_kind:     hidden_block_count_z
      - .offset:         124
        .size:           2
        .value_kind:     hidden_group_size_x
      - .offset:         126
        .size:           2
        .value_kind:     hidden_group_size_y
      - .offset:         128
        .size:           2
        .value_kind:     hidden_group_size_z
      - .offset:         130
        .size:           2
        .value_kind:     hidden_remainder_x
      - .offset:         132
        .size:           2
        .value_kind:     hidden_remainder_y
      - .offset:         134
        .size:           2
        .value_kind:     hidden_remainder_z
      - .offset:         152
        .size:           8
        .value_kind:     hidden_global_offset_x
      - .offset:         160
        .size:           8
        .value_kind:     hidden_global_offset_y
      - .offset:         168
        .size:           8
        .value_kind:     hidden_global_offset_z
      - .offset:         176
        .size:           2
        .value_kind:     hidden_grid_dims
    .group_segment_fixed_size: 8192
    .kernarg_segment_align: 8
    .kernarg_segment_size: 368
    .language:       OpenCL C
    .language_version:
      - 2
      - 0
    .max_flat_workgroup_size: 16
    .name:           _ZL38rocblas_trsm_small_left_device_sharedBILi16ELi16ELb1E19rocblas_complex_numIdES1_PKS1_PS1_Ev13rocblas_fill_18rocblas_operation_17rocblas_diagonal_iiT3_T4_lilT5_lili
    .private_segment_fixed_size: 272
    .sgpr_count:     47
    .sgpr_spill_count: 0
    .symbol:         _ZL38rocblas_trsm_small_left_device_sharedBILi16ELi16ELb1E19rocblas_complex_numIdES1_PKS1_PS1_Ev13rocblas_fill_18rocblas_operation_17rocblas_diagonal_iiT3_T4_lilT5_lili.kd
    .uniform_work_group_size: 1
    .uses_dynamic_stack: false
    .vgpr_count:     54
    .vgpr_spill_count: 0
    .wavefront_size: 64
  - .agpr_count:     0
    .args:
      - .offset:         0
        .size:           4
        .value_kind:     by_value
      - .offset:         4
        .size:           4
        .value_kind:     by_value
      - .offset:         8
        .size:           4
        .value_kind:     by_value
      - .offset:         12
        .size:           4
        .value_kind:     by_value
      - .offset:         16
        .size:           4
        .value_kind:     by_value
      - .offset:         24
        .size:           16
        .value_kind:     by_value
      - .address_space:  global
        .offset:         40
        .size:           8
        .value_kind:     global_buffer
      - .offset:         48
        .size:           8
        .value_kind:     by_value
      - .offset:         56
        .size:           4
        .value_kind:     by_value
      - .offset:         64
        .size:           8
        .value_kind:     by_value
      - .address_space:  global
        .offset:         72
        .size:           8
        .value_kind:     global_buffer
      - .offset:         80
        .size:           8
        .value_kind:     by_value
      - .offset:         88
        .size:           4
        .value_kind:     by_value
      - .offset:         96
        .size:           8
        .value_kind:     by_value
      - .offset:         104
        .size:           4
        .value_kind:     by_value
      - .offset:         112
        .size:           4
        .value_kind:     hidden_block_count_x
      - .offset:         116
        .size:           4
        .value_kind:     hidden_block_count_y
      - .offset:         120
        .size:           4
        .value_kind:     hidden_block_count_z
      - .offset:         124
        .size:           2
        .value_kind:     hidden_group_size_x
      - .offset:         126
        .size:           2
        .value_kind:     hidden_group_size_y
      - .offset:         128
        .size:           2
        .value_kind:     hidden_group_size_z
      - .offset:         130
        .size:           2
        .value_kind:     hidden_remainder_x
      - .offset:         132
        .size:           2
        .value_kind:     hidden_remainder_y
      - .offset:         134
        .size:           2
        .value_kind:     hidden_remainder_z
      - .offset:         152
        .size:           8
        .value_kind:     hidden_global_offset_x
      - .offset:         160
        .size:           8
        .value_kind:     hidden_global_offset_y
      - .offset:         168
        .size:           8
        .value_kind:     hidden_global_offset_z
      - .offset:         176
        .size:           2
        .value_kind:     hidden_grid_dims
    .group_segment_fixed_size: 4096
    .kernarg_segment_align: 8
    .kernarg_segment_size: 368
    .language:       OpenCL C
    .language_version:
      - 2
      - 0
    .max_flat_workgroup_size: 16
    .name:           _ZL30rocblas_trsm_small_left_deviceILi16ELi16ELb1E19rocblas_complex_numIdES1_PKS1_PS1_Ev13rocblas_fill_18rocblas_operation_17rocblas_diagonal_iiT3_T4_lilT5_lili
    .private_segment_fixed_size: 272
    .sgpr_count:     46
    .sgpr_spill_count: 0
    .symbol:         _ZL30rocblas_trsm_small_left_deviceILi16ELi16ELb1E19rocblas_complex_numIdES1_PKS1_PS1_Ev13rocblas_fill_18rocblas_operation_17rocblas_diagonal_iiT3_T4_lilT5_lili.kd
    .uniform_work_group_size: 1
    .uses_dynamic_stack: false
    .vgpr_count:     24
    .vgpr_spill_count: 0
    .wavefront_size: 64
  - .agpr_count:     0
    .args:
      - .offset:         0
        .size:           4
        .value_kind:     by_value
      - .offset:         4
        .size:           4
        .value_kind:     by_value
      - .offset:         8
        .size:           4
        .value_kind:     by_value
      - .offset:         12
        .size:           4
        .value_kind:     by_value
      - .offset:         16
        .size:           4
        .value_kind:     by_value
      - .offset:         24
        .size:           16
        .value_kind:     by_value
      - .address_space:  global
        .offset:         40
        .size:           8
        .value_kind:     global_buffer
      - .offset:         48
        .size:           8
        .value_kind:     by_value
      - .offset:         56
        .size:           4
        .value_kind:     by_value
      - .offset:         64
        .size:           8
        .value_kind:     by_value
      - .address_space:  global
        .offset:         72
        .size:           8
        .value_kind:     global_buffer
      - .offset:         80
        .size:           8
        .value_kind:     by_value
      - .offset:         88
        .size:           4
        .value_kind:     by_value
      - .offset:         96
        .size:           8
        .value_kind:     by_value
      - .offset:         104
        .size:           4
        .value_kind:     by_value
      - .offset:         112
        .size:           4
        .value_kind:     hidden_block_count_x
      - .offset:         116
        .size:           4
        .value_kind:     hidden_block_count_y
      - .offset:         120
        .size:           4
        .value_kind:     hidden_block_count_z
      - .offset:         124
        .size:           2
        .value_kind:     hidden_group_size_x
      - .offset:         126
        .size:           2
        .value_kind:     hidden_group_size_y
      - .offset:         128
        .size:           2
        .value_kind:     hidden_group_size_z
      - .offset:         130
        .size:           2
        .value_kind:     hidden_remainder_x
      - .offset:         132
        .size:           2
        .value_kind:     hidden_remainder_y
      - .offset:         134
        .size:           2
        .value_kind:     hidden_remainder_z
      - .offset:         152
        .size:           8
        .value_kind:     hidden_global_offset_x
      - .offset:         160
        .size:           8
        .value_kind:     hidden_global_offset_y
      - .offset:         168
        .size:           8
        .value_kind:     hidden_global_offset_z
      - .offset:         176
        .size:           2
        .value_kind:     hidden_grid_dims
    .group_segment_fixed_size: 8192
    .kernarg_segment_align: 8
    .kernarg_segment_size: 368
    .language:       OpenCL C
    .language_version:
      - 2
      - 0
    .max_flat_workgroup_size: 16
    .name:           _ZL31rocblas_trsm_small_right_deviceI19rocblas_complex_numIdES1_PKS1_PS1_Li16EEv13rocblas_fill_18rocblas_operation_17rocblas_diagonal_iiT0_T1_lilT2_lili
    .private_segment_fixed_size: 0
    .sgpr_count:     43
    .sgpr_spill_count: 0
    .symbol:         _ZL31rocblas_trsm_small_right_deviceI19rocblas_complex_numIdES1_PKS1_PS1_Li16EEv13rocblas_fill_18rocblas_operation_17rocblas_diagonal_iiT0_T1_lilT2_lili.kd
    .uniform_work_group_size: 1
    .uses_dynamic_stack: false
    .vgpr_count:     90
    .vgpr_spill_count: 0
    .wavefront_size: 64
  - .agpr_count:     0
    .args:
      - .offset:         0
        .size:           4
        .value_kind:     by_value
      - .offset:         4
        .size:           4
        .value_kind:     by_value
      - .offset:         8
        .size:           4
        .value_kind:     by_value
      - .offset:         12
        .size:           4
        .value_kind:     by_value
      - .offset:         16
        .size:           4
        .value_kind:     by_value
      - .offset:         24
        .size:           16
        .value_kind:     by_value
      - .address_space:  global
        .offset:         40
        .size:           8
        .value_kind:     global_buffer
      - .offset:         48
        .size:           8
        .value_kind:     by_value
      - .offset:         56
        .size:           4
        .value_kind:     by_value
      - .offset:         64
        .size:           8
        .value_kind:     by_value
      - .address_space:  global
        .offset:         72
        .size:           8
        .value_kind:     global_buffer
      - .offset:         80
        .size:           8
        .value_kind:     by_value
      - .offset:         88
        .size:           4
        .value_kind:     by_value
      - .offset:         96
        .size:           8
        .value_kind:     by_value
      - .offset:         104
        .size:           4
        .value_kind:     by_value
      - .offset:         112
        .size:           4
        .value_kind:     hidden_block_count_x
      - .offset:         116
        .size:           4
        .value_kind:     hidden_block_count_y
      - .offset:         120
        .size:           4
        .value_kind:     hidden_block_count_z
      - .offset:         124
        .size:           2
        .value_kind:     hidden_group_size_x
      - .offset:         126
        .size:           2
        .value_kind:     hidden_group_size_y
      - .offset:         128
        .size:           2
        .value_kind:     hidden_group_size_z
      - .offset:         130
        .size:           2
        .value_kind:     hidden_remainder_x
      - .offset:         132
        .size:           2
        .value_kind:     hidden_remainder_y
      - .offset:         134
        .size:           2
        .value_kind:     hidden_remainder_z
      - .offset:         152
        .size:           8
        .value_kind:     hidden_global_offset_x
      - .offset:         160
        .size:           8
        .value_kind:     hidden_global_offset_y
      - .offset:         168
        .size:           8
        .value_kind:     hidden_global_offset_z
      - .offset:         176
        .size:           2
        .value_kind:     hidden_grid_dims
    .group_segment_fixed_size: 12800
    .kernarg_segment_align: 8
    .kernarg_segment_size: 368
    .language:       OpenCL C
    .language_version:
      - 2
      - 0
    .max_flat_workgroup_size: 20
    .name:           _ZL38rocblas_trsm_small_left_device_sharedBILi20ELi20ELb0E19rocblas_complex_numIdES1_PKS1_PS1_Ev13rocblas_fill_18rocblas_operation_17rocblas_diagonal_iiT3_T4_lilT5_lili
    .private_segment_fixed_size: 336
    .sgpr_count:     47
    .sgpr_spill_count: 0
    .symbol:         _ZL38rocblas_trsm_small_left_device_sharedBILi20ELi20ELb0E19rocblas_complex_numIdES1_PKS1_PS1_Ev13rocblas_fill_18rocblas_operation_17rocblas_diagonal_iiT3_T4_lilT5_lili.kd
    .uniform_work_group_size: 1
    .uses_dynamic_stack: false
    .vgpr_count:     54
    .vgpr_spill_count: 0
    .wavefront_size: 64
  - .agpr_count:     0
    .args:
      - .offset:         0
        .size:           4
        .value_kind:     by_value
      - .offset:         4
        .size:           4
        .value_kind:     by_value
      - .offset:         8
        .size:           4
        .value_kind:     by_value
      - .offset:         12
        .size:           4
        .value_kind:     by_value
      - .offset:         16
        .size:           4
        .value_kind:     by_value
      - .offset:         24
        .size:           16
        .value_kind:     by_value
      - .address_space:  global
        .offset:         40
        .size:           8
        .value_kind:     global_buffer
      - .offset:         48
        .size:           8
        .value_kind:     by_value
      - .offset:         56
        .size:           4
        .value_kind:     by_value
      - .offset:         64
        .size:           8
        .value_kind:     by_value
      - .address_space:  global
        .offset:         72
        .size:           8
        .value_kind:     global_buffer
      - .offset:         80
        .size:           8
        .value_kind:     by_value
      - .offset:         88
        .size:           4
        .value_kind:     by_value
      - .offset:         96
        .size:           8
        .value_kind:     by_value
      - .offset:         104
        .size:           4
        .value_kind:     by_value
      - .offset:         112
        .size:           4
        .value_kind:     hidden_block_count_x
      - .offset:         116
        .size:           4
        .value_kind:     hidden_block_count_y
      - .offset:         120
        .size:           4
        .value_kind:     hidden_block_count_z
      - .offset:         124
        .size:           2
        .value_kind:     hidden_group_size_x
      - .offset:         126
        .size:           2
        .value_kind:     hidden_group_size_y
      - .offset:         128
        .size:           2
        .value_kind:     hidden_group_size_z
      - .offset:         130
        .size:           2
        .value_kind:     hidden_remainder_x
      - .offset:         132
        .size:           2
        .value_kind:     hidden_remainder_y
      - .offset:         134
        .size:           2
        .value_kind:     hidden_remainder_z
      - .offset:         152
        .size:           8
        .value_kind:     hidden_global_offset_x
      - .offset:         160
        .size:           8
        .value_kind:     hidden_global_offset_y
      - .offset:         168
        .size:           8
        .value_kind:     hidden_global_offset_z
      - .offset:         176
        .size:           2
        .value_kind:     hidden_grid_dims
    .group_segment_fixed_size: 6400
    .kernarg_segment_align: 8
    .kernarg_segment_size: 368
    .language:       OpenCL C
    .language_version:
      - 2
      - 0
    .max_flat_workgroup_size: 20
    .name:           _ZL30rocblas_trsm_small_left_deviceILi20ELi20ELb0E19rocblas_complex_numIdES1_PKS1_PS1_Ev13rocblas_fill_18rocblas_operation_17rocblas_diagonal_iiT3_T4_lilT5_lili
    .private_segment_fixed_size: 336
    .sgpr_count:     46
    .sgpr_spill_count: 0
    .symbol:         _ZL30rocblas_trsm_small_left_deviceILi20ELi20ELb0E19rocblas_complex_numIdES1_PKS1_PS1_Ev13rocblas_fill_18rocblas_operation_17rocblas_diagonal_iiT3_T4_lilT5_lili.kd
    .uniform_work_group_size: 1
    .uses_dynamic_stack: false
    .vgpr_count:     26
    .vgpr_spill_count: 0
    .wavefront_size: 64
  - .agpr_count:     0
    .args:
      - .offset:         0
        .size:           4
        .value_kind:     by_value
      - .offset:         4
        .size:           4
        .value_kind:     by_value
      - .offset:         8
        .size:           4
        .value_kind:     by_value
      - .offset:         12
        .size:           4
        .value_kind:     by_value
      - .offset:         16
        .size:           4
        .value_kind:     by_value
      - .offset:         24
        .size:           16
        .value_kind:     by_value
      - .address_space:  global
        .offset:         40
        .size:           8
        .value_kind:     global_buffer
      - .offset:         48
        .size:           8
        .value_kind:     by_value
      - .offset:         56
        .size:           4
        .value_kind:     by_value
      - .offset:         64
        .size:           8
        .value_kind:     by_value
      - .address_space:  global
        .offset:         72
        .size:           8
        .value_kind:     global_buffer
      - .offset:         80
        .size:           8
        .value_kind:     by_value
      - .offset:         88
        .size:           4
        .value_kind:     by_value
      - .offset:         96
        .size:           8
        .value_kind:     by_value
      - .offset:         104
        .size:           4
        .value_kind:     by_value
      - .offset:         112
        .size:           4
        .value_kind:     hidden_block_count_x
      - .offset:         116
        .size:           4
        .value_kind:     hidden_block_count_y
      - .offset:         120
        .size:           4
        .value_kind:     hidden_block_count_z
      - .offset:         124
        .size:           2
        .value_kind:     hidden_group_size_x
      - .offset:         126
        .size:           2
        .value_kind:     hidden_group_size_y
      - .offset:         128
        .size:           2
        .value_kind:     hidden_group_size_z
      - .offset:         130
        .size:           2
        .value_kind:     hidden_remainder_x
      - .offset:         132
        .size:           2
        .value_kind:     hidden_remainder_y
      - .offset:         134
        .size:           2
        .value_kind:     hidden_remainder_z
      - .offset:         152
        .size:           8
        .value_kind:     hidden_global_offset_x
      - .offset:         160
        .size:           8
        .value_kind:     hidden_global_offset_y
      - .offset:         168
        .size:           8
        .value_kind:     hidden_global_offset_z
      - .offset:         176
        .size:           2
        .value_kind:     hidden_grid_dims
    .group_segment_fixed_size: 12800
    .kernarg_segment_align: 8
    .kernarg_segment_size: 368
    .language:       OpenCL C
    .language_version:
      - 2
      - 0
    .max_flat_workgroup_size: 20
    .name:           _ZL38rocblas_trsm_small_left_device_sharedBILi20ELi20ELb1E19rocblas_complex_numIdES1_PKS1_PS1_Ev13rocblas_fill_18rocblas_operation_17rocblas_diagonal_iiT3_T4_lilT5_lili
    .private_segment_fixed_size: 336
    .sgpr_count:     47
    .sgpr_spill_count: 0
    .symbol:         _ZL38rocblas_trsm_small_left_device_sharedBILi20ELi20ELb1E19rocblas_complex_numIdES1_PKS1_PS1_Ev13rocblas_fill_18rocblas_operation_17rocblas_diagonal_iiT3_T4_lilT5_lili.kd
    .uniform_work_group_size: 1
    .uses_dynamic_stack: false
    .vgpr_count:     54
    .vgpr_spill_count: 0
    .wavefront_size: 64
  - .agpr_count:     0
    .args:
      - .offset:         0
        .size:           4
        .value_kind:     by_value
      - .offset:         4
        .size:           4
        .value_kind:     by_value
      - .offset:         8
        .size:           4
        .value_kind:     by_value
      - .offset:         12
        .size:           4
        .value_kind:     by_value
      - .offset:         16
        .size:           4
        .value_kind:     by_value
      - .offset:         24
        .size:           16
        .value_kind:     by_value
      - .address_space:  global
        .offset:         40
        .size:           8
        .value_kind:     global_buffer
      - .offset:         48
        .size:           8
        .value_kind:     by_value
      - .offset:         56
        .size:           4
        .value_kind:     by_value
      - .offset:         64
        .size:           8
        .value_kind:     by_value
      - .address_space:  global
        .offset:         72
        .size:           8
        .value_kind:     global_buffer
      - .offset:         80
        .size:           8
        .value_kind:     by_value
      - .offset:         88
        .size:           4
        .value_kind:     by_value
      - .offset:         96
        .size:           8
        .value_kind:     by_value
      - .offset:         104
        .size:           4
        .value_kind:     by_value
      - .offset:         112
        .size:           4
        .value_kind:     hidden_block_count_x
      - .offset:         116
        .size:           4
        .value_kind:     hidden_block_count_y
      - .offset:         120
        .size:           4
        .value_kind:     hidden_block_count_z
      - .offset:         124
        .size:           2
        .value_kind:     hidden_group_size_x
      - .offset:         126
        .size:           2
        .value_kind:     hidden_group_size_y
      - .offset:         128
        .size:           2
        .value_kind:     hidden_group_size_z
      - .offset:         130
        .size:           2
        .value_kind:     hidden_remainder_x
      - .offset:         132
        .size:           2
        .value_kind:     hidden_remainder_y
      - .offset:         134
        .size:           2
        .value_kind:     hidden_remainder_z
      - .offset:         152
        .size:           8
        .value_kind:     hidden_global_offset_x
      - .offset:         160
        .size:           8
        .value_kind:     hidden_global_offset_y
      - .offset:         168
        .size:           8
        .value_kind:     hidden_global_offset_z
      - .offset:         176
        .size:           2
        .value_kind:     hidden_grid_dims
    .group_segment_fixed_size: 6400
    .kernarg_segment_align: 8
    .kernarg_segment_size: 368
    .language:       OpenCL C
    .language_version:
      - 2
      - 0
    .max_flat_workgroup_size: 20
    .name:           _ZL30rocblas_trsm_small_left_deviceILi20ELi20ELb1E19rocblas_complex_numIdES1_PKS1_PS1_Ev13rocblas_fill_18rocblas_operation_17rocblas_diagonal_iiT3_T4_lilT5_lili
    .private_segment_fixed_size: 336
    .sgpr_count:     46
    .sgpr_spill_count: 0
    .symbol:         _ZL30rocblas_trsm_small_left_deviceILi20ELi20ELb1E19rocblas_complex_numIdES1_PKS1_PS1_Ev13rocblas_fill_18rocblas_operation_17rocblas_diagonal_iiT3_T4_lilT5_lili.kd
    .uniform_work_group_size: 1
    .uses_dynamic_stack: false
    .vgpr_count:     24
    .vgpr_spill_count: 0
    .wavefront_size: 64
  - .agpr_count:     0
    .args:
      - .offset:         0
        .size:           4
        .value_kind:     by_value
      - .offset:         4
        .size:           4
        .value_kind:     by_value
      - .offset:         8
        .size:           4
        .value_kind:     by_value
      - .offset:         12
        .size:           4
        .value_kind:     by_value
      - .offset:         16
        .size:           4
        .value_kind:     by_value
      - .offset:         24
        .size:           16
        .value_kind:     by_value
      - .address_space:  global
        .offset:         40
        .size:           8
        .value_kind:     global_buffer
      - .offset:         48
        .size:           8
        .value_kind:     by_value
      - .offset:         56
        .size:           4
        .value_kind:     by_value
      - .offset:         64
        .size:           8
        .value_kind:     by_value
      - .address_space:  global
        .offset:         72
        .size:           8
        .value_kind:     global_buffer
      - .offset:         80
        .size:           8
        .value_kind:     by_value
      - .offset:         88
        .size:           4
        .value_kind:     by_value
      - .offset:         96
        .size:           8
        .value_kind:     by_value
      - .offset:         104
        .size:           4
        .value_kind:     by_value
      - .offset:         112
        .size:           4
        .value_kind:     hidden_block_count_x
      - .offset:         116
        .size:           4
        .value_kind:     hidden_block_count_y
      - .offset:         120
        .size:           4
        .value_kind:     hidden_block_count_z
      - .offset:         124
        .size:           2
        .value_kind:     hidden_group_size_x
      - .offset:         126
        .size:           2
        .value_kind:     hidden_group_size_y
      - .offset:         128
        .size:           2
        .value_kind:     hidden_group_size_z
      - .offset:         130
        .size:           2
        .value_kind:     hidden_remainder_x
      - .offset:         132
        .size:           2
        .value_kind:     hidden_remainder_y
      - .offset:         134
        .size:           2
        .value_kind:     hidden_remainder_z
      - .offset:         152
        .size:           8
        .value_kind:     hidden_global_offset_x
      - .offset:         160
        .size:           8
        .value_kind:     hidden_global_offset_y
      - .offset:         168
        .size:           8
        .value_kind:     hidden_global_offset_z
      - .offset:         176
        .size:           2
        .value_kind:     hidden_grid_dims
    .group_segment_fixed_size: 12800
    .kernarg_segment_align: 8
    .kernarg_segment_size: 368
    .language:       OpenCL C
    .language_version:
      - 2
      - 0
    .max_flat_workgroup_size: 20
    .name:           _ZL31rocblas_trsm_small_right_deviceI19rocblas_complex_numIdES1_PKS1_PS1_Li20EEv13rocblas_fill_18rocblas_operation_17rocblas_diagonal_iiT0_T1_lilT2_lili
    .private_segment_fixed_size: 0
    .sgpr_count:     43
    .sgpr_spill_count: 0
    .symbol:         _ZL31rocblas_trsm_small_right_deviceI19rocblas_complex_numIdES1_PKS1_PS1_Li20EEv13rocblas_fill_18rocblas_operation_17rocblas_diagonal_iiT0_T1_lilT2_lili.kd
    .uniform_work_group_size: 1
    .uses_dynamic_stack: false
    .vgpr_count:     88
    .vgpr_spill_count: 0
    .wavefront_size: 64
  - .agpr_count:     0
    .args:
      - .offset:         0
        .size:           4
        .value_kind:     by_value
      - .offset:         4
        .size:           4
        .value_kind:     by_value
      - .offset:         8
        .size:           4
        .value_kind:     by_value
      - .offset:         12
        .size:           4
        .value_kind:     by_value
      - .offset:         16
        .size:           4
        .value_kind:     by_value
      - .offset:         24
        .size:           16
        .value_kind:     by_value
      - .address_space:  global
        .offset:         40
        .size:           8
        .value_kind:     global_buffer
      - .offset:         48
        .size:           8
        .value_kind:     by_value
      - .offset:         56
        .size:           4
        .value_kind:     by_value
      - .offset:         64
        .size:           8
        .value_kind:     by_value
      - .address_space:  global
        .offset:         72
        .size:           8
        .value_kind:     global_buffer
      - .offset:         80
        .size:           8
        .value_kind:     by_value
      - .offset:         88
        .size:           4
        .value_kind:     by_value
      - .offset:         96
        .size:           8
        .value_kind:     by_value
      - .offset:         104
        .size:           4
        .value_kind:     by_value
      - .offset:         112
        .size:           4
        .value_kind:     hidden_block_count_x
      - .offset:         116
        .size:           4
        .value_kind:     hidden_block_count_y
      - .offset:         120
        .size:           4
        .value_kind:     hidden_block_count_z
      - .offset:         124
        .size:           2
        .value_kind:     hidden_group_size_x
      - .offset:         126
        .size:           2
        .value_kind:     hidden_group_size_y
      - .offset:         128
        .size:           2
        .value_kind:     hidden_group_size_z
      - .offset:         130
        .size:           2
        .value_kind:     hidden_remainder_x
      - .offset:         132
        .size:           2
        .value_kind:     hidden_remainder_y
      - .offset:         134
        .size:           2
        .value_kind:     hidden_remainder_z
      - .offset:         152
        .size:           8
        .value_kind:     hidden_global_offset_x
      - .offset:         160
        .size:           8
        .value_kind:     hidden_global_offset_y
      - .offset:         168
        .size:           8
        .value_kind:     hidden_global_offset_z
      - .offset:         176
        .size:           2
        .value_kind:     hidden_grid_dims
    .group_segment_fixed_size: 18432
    .kernarg_segment_align: 8
    .kernarg_segment_size: 368
    .language:       OpenCL C
    .language_version:
      - 2
      - 0
    .max_flat_workgroup_size: 24
    .name:           _ZL38rocblas_trsm_small_left_device_sharedBILi24ELi24ELb0E19rocblas_complex_numIdES1_PKS1_PS1_Ev13rocblas_fill_18rocblas_operation_17rocblas_diagonal_iiT3_T4_lilT5_lili
    .private_segment_fixed_size: 400
    .sgpr_count:     47
    .sgpr_spill_count: 0
    .symbol:         _ZL38rocblas_trsm_small_left_device_sharedBILi24ELi24ELb0E19rocblas_complex_numIdES1_PKS1_PS1_Ev13rocblas_fill_18rocblas_operation_17rocblas_diagonal_iiT3_T4_lilT5_lili.kd
    .uniform_work_group_size: 1
    .uses_dynamic_stack: false
    .vgpr_count:     54
    .vgpr_spill_count: 0
    .wavefront_size: 64
  - .agpr_count:     0
    .args:
      - .offset:         0
        .size:           4
        .value_kind:     by_value
      - .offset:         4
        .size:           4
        .value_kind:     by_value
      - .offset:         8
        .size:           4
        .value_kind:     by_value
      - .offset:         12
        .size:           4
        .value_kind:     by_value
      - .offset:         16
        .size:           4
        .value_kind:     by_value
      - .offset:         24
        .size:           16
        .value_kind:     by_value
      - .address_space:  global
        .offset:         40
        .size:           8
        .value_kind:     global_buffer
      - .offset:         48
        .size:           8
        .value_kind:     by_value
      - .offset:         56
        .size:           4
        .value_kind:     by_value
      - .offset:         64
        .size:           8
        .value_kind:     by_value
      - .address_space:  global
        .offset:         72
        .size:           8
        .value_kind:     global_buffer
      - .offset:         80
        .size:           8
        .value_kind:     by_value
      - .offset:         88
        .size:           4
        .value_kind:     by_value
      - .offset:         96
        .size:           8
        .value_kind:     by_value
      - .offset:         104
        .size:           4
        .value_kind:     by_value
      - .offset:         112
        .size:           4
        .value_kind:     hidden_block_count_x
      - .offset:         116
        .size:           4
        .value_kind:     hidden_block_count_y
      - .offset:         120
        .size:           4
        .value_kind:     hidden_block_count_z
      - .offset:         124
        .size:           2
        .value_kind:     hidden_group_size_x
      - .offset:         126
        .size:           2
        .value_kind:     hidden_group_size_y
      - .offset:         128
        .size:           2
        .value_kind:     hidden_group_size_z
      - .offset:         130
        .size:           2
        .value_kind:     hidden_remainder_x
      - .offset:         132
        .size:           2
        .value_kind:     hidden_remainder_y
      - .offset:         134
        .size:           2
        .value_kind:     hidden_remainder_z
      - .offset:         152
        .size:           8
        .value_kind:     hidden_global_offset_x
      - .offset:         160
        .size:           8
        .value_kind:     hidden_global_offset_y
      - .offset:         168
        .size:           8
        .value_kind:     hidden_global_offset_z
      - .offset:         176
        .size:           2
        .value_kind:     hidden_grid_dims
    .group_segment_fixed_size: 9216
    .kernarg_segment_align: 8
    .kernarg_segment_size: 368
    .language:       OpenCL C
    .language_version:
      - 2
      - 0
    .max_flat_workgroup_size: 24
    .name:           _ZL30rocblas_trsm_small_left_deviceILi24ELi24ELb0E19rocblas_complex_numIdES1_PKS1_PS1_Ev13rocblas_fill_18rocblas_operation_17rocblas_diagonal_iiT3_T4_lilT5_lili
    .private_segment_fixed_size: 400
    .sgpr_count:     46
    .sgpr_spill_count: 0
    .symbol:         _ZL30rocblas_trsm_small_left_deviceILi24ELi24ELb0E19rocblas_complex_numIdES1_PKS1_PS1_Ev13rocblas_fill_18rocblas_operation_17rocblas_diagonal_iiT3_T4_lilT5_lili.kd
    .uniform_work_group_size: 1
    .uses_dynamic_stack: false
    .vgpr_count:     26
    .vgpr_spill_count: 0
    .wavefront_size: 64
  - .agpr_count:     0
    .args:
      - .offset:         0
        .size:           4
        .value_kind:     by_value
      - .offset:         4
        .size:           4
        .value_kind:     by_value
      - .offset:         8
        .size:           4
        .value_kind:     by_value
      - .offset:         12
        .size:           4
        .value_kind:     by_value
      - .offset:         16
        .size:           4
        .value_kind:     by_value
      - .offset:         24
        .size:           16
        .value_kind:     by_value
      - .address_space:  global
        .offset:         40
        .size:           8
        .value_kind:     global_buffer
      - .offset:         48
        .size:           8
        .value_kind:     by_value
      - .offset:         56
        .size:           4
        .value_kind:     by_value
      - .offset:         64
        .size:           8
        .value_kind:     by_value
      - .address_space:  global
        .offset:         72
        .size:           8
        .value_kind:     global_buffer
      - .offset:         80
        .size:           8
        .value_kind:     by_value
      - .offset:         88
        .size:           4
        .value_kind:     by_value
      - .offset:         96
        .size:           8
        .value_kind:     by_value
      - .offset:         104
        .size:           4
        .value_kind:     by_value
      - .offset:         112
        .size:           4
        .value_kind:     hidden_block_count_x
      - .offset:         116
        .size:           4
        .value_kind:     hidden_block_count_y
      - .offset:         120
        .size:           4
        .value_kind:     hidden_block_count_z
      - .offset:         124
        .size:           2
        .value_kind:     hidden_group_size_x
      - .offset:         126
        .size:           2
        .value_kind:     hidden_group_size_y
      - .offset:         128
        .size:           2
        .value_kind:     hidden_group_size_z
      - .offset:         130
        .size:           2
        .value_kind:     hidden_remainder_x
      - .offset:         132
        .size:           2
        .value_kind:     hidden_remainder_y
      - .offset:         134
        .size:           2
        .value_kind:     hidden_remainder_z
      - .offset:         152
        .size:           8
        .value_kind:     hidden_global_offset_x
      - .offset:         160
        .size:           8
        .value_kind:     hidden_global_offset_y
      - .offset:         168
        .size:           8
        .value_kind:     hidden_global_offset_z
      - .offset:         176
        .size:           2
        .value_kind:     hidden_grid_dims
    .group_segment_fixed_size: 18432
    .kernarg_segment_align: 8
    .kernarg_segment_size: 368
    .language:       OpenCL C
    .language_version:
      - 2
      - 0
    .max_flat_workgroup_size: 24
    .name:           _ZL38rocblas_trsm_small_left_device_sharedBILi24ELi24ELb1E19rocblas_complex_numIdES1_PKS1_PS1_Ev13rocblas_fill_18rocblas_operation_17rocblas_diagonal_iiT3_T4_lilT5_lili
    .private_segment_fixed_size: 400
    .sgpr_count:     47
    .sgpr_spill_count: 0
    .symbol:         _ZL38rocblas_trsm_small_left_device_sharedBILi24ELi24ELb1E19rocblas_complex_numIdES1_PKS1_PS1_Ev13rocblas_fill_18rocblas_operation_17rocblas_diagonal_iiT3_T4_lilT5_lili.kd
    .uniform_work_group_size: 1
    .uses_dynamic_stack: false
    .vgpr_count:     54
    .vgpr_spill_count: 0
    .wavefront_size: 64
  - .agpr_count:     0
    .args:
      - .offset:         0
        .size:           4
        .value_kind:     by_value
      - .offset:         4
        .size:           4
        .value_kind:     by_value
      - .offset:         8
        .size:           4
        .value_kind:     by_value
      - .offset:         12
        .size:           4
        .value_kind:     by_value
      - .offset:         16
        .size:           4
        .value_kind:     by_value
      - .offset:         24
        .size:           16
        .value_kind:     by_value
      - .address_space:  global
        .offset:         40
        .size:           8
        .value_kind:     global_buffer
      - .offset:         48
        .size:           8
        .value_kind:     by_value
      - .offset:         56
        .size:           4
        .value_kind:     by_value
      - .offset:         64
        .size:           8
        .value_kind:     by_value
      - .address_space:  global
        .offset:         72
        .size:           8
        .value_kind:     global_buffer
      - .offset:         80
        .size:           8
        .value_kind:     by_value
      - .offset:         88
        .size:           4
        .value_kind:     by_value
      - .offset:         96
        .size:           8
        .value_kind:     by_value
      - .offset:         104
        .size:           4
        .value_kind:     by_value
      - .offset:         112
        .size:           4
        .value_kind:     hidden_block_count_x
      - .offset:         116
        .size:           4
        .value_kind:     hidden_block_count_y
      - .offset:         120
        .size:           4
        .value_kind:     hidden_block_count_z
      - .offset:         124
        .size:           2
        .value_kind:     hidden_group_size_x
      - .offset:         126
        .size:           2
        .value_kind:     hidden_group_size_y
      - .offset:         128
        .size:           2
        .value_kind:     hidden_group_size_z
      - .offset:         130
        .size:           2
        .value_kind:     hidden_remainder_x
      - .offset:         132
        .size:           2
        .value_kind:     hidden_remainder_y
      - .offset:         134
        .size:           2
        .value_kind:     hidden_remainder_z
      - .offset:         152
        .size:           8
        .value_kind:     hidden_global_offset_x
      - .offset:         160
        .size:           8
        .value_kind:     hidden_global_offset_y
      - .offset:         168
        .size:           8
        .value_kind:     hidden_global_offset_z
      - .offset:         176
        .size:           2
        .value_kind:     hidden_grid_dims
    .group_segment_fixed_size: 9216
    .kernarg_segment_align: 8
    .kernarg_segment_size: 368
    .language:       OpenCL C
    .language_version:
      - 2
      - 0
    .max_flat_workgroup_size: 24
    .name:           _ZL30rocblas_trsm_small_left_deviceILi24ELi24ELb1E19rocblas_complex_numIdES1_PKS1_PS1_Ev13rocblas_fill_18rocblas_operation_17rocblas_diagonal_iiT3_T4_lilT5_lili
    .private_segment_fixed_size: 400
    .sgpr_count:     46
    .sgpr_spill_count: 0
    .symbol:         _ZL30rocblas_trsm_small_left_deviceILi24ELi24ELb1E19rocblas_complex_numIdES1_PKS1_PS1_Ev13rocblas_fill_18rocblas_operation_17rocblas_diagonal_iiT3_T4_lilT5_lili.kd
    .uniform_work_group_size: 1
    .uses_dynamic_stack: false
    .vgpr_count:     24
    .vgpr_spill_count: 0
    .wavefront_size: 64
  - .agpr_count:     0
    .args:
      - .offset:         0
        .size:           4
        .value_kind:     by_value
      - .offset:         4
        .size:           4
        .value_kind:     by_value
      - .offset:         8
        .size:           4
        .value_kind:     by_value
      - .offset:         12
        .size:           4
        .value_kind:     by_value
      - .offset:         16
        .size:           4
        .value_kind:     by_value
      - .offset:         24
        .size:           16
        .value_kind:     by_value
      - .address_space:  global
        .offset:         40
        .size:           8
        .value_kind:     global_buffer
      - .offset:         48
        .size:           8
        .value_kind:     by_value
      - .offset:         56
        .size:           4
        .value_kind:     by_value
      - .offset:         64
        .size:           8
        .value_kind:     by_value
      - .address_space:  global
        .offset:         72
        .size:           8
        .value_kind:     global_buffer
      - .offset:         80
        .size:           8
        .value_kind:     by_value
      - .offset:         88
        .size:           4
        .value_kind:     by_value
      - .offset:         96
        .size:           8
        .value_kind:     by_value
      - .offset:         104
        .size:           4
        .value_kind:     by_value
      - .offset:         112
        .size:           4
        .value_kind:     hidden_block_count_x
      - .offset:         116
        .size:           4
        .value_kind:     hidden_block_count_y
      - .offset:         120
        .size:           4
        .value_kind:     hidden_block_count_z
      - .offset:         124
        .size:           2
        .value_kind:     hidden_group_size_x
      - .offset:         126
        .size:           2
        .value_kind:     hidden_group_size_y
      - .offset:         128
        .size:           2
        .value_kind:     hidden_group_size_z
      - .offset:         130
        .size:           2
        .value_kind:     hidden_remainder_x
      - .offset:         132
        .size:           2
        .value_kind:     hidden_remainder_y
      - .offset:         134
        .size:           2
        .value_kind:     hidden_remainder_z
      - .offset:         152
        .size:           8
        .value_kind:     hidden_global_offset_x
      - .offset:         160
        .size:           8
        .value_kind:     hidden_global_offset_y
      - .offset:         168
        .size:           8
        .value_kind:     hidden_global_offset_z
      - .offset:         176
        .size:           2
        .value_kind:     hidden_grid_dims
    .group_segment_fixed_size: 18432
    .kernarg_segment_align: 8
    .kernarg_segment_size: 368
    .language:       OpenCL C
    .language_version:
      - 2
      - 0
    .max_flat_workgroup_size: 24
    .name:           _ZL31rocblas_trsm_small_right_deviceI19rocblas_complex_numIdES1_PKS1_PS1_Li24EEv13rocblas_fill_18rocblas_operation_17rocblas_diagonal_iiT0_T1_lilT2_lili
    .private_segment_fixed_size: 0
    .sgpr_count:     43
    .sgpr_spill_count: 0
    .symbol:         _ZL31rocblas_trsm_small_right_deviceI19rocblas_complex_numIdES1_PKS1_PS1_Li24EEv13rocblas_fill_18rocblas_operation_17rocblas_diagonal_iiT0_T1_lilT2_lili.kd
    .uniform_work_group_size: 1
    .uses_dynamic_stack: false
    .vgpr_count:     88
    .vgpr_spill_count: 0
    .wavefront_size: 64
  - .agpr_count:     0
    .args:
      - .offset:         0
        .size:           4
        .value_kind:     by_value
      - .offset:         4
        .size:           4
        .value_kind:     by_value
      - .offset:         8
        .size:           4
        .value_kind:     by_value
      - .offset:         12
        .size:           4
        .value_kind:     by_value
      - .offset:         16
        .size:           4
        .value_kind:     by_value
      - .offset:         24
        .size:           16
        .value_kind:     by_value
      - .address_space:  global
        .offset:         40
        .size:           8
        .value_kind:     global_buffer
      - .offset:         48
        .size:           8
        .value_kind:     by_value
      - .offset:         56
        .size:           4
        .value_kind:     by_value
      - .offset:         64
        .size:           8
        .value_kind:     by_value
      - .address_space:  global
        .offset:         72
        .size:           8
        .value_kind:     global_buffer
      - .offset:         80
        .size:           8
        .value_kind:     by_value
      - .offset:         88
        .size:           4
        .value_kind:     by_value
      - .offset:         96
        .size:           8
        .value_kind:     by_value
      - .offset:         104
        .size:           4
        .value_kind:     by_value
      - .offset:         112
        .size:           4
        .value_kind:     hidden_block_count_x
      - .offset:         116
        .size:           4
        .value_kind:     hidden_block_count_y
      - .offset:         120
        .size:           4
        .value_kind:     hidden_block_count_z
      - .offset:         124
        .size:           2
        .value_kind:     hidden_group_size_x
      - .offset:         126
        .size:           2
        .value_kind:     hidden_group_size_y
      - .offset:         128
        .size:           2
        .value_kind:     hidden_group_size_z
      - .offset:         130
        .size:           2
        .value_kind:     hidden_remainder_x
      - .offset:         132
        .size:           2
        .value_kind:     hidden_remainder_y
      - .offset:         134
        .size:           2
        .value_kind:     hidden_remainder_z
      - .offset:         152
        .size:           8
        .value_kind:     hidden_global_offset_x
      - .offset:         160
        .size:           8
        .value_kind:     hidden_global_offset_y
      - .offset:         168
        .size:           8
        .value_kind:     hidden_global_offset_z
      - .offset:         176
        .size:           2
        .value_kind:     hidden_grid_dims
    .group_segment_fixed_size: 25088
    .kernarg_segment_align: 8
    .kernarg_segment_size: 368
    .language:       OpenCL C
    .language_version:
      - 2
      - 0
    .max_flat_workgroup_size: 28
    .name:           _ZL38rocblas_trsm_small_left_device_sharedBILi28ELi28ELb0E19rocblas_complex_numIdES1_PKS1_PS1_Ev13rocblas_fill_18rocblas_operation_17rocblas_diagonal_iiT3_T4_lilT5_lili
    .private_segment_fixed_size: 464
    .sgpr_count:     47
    .sgpr_spill_count: 0
    .symbol:         _ZL38rocblas_trsm_small_left_device_sharedBILi28ELi28ELb0E19rocblas_complex_numIdES1_PKS1_PS1_Ev13rocblas_fill_18rocblas_operation_17rocblas_diagonal_iiT3_T4_lilT5_lili.kd
    .uniform_work_group_size: 1
    .uses_dynamic_stack: false
    .vgpr_count:     54
    .vgpr_spill_count: 0
    .wavefront_size: 64
  - .agpr_count:     0
    .args:
      - .offset:         0
        .size:           4
        .value_kind:     by_value
      - .offset:         4
        .size:           4
        .value_kind:     by_value
      - .offset:         8
        .size:           4
        .value_kind:     by_value
      - .offset:         12
        .size:           4
        .value_kind:     by_value
      - .offset:         16
        .size:           4
        .value_kind:     by_value
      - .offset:         24
        .size:           16
        .value_kind:     by_value
      - .address_space:  global
        .offset:         40
        .size:           8
        .value_kind:     global_buffer
      - .offset:         48
        .size:           8
        .value_kind:     by_value
      - .offset:         56
        .size:           4
        .value_kind:     by_value
      - .offset:         64
        .size:           8
        .value_kind:     by_value
      - .address_space:  global
        .offset:         72
        .size:           8
        .value_kind:     global_buffer
      - .offset:         80
        .size:           8
        .value_kind:     by_value
      - .offset:         88
        .size:           4
        .value_kind:     by_value
      - .offset:         96
        .size:           8
        .value_kind:     by_value
      - .offset:         104
        .size:           4
        .value_kind:     by_value
      - .offset:         112
        .size:           4
        .value_kind:     hidden_block_count_x
      - .offset:         116
        .size:           4
        .value_kind:     hidden_block_count_y
      - .offset:         120
        .size:           4
        .value_kind:     hidden_block_count_z
      - .offset:         124
        .size:           2
        .value_kind:     hidden_group_size_x
      - .offset:         126
        .size:           2
        .value_kind:     hidden_group_size_y
      - .offset:         128
        .size:           2
        .value_kind:     hidden_group_size_z
      - .offset:         130
        .size:           2
        .value_kind:     hidden_remainder_x
      - .offset:         132
        .size:           2
        .value_kind:     hidden_remainder_y
      - .offset:         134
        .size:           2
        .value_kind:     hidden_remainder_z
      - .offset:         152
        .size:           8
        .value_kind:     hidden_global_offset_x
      - .offset:         160
        .size:           8
        .value_kind:     hidden_global_offset_y
      - .offset:         168
        .size:           8
        .value_kind:     hidden_global_offset_z
      - .offset:         176
        .size:           2
        .value_kind:     hidden_grid_dims
    .group_segment_fixed_size: 12544
    .kernarg_segment_align: 8
    .kernarg_segment_size: 368
    .language:       OpenCL C
    .language_version:
      - 2
      - 0
    .max_flat_workgroup_size: 28
    .name:           _ZL30rocblas_trsm_small_left_deviceILi28ELi28ELb0E19rocblas_complex_numIdES1_PKS1_PS1_Ev13rocblas_fill_18rocblas_operation_17rocblas_diagonal_iiT3_T4_lilT5_lili
    .private_segment_fixed_size: 464
    .sgpr_count:     46
    .sgpr_spill_count: 0
    .symbol:         _ZL30rocblas_trsm_small_left_deviceILi28ELi28ELb0E19rocblas_complex_numIdES1_PKS1_PS1_Ev13rocblas_fill_18rocblas_operation_17rocblas_diagonal_iiT3_T4_lilT5_lili.kd
    .uniform_work_group_size: 1
    .uses_dynamic_stack: false
    .vgpr_count:     26
    .vgpr_spill_count: 0
    .wavefront_size: 64
  - .agpr_count:     0
    .args:
      - .offset:         0
        .size:           4
        .value_kind:     by_value
      - .offset:         4
        .size:           4
        .value_kind:     by_value
      - .offset:         8
        .size:           4
        .value_kind:     by_value
      - .offset:         12
        .size:           4
        .value_kind:     by_value
      - .offset:         16
        .size:           4
        .value_kind:     by_value
      - .offset:         24
        .size:           16
        .value_kind:     by_value
      - .address_space:  global
        .offset:         40
        .size:           8
        .value_kind:     global_buffer
      - .offset:         48
        .size:           8
        .value_kind:     by_value
      - .offset:         56
        .size:           4
        .value_kind:     by_value
      - .offset:         64
        .size:           8
        .value_kind:     by_value
      - .address_space:  global
        .offset:         72
        .size:           8
        .value_kind:     global_buffer
      - .offset:         80
        .size:           8
        .value_kind:     by_value
      - .offset:         88
        .size:           4
        .value_kind:     by_value
      - .offset:         96
        .size:           8
        .value_kind:     by_value
      - .offset:         104
        .size:           4
        .value_kind:     by_value
      - .offset:         112
        .size:           4
        .value_kind:     hidden_block_count_x
      - .offset:         116
        .size:           4
        .value_kind:     hidden_block_count_y
      - .offset:         120
        .size:           4
        .value_kind:     hidden_block_count_z
      - .offset:         124
        .size:           2
        .value_kind:     hidden_group_size_x
      - .offset:         126
        .size:           2
        .value_kind:     hidden_group_size_y
      - .offset:         128
        .size:           2
        .value_kind:     hidden_group_size_z
      - .offset:         130
        .size:           2
        .value_kind:     hidden_remainder_x
      - .offset:         132
        .size:           2
        .value_kind:     hidden_remainder_y
      - .offset:         134
        .size:           2
        .value_kind:     hidden_remainder_z
      - .offset:         152
        .size:           8
        .value_kind:     hidden_global_offset_x
      - .offset:         160
        .size:           8
        .value_kind:     hidden_global_offset_y
      - .offset:         168
        .size:           8
        .value_kind:     hidden_global_offset_z
      - .offset:         176
        .size:           2
        .value_kind:     hidden_grid_dims
    .group_segment_fixed_size: 25088
    .kernarg_segment_align: 8
    .kernarg_segment_size: 368
    .language:       OpenCL C
    .language_version:
      - 2
      - 0
    .max_flat_workgroup_size: 28
    .name:           _ZL38rocblas_trsm_small_left_device_sharedBILi28ELi28ELb1E19rocblas_complex_numIdES1_PKS1_PS1_Ev13rocblas_fill_18rocblas_operation_17rocblas_diagonal_iiT3_T4_lilT5_lili
    .private_segment_fixed_size: 464
    .sgpr_count:     47
    .sgpr_spill_count: 0
    .symbol:         _ZL38rocblas_trsm_small_left_device_sharedBILi28ELi28ELb1E19rocblas_complex_numIdES1_PKS1_PS1_Ev13rocblas_fill_18rocblas_operation_17rocblas_diagonal_iiT3_T4_lilT5_lili.kd
    .uniform_work_group_size: 1
    .uses_dynamic_stack: false
    .vgpr_count:     54
    .vgpr_spill_count: 0
    .wavefront_size: 64
  - .agpr_count:     0
    .args:
      - .offset:         0
        .size:           4
        .value_kind:     by_value
      - .offset:         4
        .size:           4
        .value_kind:     by_value
      - .offset:         8
        .size:           4
        .value_kind:     by_value
      - .offset:         12
        .size:           4
        .value_kind:     by_value
      - .offset:         16
        .size:           4
        .value_kind:     by_value
      - .offset:         24
        .size:           16
        .value_kind:     by_value
      - .address_space:  global
        .offset:         40
        .size:           8
        .value_kind:     global_buffer
      - .offset:         48
        .size:           8
        .value_kind:     by_value
      - .offset:         56
        .size:           4
        .value_kind:     by_value
      - .offset:         64
        .size:           8
        .value_kind:     by_value
      - .address_space:  global
        .offset:         72
        .size:           8
        .value_kind:     global_buffer
      - .offset:         80
        .size:           8
        .value_kind:     by_value
      - .offset:         88
        .size:           4
        .value_kind:     by_value
      - .offset:         96
        .size:           8
        .value_kind:     by_value
      - .offset:         104
        .size:           4
        .value_kind:     by_value
      - .offset:         112
        .size:           4
        .value_kind:     hidden_block_count_x
      - .offset:         116
        .size:           4
        .value_kind:     hidden_block_count_y
      - .offset:         120
        .size:           4
        .value_kind:     hidden_block_count_z
      - .offset:         124
        .size:           2
        .value_kind:     hidden_group_size_x
      - .offset:         126
        .size:           2
        .value_kind:     hidden_group_size_y
      - .offset:         128
        .size:           2
        .value_kind:     hidden_group_size_z
      - .offset:         130
        .size:           2
        .value_kind:     hidden_remainder_x
      - .offset:         132
        .size:           2
        .value_kind:     hidden_remainder_y
      - .offset:         134
        .size:           2
        .value_kind:     hidden_remainder_z
      - .offset:         152
        .size:           8
        .value_kind:     hidden_global_offset_x
      - .offset:         160
        .size:           8
        .value_kind:     hidden_global_offset_y
      - .offset:         168
        .size:           8
        .value_kind:     hidden_global_offset_z
      - .offset:         176
        .size:           2
        .value_kind:     hidden_grid_dims
    .group_segment_fixed_size: 12544
    .kernarg_segment_align: 8
    .kernarg_segment_size: 368
    .language:       OpenCL C
    .language_version:
      - 2
      - 0
    .max_flat_workgroup_size: 28
    .name:           _ZL30rocblas_trsm_small_left_deviceILi28ELi28ELb1E19rocblas_complex_numIdES1_PKS1_PS1_Ev13rocblas_fill_18rocblas_operation_17rocblas_diagonal_iiT3_T4_lilT5_lili
    .private_segment_fixed_size: 464
    .sgpr_count:     46
    .sgpr_spill_count: 0
    .symbol:         _ZL30rocblas_trsm_small_left_deviceILi28ELi28ELb1E19rocblas_complex_numIdES1_PKS1_PS1_Ev13rocblas_fill_18rocblas_operation_17rocblas_diagonal_iiT3_T4_lilT5_lili.kd
    .uniform_work_group_size: 1
    .uses_dynamic_stack: false
    .vgpr_count:     24
    .vgpr_spill_count: 0
    .wavefront_size: 64
  - .agpr_count:     0
    .args:
      - .offset:         0
        .size:           4
        .value_kind:     by_value
      - .offset:         4
        .size:           4
        .value_kind:     by_value
      - .offset:         8
        .size:           4
        .value_kind:     by_value
      - .offset:         12
        .size:           4
        .value_kind:     by_value
      - .offset:         16
        .size:           4
        .value_kind:     by_value
      - .offset:         24
        .size:           16
        .value_kind:     by_value
      - .address_space:  global
        .offset:         40
        .size:           8
        .value_kind:     global_buffer
      - .offset:         48
        .size:           8
        .value_kind:     by_value
      - .offset:         56
        .size:           4
        .value_kind:     by_value
      - .offset:         64
        .size:           8
        .value_kind:     by_value
      - .address_space:  global
        .offset:         72
        .size:           8
        .value_kind:     global_buffer
      - .offset:         80
        .size:           8
        .value_kind:     by_value
      - .offset:         88
        .size:           4
        .value_kind:     by_value
      - .offset:         96
        .size:           8
        .value_kind:     by_value
      - .offset:         104
        .size:           4
        .value_kind:     by_value
      - .offset:         112
        .size:           4
        .value_kind:     hidden_block_count_x
      - .offset:         116
        .size:           4
        .value_kind:     hidden_block_count_y
      - .offset:         120
        .size:           4
        .value_kind:     hidden_block_count_z
      - .offset:         124
        .size:           2
        .value_kind:     hidden_group_size_x
      - .offset:         126
        .size:           2
        .value_kind:     hidden_group_size_y
      - .offset:         128
        .size:           2
        .value_kind:     hidden_group_size_z
      - .offset:         130
        .size:           2
        .value_kind:     hidden_remainder_x
      - .offset:         132
        .size:           2
        .value_kind:     hidden_remainder_y
      - .offset:         134
        .size:           2
        .value_kind:     hidden_remainder_z
      - .offset:         152
        .size:           8
        .value_kind:     hidden_global_offset_x
      - .offset:         160
        .size:           8
        .value_kind:     hidden_global_offset_y
      - .offset:         168
        .size:           8
        .value_kind:     hidden_global_offset_z
      - .offset:         176
        .size:           2
        .value_kind:     hidden_grid_dims
    .group_segment_fixed_size: 25088
    .kernarg_segment_align: 8
    .kernarg_segment_size: 368
    .language:       OpenCL C
    .language_version:
      - 2
      - 0
    .max_flat_workgroup_size: 28
    .name:           _ZL31rocblas_trsm_small_right_deviceI19rocblas_complex_numIdES1_PKS1_PS1_Li28EEv13rocblas_fill_18rocblas_operation_17rocblas_diagonal_iiT0_T1_lilT2_lili
    .private_segment_fixed_size: 0
    .sgpr_count:     43
    .sgpr_spill_count: 0
    .symbol:         _ZL31rocblas_trsm_small_right_deviceI19rocblas_complex_numIdES1_PKS1_PS1_Li28EEv13rocblas_fill_18rocblas_operation_17rocblas_diagonal_iiT0_T1_lilT2_lili.kd
    .uniform_work_group_size: 1
    .uses_dynamic_stack: false
    .vgpr_count:     88
    .vgpr_spill_count: 0
    .wavefront_size: 64
  - .agpr_count:     0
    .args:
      - .offset:         0
        .size:           4
        .value_kind:     by_value
      - .offset:         4
        .size:           4
        .value_kind:     by_value
      - .offset:         8
        .size:           4
        .value_kind:     by_value
      - .offset:         12
        .size:           4
        .value_kind:     by_value
      - .offset:         16
        .size:           4
        .value_kind:     by_value
      - .offset:         24
        .size:           16
        .value_kind:     by_value
      - .address_space:  global
        .offset:         40
        .size:           8
        .value_kind:     global_buffer
      - .offset:         48
        .size:           8
        .value_kind:     by_value
      - .offset:         56
        .size:           4
        .value_kind:     by_value
      - .offset:         64
        .size:           8
        .value_kind:     by_value
      - .address_space:  global
        .offset:         72
        .size:           8
        .value_kind:     global_buffer
      - .offset:         80
        .size:           8
        .value_kind:     by_value
      - .offset:         88
        .size:           4
        .value_kind:     by_value
      - .offset:         96
        .size:           8
        .value_kind:     by_value
      - .offset:         104
        .size:           4
        .value_kind:     by_value
      - .offset:         112
        .size:           4
        .value_kind:     hidden_block_count_x
      - .offset:         116
        .size:           4
        .value_kind:     hidden_block_count_y
      - .offset:         120
        .size:           4
        .value_kind:     hidden_block_count_z
      - .offset:         124
        .size:           2
        .value_kind:     hidden_group_size_x
      - .offset:         126
        .size:           2
        .value_kind:     hidden_group_size_y
      - .offset:         128
        .size:           2
        .value_kind:     hidden_group_size_z
      - .offset:         130
        .size:           2
        .value_kind:     hidden_remainder_x
      - .offset:         132
        .size:           2
        .value_kind:     hidden_remainder_y
      - .offset:         134
        .size:           2
        .value_kind:     hidden_remainder_z
      - .offset:         152
        .size:           8
        .value_kind:     hidden_global_offset_x
      - .offset:         160
        .size:           8
        .value_kind:     hidden_global_offset_y
      - .offset:         168
        .size:           8
        .value_kind:     hidden_global_offset_z
      - .offset:         176
        .size:           2
        .value_kind:     hidden_grid_dims
    .group_segment_fixed_size: 32768
    .kernarg_segment_align: 8
    .kernarg_segment_size: 368
    .language:       OpenCL C
    .language_version:
      - 2
      - 0
    .max_flat_workgroup_size: 32
    .name:           _ZL38rocblas_trsm_small_left_device_sharedBILi32ELi32ELb0E19rocblas_complex_numIdES1_PKS1_PS1_Ev13rocblas_fill_18rocblas_operation_17rocblas_diagonal_iiT3_T4_lilT5_lili
    .private_segment_fixed_size: 528
    .sgpr_count:     47
    .sgpr_spill_count: 0
    .symbol:         _ZL38rocblas_trsm_small_left_device_sharedBILi32ELi32ELb0E19rocblas_complex_numIdES1_PKS1_PS1_Ev13rocblas_fill_18rocblas_operation_17rocblas_diagonal_iiT3_T4_lilT5_lili.kd
    .uniform_work_group_size: 1
    .uses_dynamic_stack: false
    .vgpr_count:     54
    .vgpr_spill_count: 0
    .wavefront_size: 64
  - .agpr_count:     0
    .args:
      - .offset:         0
        .size:           4
        .value_kind:     by_value
      - .offset:         4
        .size:           4
        .value_kind:     by_value
      - .offset:         8
        .size:           4
        .value_kind:     by_value
      - .offset:         12
        .size:           4
        .value_kind:     by_value
      - .offset:         16
        .size:           4
        .value_kind:     by_value
      - .offset:         24
        .size:           16
        .value_kind:     by_value
      - .address_space:  global
        .offset:         40
        .size:           8
        .value_kind:     global_buffer
      - .offset:         48
        .size:           8
        .value_kind:     by_value
      - .offset:         56
        .size:           4
        .value_kind:     by_value
      - .offset:         64
        .size:           8
        .value_kind:     by_value
      - .address_space:  global
        .offset:         72
        .size:           8
        .value_kind:     global_buffer
      - .offset:         80
        .size:           8
        .value_kind:     by_value
      - .offset:         88
        .size:           4
        .value_kind:     by_value
      - .offset:         96
        .size:           8
        .value_kind:     by_value
      - .offset:         104
        .size:           4
        .value_kind:     by_value
      - .offset:         112
        .size:           4
        .value_kind:     hidden_block_count_x
      - .offset:         116
        .size:           4
        .value_kind:     hidden_block_count_y
      - .offset:         120
        .size:           4
        .value_kind:     hidden_block_count_z
      - .offset:         124
        .size:           2
        .value_kind:     hidden_group_size_x
      - .offset:         126
        .size:           2
        .value_kind:     hidden_group_size_y
      - .offset:         128
        .size:           2
        .value_kind:     hidden_group_size_z
      - .offset:         130
        .size:           2
        .value_kind:     hidden_remainder_x
      - .offset:         132
        .size:           2
        .value_kind:     hidden_remainder_y
      - .offset:         134
        .size:           2
        .value_kind:     hidden_remainder_z
      - .offset:         152
        .size:           8
        .value_kind:     hidden_global_offset_x
      - .offset:         160
        .size:           8
        .value_kind:     hidden_global_offset_y
      - .offset:         168
        .size:           8
        .value_kind:     hidden_global_offset_z
      - .offset:         176
        .size:           2
        .value_kind:     hidden_grid_dims
    .group_segment_fixed_size: 16384
    .kernarg_segment_align: 8
    .kernarg_segment_size: 368
    .language:       OpenCL C
    .language_version:
      - 2
      - 0
    .max_flat_workgroup_size: 32
    .name:           _ZL30rocblas_trsm_small_left_deviceILi32ELi32ELb0E19rocblas_complex_numIdES1_PKS1_PS1_Ev13rocblas_fill_18rocblas_operation_17rocblas_diagonal_iiT3_T4_lilT5_lili
    .private_segment_fixed_size: 528
    .sgpr_count:     46
    .sgpr_spill_count: 0
    .symbol:         _ZL30rocblas_trsm_small_left_deviceILi32ELi32ELb0E19rocblas_complex_numIdES1_PKS1_PS1_Ev13rocblas_fill_18rocblas_operation_17rocblas_diagonal_iiT3_T4_lilT5_lili.kd
    .uniform_work_group_size: 1
    .uses_dynamic_stack: false
    .vgpr_count:     26
    .vgpr_spill_count: 0
    .wavefront_size: 64
  - .agpr_count:     0
    .args:
      - .offset:         0
        .size:           4
        .value_kind:     by_value
      - .offset:         4
        .size:           4
        .value_kind:     by_value
      - .offset:         8
        .size:           4
        .value_kind:     by_value
      - .offset:         12
        .size:           4
        .value_kind:     by_value
      - .offset:         16
        .size:           4
        .value_kind:     by_value
      - .offset:         24
        .size:           16
        .value_kind:     by_value
      - .address_space:  global
        .offset:         40
        .size:           8
        .value_kind:     global_buffer
      - .offset:         48
        .size:           8
        .value_kind:     by_value
      - .offset:         56
        .size:           4
        .value_kind:     by_value
      - .offset:         64
        .size:           8
        .value_kind:     by_value
      - .address_space:  global
        .offset:         72
        .size:           8
        .value_kind:     global_buffer
      - .offset:         80
        .size:           8
        .value_kind:     by_value
      - .offset:         88
        .size:           4
        .value_kind:     by_value
      - .offset:         96
        .size:           8
        .value_kind:     by_value
      - .offset:         104
        .size:           4
        .value_kind:     by_value
      - .offset:         112
        .size:           4
        .value_kind:     hidden_block_count_x
      - .offset:         116
        .size:           4
        .value_kind:     hidden_block_count_y
      - .offset:         120
        .size:           4
        .value_kind:     hidden_block_count_z
      - .offset:         124
        .size:           2
        .value_kind:     hidden_group_size_x
      - .offset:         126
        .size:           2
        .value_kind:     hidden_group_size_y
      - .offset:         128
        .size:           2
        .value_kind:     hidden_group_size_z
      - .offset:         130
        .size:           2
        .value_kind:     hidden_remainder_x
      - .offset:         132
        .size:           2
        .value_kind:     hidden_remainder_y
      - .offset:         134
        .size:           2
        .value_kind:     hidden_remainder_z
      - .offset:         152
        .size:           8
        .value_kind:     hidden_global_offset_x
      - .offset:         160
        .size:           8
        .value_kind:     hidden_global_offset_y
      - .offset:         168
        .size:           8
        .value_kind:     hidden_global_offset_z
      - .offset:         176
        .size:           2
        .value_kind:     hidden_grid_dims
    .group_segment_fixed_size: 32768
    .kernarg_segment_align: 8
    .kernarg_segment_size: 368
    .language:       OpenCL C
    .language_version:
      - 2
      - 0
    .max_flat_workgroup_size: 32
    .name:           _ZL38rocblas_trsm_small_left_device_sharedBILi32ELi32ELb1E19rocblas_complex_numIdES1_PKS1_PS1_Ev13rocblas_fill_18rocblas_operation_17rocblas_diagonal_iiT3_T4_lilT5_lili
    .private_segment_fixed_size: 528
    .sgpr_count:     47
    .sgpr_spill_count: 0
    .symbol:         _ZL38rocblas_trsm_small_left_device_sharedBILi32ELi32ELb1E19rocblas_complex_numIdES1_PKS1_PS1_Ev13rocblas_fill_18rocblas_operation_17rocblas_diagonal_iiT3_T4_lilT5_lili.kd
    .uniform_work_group_size: 1
    .uses_dynamic_stack: false
    .vgpr_count:     54
    .vgpr_spill_count: 0
    .wavefront_size: 64
  - .agpr_count:     0
    .args:
      - .offset:         0
        .size:           4
        .value_kind:     by_value
      - .offset:         4
        .size:           4
        .value_kind:     by_value
      - .offset:         8
        .size:           4
        .value_kind:     by_value
      - .offset:         12
        .size:           4
        .value_kind:     by_value
      - .offset:         16
        .size:           4
        .value_kind:     by_value
      - .offset:         24
        .size:           16
        .value_kind:     by_value
      - .address_space:  global
        .offset:         40
        .size:           8
        .value_kind:     global_buffer
      - .offset:         48
        .size:           8
        .value_kind:     by_value
      - .offset:         56
        .size:           4
        .value_kind:     by_value
      - .offset:         64
        .size:           8
        .value_kind:     by_value
      - .address_space:  global
        .offset:         72
        .size:           8
        .value_kind:     global_buffer
      - .offset:         80
        .size:           8
        .value_kind:     by_value
      - .offset:         88
        .size:           4
        .value_kind:     by_value
      - .offset:         96
        .size:           8
        .value_kind:     by_value
      - .offset:         104
        .size:           4
        .value_kind:     by_value
      - .offset:         112
        .size:           4
        .value_kind:     hidden_block_count_x
      - .offset:         116
        .size:           4
        .value_kind:     hidden_block_count_y
      - .offset:         120
        .size:           4
        .value_kind:     hidden_block_count_z
      - .offset:         124
        .size:           2
        .value_kind:     hidden_group_size_x
      - .offset:         126
        .size:           2
        .value_kind:     hidden_group_size_y
      - .offset:         128
        .size:           2
        .value_kind:     hidden_group_size_z
      - .offset:         130
        .size:           2
        .value_kind:     hidden_remainder_x
      - .offset:         132
        .size:           2
        .value_kind:     hidden_remainder_y
      - .offset:         134
        .size:           2
        .value_kind:     hidden_remainder_z
      - .offset:         152
        .size:           8
        .value_kind:     hidden_global_offset_x
      - .offset:         160
        .size:           8
        .value_kind:     hidden_global_offset_y
      - .offset:         168
        .size:           8
        .value_kind:     hidden_global_offset_z
      - .offset:         176
        .size:           2
        .value_kind:     hidden_grid_dims
    .group_segment_fixed_size: 16384
    .kernarg_segment_align: 8
    .kernarg_segment_size: 368
    .language:       OpenCL C
    .language_version:
      - 2
      - 0
    .max_flat_workgroup_size: 32
    .name:           _ZL30rocblas_trsm_small_left_deviceILi32ELi32ELb1E19rocblas_complex_numIdES1_PKS1_PS1_Ev13rocblas_fill_18rocblas_operation_17rocblas_diagonal_iiT3_T4_lilT5_lili
    .private_segment_fixed_size: 528
    .sgpr_count:     46
    .sgpr_spill_count: 0
    .symbol:         _ZL30rocblas_trsm_small_left_deviceILi32ELi32ELb1E19rocblas_complex_numIdES1_PKS1_PS1_Ev13rocblas_fill_18rocblas_operation_17rocblas_diagonal_iiT3_T4_lilT5_lili.kd
    .uniform_work_group_size: 1
    .uses_dynamic_stack: false
    .vgpr_count:     24
    .vgpr_spill_count: 0
    .wavefront_size: 64
  - .agpr_count:     0
    .args:
      - .offset:         0
        .size:           4
        .value_kind:     by_value
      - .offset:         4
        .size:           4
        .value_kind:     by_value
      - .offset:         8
        .size:           4
        .value_kind:     by_value
      - .offset:         12
        .size:           4
        .value_kind:     by_value
      - .offset:         16
        .size:           4
        .value_kind:     by_value
      - .offset:         24
        .size:           16
        .value_kind:     by_value
      - .address_space:  global
        .offset:         40
        .size:           8
        .value_kind:     global_buffer
      - .offset:         48
        .size:           8
        .value_kind:     by_value
      - .offset:         56
        .size:           4
        .value_kind:     by_value
      - .offset:         64
        .size:           8
        .value_kind:     by_value
      - .address_space:  global
        .offset:         72
        .size:           8
        .value_kind:     global_buffer
      - .offset:         80
        .size:           8
        .value_kind:     by_value
      - .offset:         88
        .size:           4
        .value_kind:     by_value
      - .offset:         96
        .size:           8
        .value_kind:     by_value
      - .offset:         104
        .size:           4
        .value_kind:     by_value
      - .offset:         112
        .size:           4
        .value_kind:     hidden_block_count_x
      - .offset:         116
        .size:           4
        .value_kind:     hidden_block_count_y
      - .offset:         120
        .size:           4
        .value_kind:     hidden_block_count_z
      - .offset:         124
        .size:           2
        .value_kind:     hidden_group_size_x
      - .offset:         126
        .size:           2
        .value_kind:     hidden_group_size_y
      - .offset:         128
        .size:           2
        .value_kind:     hidden_group_size_z
      - .offset:         130
        .size:           2
        .value_kind:     hidden_remainder_x
      - .offset:         132
        .size:           2
        .value_kind:     hidden_remainder_y
      - .offset:         134
        .size:           2
        .value_kind:     hidden_remainder_z
      - .offset:         152
        .size:           8
        .value_kind:     hidden_global_offset_x
      - .offset:         160
        .size:           8
        .value_kind:     hidden_global_offset_y
      - .offset:         168
        .size:           8
        .value_kind:     hidden_global_offset_z
      - .offset:         176
        .size:           2
        .value_kind:     hidden_grid_dims
    .group_segment_fixed_size: 32768
    .kernarg_segment_align: 8
    .kernarg_segment_size: 368
    .language:       OpenCL C
    .language_version:
      - 2
      - 0
    .max_flat_workgroup_size: 32
    .name:           _ZL31rocblas_trsm_small_right_deviceI19rocblas_complex_numIdES1_PKS1_PS1_Li32EEv13rocblas_fill_18rocblas_operation_17rocblas_diagonal_iiT0_T1_lilT2_lili
    .private_segment_fixed_size: 0
    .sgpr_count:     43
    .sgpr_spill_count: 0
    .symbol:         _ZL31rocblas_trsm_small_right_deviceI19rocblas_complex_numIdES1_PKS1_PS1_Li32EEv13rocblas_fill_18rocblas_operation_17rocblas_diagonal_iiT0_T1_lilT2_lili.kd
    .uniform_work_group_size: 1
    .uses_dynamic_stack: false
    .vgpr_count:     90
    .vgpr_spill_count: 0
    .wavefront_size: 64
  - .agpr_count:     0
    .args:
      - .offset:         0
        .size:           4
        .value_kind:     by_value
      - .offset:         4
        .size:           4
        .value_kind:     by_value
      - .offset:         8
        .size:           4
        .value_kind:     by_value
      - .offset:         12
        .size:           4
        .value_kind:     by_value
      - .offset:         16
        .size:           4
        .value_kind:     by_value
      - .offset:         24
        .size:           16
        .value_kind:     by_value
      - .address_space:  global
        .offset:         40
        .size:           8
        .value_kind:     global_buffer
      - .offset:         48
        .size:           8
        .value_kind:     by_value
      - .offset:         56
        .size:           4
        .value_kind:     by_value
      - .offset:         64
        .size:           8
        .value_kind:     by_value
      - .address_space:  global
        .offset:         72
        .size:           8
        .value_kind:     global_buffer
      - .offset:         80
        .size:           8
        .value_kind:     by_value
      - .offset:         88
        .size:           4
        .value_kind:     by_value
      - .offset:         96
        .size:           8
        .value_kind:     by_value
      - .offset:         104
        .size:           4
        .value_kind:     by_value
      - .offset:         112
        .size:           4
        .value_kind:     hidden_block_count_x
      - .offset:         116
        .size:           4
        .value_kind:     hidden_block_count_y
      - .offset:         120
        .size:           4
        .value_kind:     hidden_block_count_z
      - .offset:         124
        .size:           2
        .value_kind:     hidden_group_size_x
      - .offset:         126
        .size:           2
        .value_kind:     hidden_group_size_y
      - .offset:         128
        .size:           2
        .value_kind:     hidden_group_size_z
      - .offset:         130
        .size:           2
        .value_kind:     hidden_remainder_x
      - .offset:         132
        .size:           2
        .value_kind:     hidden_remainder_y
      - .offset:         134
        .size:           2
        .value_kind:     hidden_remainder_z
      - .offset:         152
        .size:           8
        .value_kind:     hidden_global_offset_x
      - .offset:         160
        .size:           8
        .value_kind:     hidden_global_offset_y
      - .offset:         168
        .size:           8
        .value_kind:     hidden_global_offset_z
      - .offset:         176
        .size:           2
        .value_kind:     hidden_grid_dims
    .group_segment_fixed_size: 65536
    .kernarg_segment_align: 8
    .kernarg_segment_size: 368
    .language:       OpenCL C
    .language_version:
      - 2
      - 0
    .max_flat_workgroup_size: 64
    .name:           _ZL33rocblas_trsm_small_64_left_deviceI19rocblas_complex_numIdES1_PKS1_PS1_Li64EEv13rocblas_fill_18rocblas_operation_17rocblas_diagonal_iiT0_T1_lilT2_lili
    .private_segment_fixed_size: 0
    .sgpr_count:     68
    .sgpr_spill_count: 0
    .symbol:         _ZL33rocblas_trsm_small_64_left_deviceI19rocblas_complex_numIdES1_PKS1_PS1_Li64EEv13rocblas_fill_18rocblas_operation_17rocblas_diagonal_iiT0_T1_lilT2_lili.kd
    .uniform_work_group_size: 1
    .uses_dynamic_stack: false
    .vgpr_count:     50
    .vgpr_spill_count: 0
    .wavefront_size: 64
  - .agpr_count:     0
    .args:
      - .offset:         0
        .size:           4
        .value_kind:     by_value
      - .offset:         4
        .size:           4
        .value_kind:     by_value
      - .offset:         8
        .size:           4
        .value_kind:     by_value
      - .offset:         12
        .size:           4
        .value_kind:     by_value
      - .offset:         16
        .size:           4
        .value_kind:     by_value
      - .offset:         24
        .size:           16
        .value_kind:     by_value
      - .address_space:  global
        .offset:         40
        .size:           8
        .value_kind:     global_buffer
      - .offset:         48
        .size:           8
        .value_kind:     by_value
      - .offset:         56
        .size:           4
        .value_kind:     by_value
      - .offset:         64
        .size:           8
        .value_kind:     by_value
      - .address_space:  global
        .offset:         72
        .size:           8
        .value_kind:     global_buffer
      - .offset:         80
        .size:           8
        .value_kind:     by_value
      - .offset:         88
        .size:           4
        .value_kind:     by_value
      - .offset:         96
        .size:           8
        .value_kind:     by_value
      - .offset:         104
        .size:           4
        .value_kind:     by_value
      - .offset:         112
        .size:           4
        .value_kind:     hidden_block_count_x
      - .offset:         116
        .size:           4
        .value_kind:     hidden_block_count_y
      - .offset:         120
        .size:           4
        .value_kind:     hidden_block_count_z
      - .offset:         124
        .size:           2
        .value_kind:     hidden_group_size_x
      - .offset:         126
        .size:           2
        .value_kind:     hidden_group_size_y
      - .offset:         128
        .size:           2
        .value_kind:     hidden_group_size_z
      - .offset:         130
        .size:           2
        .value_kind:     hidden_remainder_x
      - .offset:         132
        .size:           2
        .value_kind:     hidden_remainder_y
      - .offset:         134
        .size:           2
        .value_kind:     hidden_remainder_z
      - .offset:         152
        .size:           8
        .value_kind:     hidden_global_offset_x
      - .offset:         160
        .size:           8
        .value_kind:     hidden_global_offset_y
      - .offset:         168
        .size:           8
        .value_kind:     hidden_global_offset_z
      - .offset:         176
        .size:           2
        .value_kind:     hidden_grid_dims
    .group_segment_fixed_size: 65536
    .kernarg_segment_align: 8
    .kernarg_segment_size: 368
    .language:       OpenCL C
    .language_version:
      - 2
      - 0
    .max_flat_workgroup_size: 64
    .name:           _ZL34rocblas_trsm_small_64_right_deviceI19rocblas_complex_numIdES1_PKS1_PS1_Li64EEv13rocblas_fill_18rocblas_operation_17rocblas_diagonal_iiT0_T1_lilT2_lili
    .private_segment_fixed_size: 0
    .sgpr_count:     71
    .sgpr_spill_count: 0
    .symbol:         _ZL34rocblas_trsm_small_64_right_deviceI19rocblas_complex_numIdES1_PKS1_PS1_Li64EEv13rocblas_fill_18rocblas_operation_17rocblas_diagonal_iiT0_T1_lilT2_lili.kd
    .uniform_work_group_size: 1
    .uses_dynamic_stack: false
    .vgpr_count:     50
    .vgpr_spill_count: 0
    .wavefront_size: 64
  - .agpr_count:     0
    .args:
      - .offset:         0
        .size:           4
        .value_kind:     by_value
      - .offset:         8
        .size:           8
        .value_kind:     by_value
      - .offset:         16
        .size:           8
        .value_kind:     by_value
      - .offset:         24
        .size:           16
        .value_kind:     by_value
      - .address_space:  global
        .offset:         40
        .size:           8
        .value_kind:     global_buffer
      - .offset:         48
        .size:           8
        .value_kind:     by_value
      - .offset:         56
        .size:           8
        .value_kind:     by_value
      - .offset:         64
        .size:           8
        .value_kind:     by_value
      - .address_space:  global
        .offset:         72
        .size:           8
        .value_kind:     global_buffer
      - .offset:         80
        .size:           8
        .value_kind:     by_value
      - .offset:         88
        .size:           8
        .value_kind:     by_value
      - .offset:         96
        .size:           8
        .value_kind:     by_value
      - .offset:         104
        .size:           4
        .value_kind:     by_value
      - .offset:         108
        .size:           1
        .value_kind:     by_value
      - .offset:         112
        .size:           4
        .value_kind:     hidden_block_count_x
      - .offset:         116
        .size:           4
        .value_kind:     hidden_block_count_y
      - .offset:         120
        .size:           4
        .value_kind:     hidden_block_count_z
      - .offset:         124
        .size:           2
        .value_kind:     hidden_group_size_x
      - .offset:         126
        .size:           2
        .value_kind:     hidden_group_size_y
      - .offset:         128
        .size:           2
        .value_kind:     hidden_group_size_z
      - .offset:         130
        .size:           2
        .value_kind:     hidden_remainder_x
      - .offset:         132
        .size:           2
        .value_kind:     hidden_remainder_y
      - .offset:         134
        .size:           2
        .value_kind:     hidden_remainder_z
      - .offset:         152
        .size:           8
        .value_kind:     hidden_global_offset_x
      - .offset:         160
        .size:           8
        .value_kind:     hidden_global_offset_y
      - .offset:         168
        .size:           8
        .value_kind:     hidden_global_offset_z
      - .offset:         176
        .size:           2
        .value_kind:     hidden_grid_dims
      - .offset:         232
        .size:           4
        .value_kind:     hidden_dynamic_lds_size
    .group_segment_fixed_size: 0
    .kernarg_segment_align: 8
    .kernarg_segment_size: 368
    .language:       OpenCL C
    .language_version:
      - 2
      - 0
    .max_flat_workgroup_size: 1024
    .name:           _ZL39rocblas_trsm_block_forward_substitutionI19rocblas_complex_numIdES1_PKS1_PS1_Lb0ELb0ELb0EEv18rocblas_operation_llT0_T1_lllT2_lllib
    .private_segment_fixed_size: 0
    .sgpr_count:     48
    .sgpr_spill_count: 0
    .symbol:         _ZL39rocblas_trsm_block_forward_substitutionI19rocblas_complex_numIdES1_PKS1_PS1_Lb0ELb0ELb0EEv18rocblas_operation_llT0_T1_lllT2_lllib.kd
    .uniform_work_group_size: 1
    .uses_dynamic_stack: false
    .vgpr_count:     26
    .vgpr_spill_count: 0
    .wavefront_size: 64
  - .agpr_count:     0
    .args:
      - .offset:         0
        .size:           4
        .value_kind:     by_value
      - .offset:         8
        .size:           8
        .value_kind:     by_value
      - .offset:         16
        .size:           8
        .value_kind:     by_value
      - .offset:         24
        .size:           16
        .value_kind:     by_value
      - .address_space:  global
        .offset:         40
        .size:           8
        .value_kind:     global_buffer
      - .offset:         48
        .size:           8
        .value_kind:     by_value
      - .offset:         56
        .size:           8
        .value_kind:     by_value
      - .offset:         64
        .size:           8
        .value_kind:     by_value
      - .address_space:  global
        .offset:         72
        .size:           8
        .value_kind:     global_buffer
      - .offset:         80
        .size:           8
        .value_kind:     by_value
      - .offset:         88
        .size:           8
        .value_kind:     by_value
      - .offset:         96
        .size:           8
        .value_kind:     by_value
      - .offset:         104
        .size:           4
        .value_kind:     by_value
      - .offset:         108
        .size:           1
        .value_kind:     by_value
      - .offset:         112
        .size:           4
        .value_kind:     hidden_block_count_x
      - .offset:         116
        .size:           4
        .value_kind:     hidden_block_count_y
      - .offset:         120
        .size:           4
        .value_kind:     hidden_block_count_z
      - .offset:         124
        .size:           2
        .value_kind:     hidden_group_size_x
      - .offset:         126
        .size:           2
        .value_kind:     hidden_group_size_y
      - .offset:         128
        .size:           2
        .value_kind:     hidden_group_size_z
      - .offset:         130
        .size:           2
        .value_kind:     hidden_remainder_x
      - .offset:         132
        .size:           2
        .value_kind:     hidden_remainder_y
      - .offset:         134
        .size:           2
        .value_kind:     hidden_remainder_z
      - .offset:         152
        .size:           8
        .value_kind:     hidden_global_offset_x
      - .offset:         160
        .size:           8
        .value_kind:     hidden_global_offset_y
      - .offset:         168
        .size:           8
        .value_kind:     hidden_global_offset_z
      - .offset:         176
        .size:           2
        .value_kind:     hidden_grid_dims
      - .offset:         232
        .size:           4
        .value_kind:     hidden_dynamic_lds_size
    .group_segment_fixed_size: 0
    .kernarg_segment_align: 8
    .kernarg_segment_size: 368
    .language:       OpenCL C
    .language_version:
      - 2
      - 0
    .max_flat_workgroup_size: 1024
    .name:           _ZL40rocblas_trsm_block_backward_substitutionI19rocblas_complex_numIdES1_PKS1_PS1_Lb0ELb0ELb0EEv18rocblas_operation_llT0_T1_lllT2_lllib
    .private_segment_fixed_size: 0
    .sgpr_count:     48
    .sgpr_spill_count: 0
    .symbol:         _ZL40rocblas_trsm_block_backward_substitutionI19rocblas_complex_numIdES1_PKS1_PS1_Lb0ELb0ELb0EEv18rocblas_operation_llT0_T1_lllT2_lllib.kd
    .uniform_work_group_size: 1
    .uses_dynamic_stack: false
    .vgpr_count:     26
    .vgpr_spill_count: 0
    .wavefront_size: 64
  - .agpr_count:     0
    .args:
      - .offset:         0
        .size:           4
        .value_kind:     by_value
      - .offset:         8
        .size:           8
        .value_kind:     by_value
      - .offset:         16
        .size:           8
        .value_kind:     by_value
      - .offset:         24
        .size:           16
        .value_kind:     by_value
      - .address_space:  global
        .offset:         40
        .size:           8
        .value_kind:     global_buffer
      - .offset:         48
        .size:           8
        .value_kind:     by_value
      - .offset:         56
        .size:           8
        .value_kind:     by_value
      - .offset:         64
        .size:           8
        .value_kind:     by_value
      - .address_space:  global
        .offset:         72
        .size:           8
        .value_kind:     global_buffer
      - .offset:         80
        .size:           8
        .value_kind:     by_value
      - .offset:         88
        .size:           8
        .value_kind:     by_value
      - .offset:         96
        .size:           8
        .value_kind:     by_value
      - .offset:         104
        .size:           4
        .value_kind:     by_value
      - .offset:         108
        .size:           1
        .value_kind:     by_value
      - .offset:         112
        .size:           4
        .value_kind:     hidden_block_count_x
      - .offset:         116
        .size:           4
        .value_kind:     hidden_block_count_y
      - .offset:         120
        .size:           4
        .value_kind:     hidden_block_count_z
      - .offset:         124
        .size:           2
        .value_kind:     hidden_group_size_x
      - .offset:         126
        .size:           2
        .value_kind:     hidden_group_size_y
      - .offset:         128
        .size:           2
        .value_kind:     hidden_group_size_z
      - .offset:         130
        .size:           2
        .value_kind:     hidden_remainder_x
      - .offset:         132
        .size:           2
        .value_kind:     hidden_remainder_y
      - .offset:         134
        .size:           2
        .value_kind:     hidden_remainder_z
      - .offset:         152
        .size:           8
        .value_kind:     hidden_global_offset_x
      - .offset:         160
        .size:           8
        .value_kind:     hidden_global_offset_y
      - .offset:         168
        .size:           8
        .value_kind:     hidden_global_offset_z
      - .offset:         176
        .size:           2
        .value_kind:     hidden_grid_dims
      - .offset:         232
        .size:           4
        .value_kind:     hidden_dynamic_lds_size
    .group_segment_fixed_size: 0
    .kernarg_segment_align: 8
    .kernarg_segment_size: 368
    .language:       OpenCL C
    .language_version:
      - 2
      - 0
    .max_flat_workgroup_size: 1024
    .name:           _ZL39rocblas_trsm_block_forward_substitutionI19rocblas_complex_numIdES1_PKS1_PS1_Lb0ELb0ELb1EEv18rocblas_operation_llT0_T1_lllT2_lllib
    .private_segment_fixed_size: 0
    .sgpr_count:     48
    .sgpr_spill_count: 0
    .symbol:         _ZL39rocblas_trsm_block_forward_substitutionI19rocblas_complex_numIdES1_PKS1_PS1_Lb0ELb0ELb1EEv18rocblas_operation_llT0_T1_lllT2_lllib.kd
    .uniform_work_group_size: 1
    .uses_dynamic_stack: false
    .vgpr_count:     22
    .vgpr_spill_count: 0
    .wavefront_size: 64
  - .agpr_count:     0
    .args:
      - .offset:         0
        .size:           4
        .value_kind:     by_value
      - .offset:         8
        .size:           8
        .value_kind:     by_value
      - .offset:         16
        .size:           8
        .value_kind:     by_value
      - .offset:         24
        .size:           16
        .value_kind:     by_value
      - .address_space:  global
        .offset:         40
        .size:           8
        .value_kind:     global_buffer
      - .offset:         48
        .size:           8
        .value_kind:     by_value
      - .offset:         56
        .size:           8
        .value_kind:     by_value
      - .offset:         64
        .size:           8
        .value_kind:     by_value
      - .address_space:  global
        .offset:         72
        .size:           8
        .value_kind:     global_buffer
      - .offset:         80
        .size:           8
        .value_kind:     by_value
      - .offset:         88
        .size:           8
        .value_kind:     by_value
      - .offset:         96
        .size:           8
        .value_kind:     by_value
      - .offset:         104
        .size:           4
        .value_kind:     by_value
      - .offset:         108
        .size:           1
        .value_kind:     by_value
      - .offset:         112
        .size:           4
        .value_kind:     hidden_block_count_x
      - .offset:         116
        .size:           4
        .value_kind:     hidden_block_count_y
      - .offset:         120
        .size:           4
        .value_kind:     hidden_block_count_z
      - .offset:         124
        .size:           2
        .value_kind:     hidden_group_size_x
      - .offset:         126
        .size:           2
        .value_kind:     hidden_group_size_y
      - .offset:         128
        .size:           2
        .value_kind:     hidden_group_size_z
      - .offset:         130
        .size:           2
        .value_kind:     hidden_remainder_x
      - .offset:         132
        .size:           2
        .value_kind:     hidden_remainder_y
      - .offset:         134
        .size:           2
        .value_kind:     hidden_remainder_z
      - .offset:         152
        .size:           8
        .value_kind:     hidden_global_offset_x
      - .offset:         160
        .size:           8
        .value_kind:     hidden_global_offset_y
      - .offset:         168
        .size:           8
        .value_kind:     hidden_global_offset_z
      - .offset:         176
        .size:           2
        .value_kind:     hidden_grid_dims
      - .offset:         232
        .size:           4
        .value_kind:     hidden_dynamic_lds_size
    .group_segment_fixed_size: 0
    .kernarg_segment_align: 8
    .kernarg_segment_size: 368
    .language:       OpenCL C
    .language_version:
      - 2
      - 0
    .max_flat_workgroup_size: 1024
    .name:           _ZL40rocblas_trsm_block_backward_substitutionI19rocblas_complex_numIdES1_PKS1_PS1_Lb0ELb0ELb1EEv18rocblas_operation_llT0_T1_lllT2_lllib
    .private_segment_fixed_size: 0
    .sgpr_count:     36
    .sgpr_spill_count: 0
    .symbol:         _ZL40rocblas_trsm_block_backward_substitutionI19rocblas_complex_numIdES1_PKS1_PS1_Lb0ELb0ELb1EEv18rocblas_operation_llT0_T1_lllT2_lllib.kd
    .uniform_work_group_size: 1
    .uses_dynamic_stack: false
    .vgpr_count:     22
    .vgpr_spill_count: 0
    .wavefront_size: 64
  - .agpr_count:     0
    .args:
      - .offset:         0
        .size:           4
        .value_kind:     by_value
      - .offset:         8
        .size:           8
        .value_kind:     by_value
      - .offset:         16
        .size:           8
        .value_kind:     by_value
      - .offset:         24
        .size:           16
        .value_kind:     by_value
      - .address_space:  global
        .offset:         40
        .size:           8
        .value_kind:     global_buffer
      - .offset:         48
        .size:           8
        .value_kind:     by_value
      - .offset:         56
        .size:           8
        .value_kind:     by_value
      - .offset:         64
        .size:           8
        .value_kind:     by_value
      - .address_space:  global
        .offset:         72
        .size:           8
        .value_kind:     global_buffer
      - .offset:         80
        .size:           8
        .value_kind:     by_value
      - .offset:         88
        .size:           8
        .value_kind:     by_value
      - .offset:         96
        .size:           8
        .value_kind:     by_value
      - .offset:         104
        .size:           4
        .value_kind:     by_value
      - .offset:         108
        .size:           1
        .value_kind:     by_value
      - .offset:         112
        .size:           4
        .value_kind:     hidden_block_count_x
      - .offset:         116
        .size:           4
        .value_kind:     hidden_block_count_y
      - .offset:         120
        .size:           4
        .value_kind:     hidden_block_count_z
      - .offset:         124
        .size:           2
        .value_kind:     hidden_group_size_x
      - .offset:         126
        .size:           2
        .value_kind:     hidden_group_size_y
      - .offset:         128
        .size:           2
        .value_kind:     hidden_group_size_z
      - .offset:         130
        .size:           2
        .value_kind:     hidden_remainder_x
      - .offset:         132
        .size:           2
        .value_kind:     hidden_remainder_y
      - .offset:         134
        .size:           2
        .value_kind:     hidden_remainder_z
      - .offset:         152
        .size:           8
        .value_kind:     hidden_global_offset_x
      - .offset:         160
        .size:           8
        .value_kind:     hidden_global_offset_y
      - .offset:         168
        .size:           8
        .value_kind:     hidden_global_offset_z
      - .offset:         176
        .size:           2
        .value_kind:     hidden_grid_dims
      - .offset:         232
        .size:           4
        .value_kind:     hidden_dynamic_lds_size
    .group_segment_fixed_size: 0
    .kernarg_segment_align: 8
    .kernarg_segment_size: 368
    .language:       OpenCL C
    .language_version:
      - 2
      - 0
    .max_flat_workgroup_size: 1024
    .name:           _ZL39rocblas_trsm_block_forward_substitutionI19rocblas_complex_numIdES1_PKS1_PS1_Lb0ELb1ELb0EEv18rocblas_operation_llT0_T1_lllT2_lllib
    .private_segment_fixed_size: 0
    .sgpr_count:     48
    .sgpr_spill_count: 0
    .symbol:         _ZL39rocblas_trsm_block_forward_substitutionI19rocblas_complex_numIdES1_PKS1_PS1_Lb0ELb1ELb0EEv18rocblas_operation_llT0_T1_lllT2_lllib.kd
    .uniform_work_group_size: 1
    .uses_dynamic_stack: false
    .vgpr_count:     26
    .vgpr_spill_count: 0
    .wavefront_size: 64
  - .agpr_count:     0
    .args:
      - .offset:         0
        .size:           4
        .value_kind:     by_value
      - .offset:         8
        .size:           8
        .value_kind:     by_value
      - .offset:         16
        .size:           8
        .value_kind:     by_value
      - .offset:         24
        .size:           16
        .value_kind:     by_value
      - .address_space:  global
        .offset:         40
        .size:           8
        .value_kind:     global_buffer
      - .offset:         48
        .size:           8
        .value_kind:     by_value
      - .offset:         56
        .size:           8
        .value_kind:     by_value
      - .offset:         64
        .size:           8
        .value_kind:     by_value
      - .address_space:  global
        .offset:         72
        .size:           8
        .value_kind:     global_buffer
      - .offset:         80
        .size:           8
        .value_kind:     by_value
      - .offset:         88
        .size:           8
        .value_kind:     by_value
      - .offset:         96
        .size:           8
        .value_kind:     by_value
      - .offset:         104
        .size:           4
        .value_kind:     by_value
      - .offset:         108
        .size:           1
        .value_kind:     by_value
      - .offset:         112
        .size:           4
        .value_kind:     hidden_block_count_x
      - .offset:         116
        .size:           4
        .value_kind:     hidden_block_count_y
      - .offset:         120
        .size:           4
        .value_kind:     hidden_block_count_z
      - .offset:         124
        .size:           2
        .value_kind:     hidden_group_size_x
      - .offset:         126
        .size:           2
        .value_kind:     hidden_group_size_y
      - .offset:         128
        .size:           2
        .value_kind:     hidden_group_size_z
      - .offset:         130
        .size:           2
        .value_kind:     hidden_remainder_x
      - .offset:         132
        .size:           2
        .value_kind:     hidden_remainder_y
      - .offset:         134
        .size:           2
        .value_kind:     hidden_remainder_z
      - .offset:         152
        .size:           8
        .value_kind:     hidden_global_offset_x
      - .offset:         160
        .size:           8
        .value_kind:     hidden_global_offset_y
      - .offset:         168
        .size:           8
        .value_kind:     hidden_global_offset_z
      - .offset:         176
        .size:           2
        .value_kind:     hidden_grid_dims
      - .offset:         232
        .size:           4
        .value_kind:     hidden_dynamic_lds_size
    .group_segment_fixed_size: 0
    .kernarg_segment_align: 8
    .kernarg_segment_size: 368
    .language:       OpenCL C
    .language_version:
      - 2
      - 0
    .max_flat_workgroup_size: 1024
    .name:           _ZL40rocblas_trsm_block_backward_substitutionI19rocblas_complex_numIdES1_PKS1_PS1_Lb0ELb1ELb0EEv18rocblas_operation_llT0_T1_lllT2_lllib
    .private_segment_fixed_size: 0
    .sgpr_count:     48
    .sgpr_spill_count: 0
    .symbol:         _ZL40rocblas_trsm_block_backward_substitutionI19rocblas_complex_numIdES1_PKS1_PS1_Lb0ELb1ELb0EEv18rocblas_operation_llT0_T1_lllT2_lllib.kd
    .uniform_work_group_size: 1
    .uses_dynamic_stack: false
    .vgpr_count:     26
    .vgpr_spill_count: 0
    .wavefront_size: 64
  - .agpr_count:     0
    .args:
      - .offset:         0
        .size:           4
        .value_kind:     by_value
      - .offset:         8
        .size:           8
        .value_kind:     by_value
      - .offset:         16
        .size:           8
        .value_kind:     by_value
      - .offset:         24
        .size:           16
        .value_kind:     by_value
      - .address_space:  global
        .offset:         40
        .size:           8
        .value_kind:     global_buffer
      - .offset:         48
        .size:           8
        .value_kind:     by_value
      - .offset:         56
        .size:           8
        .value_kind:     by_value
      - .offset:         64
        .size:           8
        .value_kind:     by_value
      - .address_space:  global
        .offset:         72
        .size:           8
        .value_kind:     global_buffer
      - .offset:         80
        .size:           8
        .value_kind:     by_value
      - .offset:         88
        .size:           8
        .value_kind:     by_value
      - .offset:         96
        .size:           8
        .value_kind:     by_value
      - .offset:         104
        .size:           4
        .value_kind:     by_value
      - .offset:         108
        .size:           1
        .value_kind:     by_value
      - .offset:         112
        .size:           4
        .value_kind:     hidden_block_count_x
      - .offset:         116
        .size:           4
        .value_kind:     hidden_block_count_y
      - .offset:         120
        .size:           4
        .value_kind:     hidden_block_count_z
      - .offset:         124
        .size:           2
        .value_kind:     hidden_group_size_x
      - .offset:         126
        .size:           2
        .value_kind:     hidden_group_size_y
      - .offset:         128
        .size:           2
        .value_kind:     hidden_group_size_z
      - .offset:         130
        .size:           2
        .value_kind:     hidden_remainder_x
      - .offset:         132
        .size:           2
        .value_kind:     hidden_remainder_y
      - .offset:         134
        .size:           2
        .value_kind:     hidden_remainder_z
      - .offset:         152
        .size:           8
        .value_kind:     hidden_global_offset_x
      - .offset:         160
        .size:           8
        .value_kind:     hidden_global_offset_y
      - .offset:         168
        .size:           8
        .value_kind:     hidden_global_offset_z
      - .offset:         176
        .size:           2
        .value_kind:     hidden_grid_dims
      - .offset:         232
        .size:           4
        .value_kind:     hidden_dynamic_lds_size
    .group_segment_fixed_size: 0
    .kernarg_segment_align: 8
    .kernarg_segment_size: 368
    .language:       OpenCL C
    .language_version:
      - 2
      - 0
    .max_flat_workgroup_size: 1024
    .name:           _ZL39rocblas_trsm_block_forward_substitutionI19rocblas_complex_numIdES1_PKS1_PS1_Lb0ELb1ELb1EEv18rocblas_operation_llT0_T1_lllT2_lllib
    .private_segment_fixed_size: 0
    .sgpr_count:     48
    .sgpr_spill_count: 0
    .symbol:         _ZL39rocblas_trsm_block_forward_substitutionI19rocblas_complex_numIdES1_PKS1_PS1_Lb0ELb1ELb1EEv18rocblas_operation_llT0_T1_lllT2_lllib.kd
    .uniform_work_group_size: 1
    .uses_dynamic_stack: false
    .vgpr_count:     22
    .vgpr_spill_count: 0
    .wavefront_size: 64
  - .agpr_count:     0
    .args:
      - .offset:         0
        .size:           4
        .value_kind:     by_value
      - .offset:         8
        .size:           8
        .value_kind:     by_value
      - .offset:         16
        .size:           8
        .value_kind:     by_value
      - .offset:         24
        .size:           16
        .value_kind:     by_value
      - .address_space:  global
        .offset:         40
        .size:           8
        .value_kind:     global_buffer
      - .offset:         48
        .size:           8
        .value_kind:     by_value
      - .offset:         56
        .size:           8
        .value_kind:     by_value
      - .offset:         64
        .size:           8
        .value_kind:     by_value
      - .address_space:  global
        .offset:         72
        .size:           8
        .value_kind:     global_buffer
      - .offset:         80
        .size:           8
        .value_kind:     by_value
      - .offset:         88
        .size:           8
        .value_kind:     by_value
      - .offset:         96
        .size:           8
        .value_kind:     by_value
      - .offset:         104
        .size:           4
        .value_kind:     by_value
      - .offset:         108
        .size:           1
        .value_kind:     by_value
      - .offset:         112
        .size:           4
        .value_kind:     hidden_block_count_x
      - .offset:         116
        .size:           4
        .value_kind:     hidden_block_count_y
      - .offset:         120
        .size:           4
        .value_kind:     hidden_block_count_z
      - .offset:         124
        .size:           2
        .value_kind:     hidden_group_size_x
      - .offset:         126
        .size:           2
        .value_kind:     hidden_group_size_y
      - .offset:         128
        .size:           2
        .value_kind:     hidden_group_size_z
      - .offset:         130
        .size:           2
        .value_kind:     hidden_remainder_x
      - .offset:         132
        .size:           2
        .value_kind:     hidden_remainder_y
      - .offset:         134
        .size:           2
        .value_kind:     hidden_remainder_z
      - .offset:         152
        .size:           8
        .value_kind:     hidden_global_offset_x
      - .offset:         160
        .size:           8
        .value_kind:     hidden_global_offset_y
      - .offset:         168
        .size:           8
        .value_kind:     hidden_global_offset_z
      - .offset:         176
        .size:           2
        .value_kind:     hidden_grid_dims
      - .offset:         232
        .size:           4
        .value_kind:     hidden_dynamic_lds_size
    .group_segment_fixed_size: 0
    .kernarg_segment_align: 8
    .kernarg_segment_size: 368
    .language:       OpenCL C
    .language_version:
      - 2
      - 0
    .max_flat_workgroup_size: 1024
    .name:           _ZL40rocblas_trsm_block_backward_substitutionI19rocblas_complex_numIdES1_PKS1_PS1_Lb0ELb1ELb1EEv18rocblas_operation_llT0_T1_lllT2_lllib
    .private_segment_fixed_size: 0
    .sgpr_count:     36
    .sgpr_spill_count: 0
    .symbol:         _ZL40rocblas_trsm_block_backward_substitutionI19rocblas_complex_numIdES1_PKS1_PS1_Lb0ELb1ELb1EEv18rocblas_operation_llT0_T1_lllT2_lllib.kd
    .uniform_work_group_size: 1
    .uses_dynamic_stack: false
    .vgpr_count:     22
    .vgpr_spill_count: 0
    .wavefront_size: 64
  - .agpr_count:     0
    .args:
      - .offset:         0
        .size:           4
        .value_kind:     by_value
      - .offset:         8
        .size:           8
        .value_kind:     by_value
      - .offset:         16
        .size:           8
        .value_kind:     by_value
      - .offset:         24
        .size:           16
        .value_kind:     by_value
      - .address_space:  global
        .offset:         40
        .size:           8
        .value_kind:     global_buffer
      - .offset:         48
        .size:           8
        .value_kind:     by_value
      - .offset:         56
        .size:           8
        .value_kind:     by_value
      - .offset:         64
        .size:           8
        .value_kind:     by_value
      - .address_space:  global
        .offset:         72
        .size:           8
        .value_kind:     global_buffer
      - .offset:         80
        .size:           8
        .value_kind:     by_value
      - .offset:         88
        .size:           8
        .value_kind:     by_value
      - .offset:         96
        .size:           8
        .value_kind:     by_value
      - .offset:         104
        .size:           4
        .value_kind:     by_value
      - .offset:         108
        .size:           1
        .value_kind:     by_value
      - .offset:         112
        .size:           4
        .value_kind:     hidden_block_count_x
      - .offset:         116
        .size:           4
        .value_kind:     hidden_block_count_y
      - .offset:         120
        .size:           4
        .value_kind:     hidden_block_count_z
      - .offset:         124
        .size:           2
        .value_kind:     hidden_group_size_x
      - .offset:         126
        .size:           2
        .value_kind:     hidden_group_size_y
      - .offset:         128
        .size:           2
        .value_kind:     hidden_group_size_z
      - .offset:         130
        .size:           2
        .value_kind:     hidden_remainder_x
      - .offset:         132
        .size:           2
        .value_kind:     hidden_remainder_y
      - .offset:         134
        .size:           2
        .value_kind:     hidden_remainder_z
      - .offset:         152
        .size:           8
        .value_kind:     hidden_global_offset_x
      - .offset:         160
        .size:           8
        .value_kind:     hidden_global_offset_y
      - .offset:         168
        .size:           8
        .value_kind:     hidden_global_offset_z
      - .offset:         176
        .size:           2
        .value_kind:     hidden_grid_dims
      - .offset:         232
        .size:           4
        .value_kind:     hidden_dynamic_lds_size
    .group_segment_fixed_size: 0
    .kernarg_segment_align: 8
    .kernarg_segment_size: 368
    .language:       OpenCL C
    .language_version:
      - 2
      - 0
    .max_flat_workgroup_size: 1024
    .name:           _ZL39rocblas_trsm_block_forward_substitutionI19rocblas_complex_numIdES1_PKS1_PS1_Lb1ELb1ELb0EEv18rocblas_operation_llT0_T1_lllT2_lllib
    .private_segment_fixed_size: 0
    .sgpr_count:     40
    .sgpr_spill_count: 0
    .symbol:         _ZL39rocblas_trsm_block_forward_substitutionI19rocblas_complex_numIdES1_PKS1_PS1_Lb1ELb1ELb0EEv18rocblas_operation_llT0_T1_lllT2_lllib.kd
    .uniform_work_group_size: 1
    .uses_dynamic_stack: false
    .vgpr_count:     26
    .vgpr_spill_count: 0
    .wavefront_size: 64
  - .agpr_count:     0
    .args:
      - .offset:         0
        .size:           4
        .value_kind:     by_value
      - .offset:         8
        .size:           8
        .value_kind:     by_value
      - .offset:         16
        .size:           8
        .value_kind:     by_value
      - .offset:         24
        .size:           16
        .value_kind:     by_value
      - .address_space:  global
        .offset:         40
        .size:           8
        .value_kind:     global_buffer
      - .offset:         48
        .size:           8
        .value_kind:     by_value
      - .offset:         56
        .size:           8
        .value_kind:     by_value
      - .offset:         64
        .size:           8
        .value_kind:     by_value
      - .address_space:  global
        .offset:         72
        .size:           8
        .value_kind:     global_buffer
      - .offset:         80
        .size:           8
        .value_kind:     by_value
      - .offset:         88
        .size:           8
        .value_kind:     by_value
      - .offset:         96
        .size:           8
        .value_kind:     by_value
      - .offset:         104
        .size:           4
        .value_kind:     by_value
      - .offset:         108
        .size:           1
        .value_kind:     by_value
      - .offset:         112
        .size:           4
        .value_kind:     hidden_block_count_x
      - .offset:         116
        .size:           4
        .value_kind:     hidden_block_count_y
      - .offset:         120
        .size:           4
        .value_kind:     hidden_block_count_z
      - .offset:         124
        .size:           2
        .value_kind:     hidden_group_size_x
      - .offset:         126
        .size:           2
        .value_kind:     hidden_group_size_y
      - .offset:         128
        .size:           2
        .value_kind:     hidden_group_size_z
      - .offset:         130
        .size:           2
        .value_kind:     hidden_remainder_x
      - .offset:         132
        .size:           2
        .value_kind:     hidden_remainder_y
      - .offset:         134
        .size:           2
        .value_kind:     hidden_remainder_z
      - .offset:         152
        .size:           8
        .value_kind:     hidden_global_offset_x
      - .offset:         160
        .size:           8
        .value_kind:     hidden_global_offset_y
      - .offset:         168
        .size:           8
        .value_kind:     hidden_global_offset_z
      - .offset:         176
        .size:           2
        .value_kind:     hidden_grid_dims
      - .offset:         232
        .size:           4
        .value_kind:     hidden_dynamic_lds_size
    .group_segment_fixed_size: 0
    .kernarg_segment_align: 8
    .kernarg_segment_size: 368
    .language:       OpenCL C
    .language_version:
      - 2
      - 0
    .max_flat_workgroup_size: 1024
    .name:           _ZL40rocblas_trsm_block_backward_substitutionI19rocblas_complex_numIdES1_PKS1_PS1_Lb1ELb1ELb0EEv18rocblas_operation_llT0_T1_lllT2_lllib
    .private_segment_fixed_size: 0
    .sgpr_count:     48
    .sgpr_spill_count: 0
    .symbol:         _ZL40rocblas_trsm_block_backward_substitutionI19rocblas_complex_numIdES1_PKS1_PS1_Lb1ELb1ELb0EEv18rocblas_operation_llT0_T1_lllT2_lllib.kd
    .uniform_work_group_size: 1
    .uses_dynamic_stack: false
    .vgpr_count:     26
    .vgpr_spill_count: 0
    .wavefront_size: 64
  - .agpr_count:     0
    .args:
      - .offset:         0
        .size:           4
        .value_kind:     by_value
      - .offset:         8
        .size:           8
        .value_kind:     by_value
      - .offset:         16
        .size:           8
        .value_kind:     by_value
      - .offset:         24
        .size:           16
        .value_kind:     by_value
      - .address_space:  global
        .offset:         40
        .size:           8
        .value_kind:     global_buffer
      - .offset:         48
        .size:           8
        .value_kind:     by_value
      - .offset:         56
        .size:           8
        .value_kind:     by_value
      - .offset:         64
        .size:           8
        .value_kind:     by_value
      - .address_space:  global
        .offset:         72
        .size:           8
        .value_kind:     global_buffer
      - .offset:         80
        .size:           8
        .value_kind:     by_value
      - .offset:         88
        .size:           8
        .value_kind:     by_value
      - .offset:         96
        .size:           8
        .value_kind:     by_value
      - .offset:         104
        .size:           4
        .value_kind:     by_value
      - .offset:         108
        .size:           1
        .value_kind:     by_value
      - .offset:         112
        .size:           4
        .value_kind:     hidden_block_count_x
      - .offset:         116
        .size:           4
        .value_kind:     hidden_block_count_y
      - .offset:         120
        .size:           4
        .value_kind:     hidden_block_count_z
      - .offset:         124
        .size:           2
        .value_kind:     hidden_group_size_x
      - .offset:         126
        .size:           2
        .value_kind:     hidden_group_size_y
      - .offset:         128
        .size:           2
        .value_kind:     hidden_group_size_z
      - .offset:         130
        .size:           2
        .value_kind:     hidden_remainder_x
      - .offset:         132
        .size:           2
        .value_kind:     hidden_remainder_y
      - .offset:         134
        .size:           2
        .value_kind:     hidden_remainder_z
      - .offset:         152
        .size:           8
        .value_kind:     hidden_global_offset_x
      - .offset:         160
        .size:           8
        .value_kind:     hidden_global_offset_y
      - .offset:         168
        .size:           8
        .value_kind:     hidden_global_offset_z
      - .offset:         176
        .size:           2
        .value_kind:     hidden_grid_dims
      - .offset:         232
        .size:           4
        .value_kind:     hidden_dynamic_lds_size
    .group_segment_fixed_size: 0
    .kernarg_segment_align: 8
    .kernarg_segment_size: 368
    .language:       OpenCL C
    .language_version:
      - 2
      - 0
    .max_flat_workgroup_size: 1024
    .name:           _ZL39rocblas_trsm_block_forward_substitutionI19rocblas_complex_numIdES1_PKS1_PS1_Lb1ELb1ELb1EEv18rocblas_operation_llT0_T1_lllT2_lllib
    .private_segment_fixed_size: 0
    .sgpr_count:     36
    .sgpr_spill_count: 0
    .symbol:         _ZL39rocblas_trsm_block_forward_substitutionI19rocblas_complex_numIdES1_PKS1_PS1_Lb1ELb1ELb1EEv18rocblas_operation_llT0_T1_lllT2_lllib.kd
    .uniform_work_group_size: 1
    .uses_dynamic_stack: false
    .vgpr_count:     22
    .vgpr_spill_count: 0
    .wavefront_size: 64
  - .agpr_count:     0
    .args:
      - .offset:         0
        .size:           4
        .value_kind:     by_value
      - .offset:         8
        .size:           8
        .value_kind:     by_value
      - .offset:         16
        .size:           8
        .value_kind:     by_value
      - .offset:         24
        .size:           16
        .value_kind:     by_value
      - .address_space:  global
        .offset:         40
        .size:           8
        .value_kind:     global_buffer
      - .offset:         48
        .size:           8
        .value_kind:     by_value
      - .offset:         56
        .size:           8
        .value_kind:     by_value
      - .offset:         64
        .size:           8
        .value_kind:     by_value
      - .address_space:  global
        .offset:         72
        .size:           8
        .value_kind:     global_buffer
      - .offset:         80
        .size:           8
        .value_kind:     by_value
      - .offset:         88
        .size:           8
        .value_kind:     by_value
      - .offset:         96
        .size:           8
        .value_kind:     by_value
      - .offset:         104
        .size:           4
        .value_kind:     by_value
      - .offset:         108
        .size:           1
        .value_kind:     by_value
      - .offset:         112
        .size:           4
        .value_kind:     hidden_block_count_x
      - .offset:         116
        .size:           4
        .value_kind:     hidden_block_count_y
      - .offset:         120
        .size:           4
        .value_kind:     hidden_block_count_z
      - .offset:         124
        .size:           2
        .value_kind:     hidden_group_size_x
      - .offset:         126
        .size:           2
        .value_kind:     hidden_group_size_y
      - .offset:         128
        .size:           2
        .value_kind:     hidden_group_size_z
      - .offset:         130
        .size:           2
        .value_kind:     hidden_remainder_x
      - .offset:         132
        .size:           2
        .value_kind:     hidden_remainder_y
      - .offset:         134
        .size:           2
        .value_kind:     hidden_remainder_z
      - .offset:         152
        .size:           8
        .value_kind:     hidden_global_offset_x
      - .offset:         160
        .size:           8
        .value_kind:     hidden_global_offset_y
      - .offset:         168
        .size:           8
        .value_kind:     hidden_global_offset_z
      - .offset:         176
        .size:           2
        .value_kind:     hidden_grid_dims
      - .offset:         232
        .size:           4
        .value_kind:     hidden_dynamic_lds_size
    .group_segment_fixed_size: 0
    .kernarg_segment_align: 8
    .kernarg_segment_size: 368
    .language:       OpenCL C
    .language_version:
      - 2
      - 0
    .max_flat_workgroup_size: 1024
    .name:           _ZL40rocblas_trsm_block_backward_substitutionI19rocblas_complex_numIdES1_PKS1_PS1_Lb1ELb1ELb1EEv18rocblas_operation_llT0_T1_lllT2_lllib
    .private_segment_fixed_size: 0
    .sgpr_count:     48
    .sgpr_spill_count: 0
    .symbol:         _ZL40rocblas_trsm_block_backward_substitutionI19rocblas_complex_numIdES1_PKS1_PS1_Lb1ELb1ELb1EEv18rocblas_operation_llT0_T1_lllT2_lllib.kd
    .uniform_work_group_size: 1
    .uses_dynamic_stack: false
    .vgpr_count:     22
    .vgpr_spill_count: 0
    .wavefront_size: 64
  - .agpr_count:     0
    .args:
      - .offset:         0
        .size:           4
        .value_kind:     by_value
      - .offset:         8
        .size:           8
        .value_kind:     by_value
      - .offset:         16
        .size:           8
        .value_kind:     by_value
      - .offset:         24
        .size:           16
        .value_kind:     by_value
      - .address_space:  global
        .offset:         40
        .size:           8
        .value_kind:     global_buffer
      - .offset:         48
        .size:           8
        .value_kind:     by_value
      - .offset:         56
        .size:           8
        .value_kind:     by_value
      - .offset:         64
        .size:           8
        .value_kind:     by_value
      - .address_space:  global
        .offset:         72
        .size:           8
        .value_kind:     global_buffer
      - .offset:         80
        .size:           8
        .value_kind:     by_value
      - .offset:         88
        .size:           8
        .value_kind:     by_value
      - .offset:         96
        .size:           8
        .value_kind:     by_value
      - .offset:         104
        .size:           4
        .value_kind:     by_value
      - .offset:         108
        .size:           1
        .value_kind:     by_value
      - .offset:         112
        .size:           4
        .value_kind:     hidden_block_count_x
      - .offset:         116
        .size:           4
        .value_kind:     hidden_block_count_y
      - .offset:         120
        .size:           4
        .value_kind:     hidden_block_count_z
      - .offset:         124
        .size:           2
        .value_kind:     hidden_group_size_x
      - .offset:         126
        .size:           2
        .value_kind:     hidden_group_size_y
      - .offset:         128
        .size:           2
        .value_kind:     hidden_group_size_z
      - .offset:         130
        .size:           2
        .value_kind:     hidden_remainder_x
      - .offset:         132
        .size:           2
        .value_kind:     hidden_remainder_y
      - .offset:         134
        .size:           2
        .value_kind:     hidden_remainder_z
      - .offset:         152
        .size:           8
        .value_kind:     hidden_global_offset_x
      - .offset:         160
        .size:           8
        .value_kind:     hidden_global_offset_y
      - .offset:         168
        .size:           8
        .value_kind:     hidden_global_offset_z
      - .offset:         176
        .size:           2
        .value_kind:     hidden_grid_dims
      - .offset:         232
        .size:           4
        .value_kind:     hidden_dynamic_lds_size
    .group_segment_fixed_size: 0
    .kernarg_segment_align: 8
    .kernarg_segment_size: 368
    .language:       OpenCL C
    .language_version:
      - 2
      - 0
    .max_flat_workgroup_size: 1024
    .name:           _ZL39rocblas_trsm_block_forward_substitutionI19rocblas_complex_numIdES1_PKS1_PS1_Lb1ELb0ELb0EEv18rocblas_operation_llT0_T1_lllT2_lllib
    .private_segment_fixed_size: 0
    .sgpr_count:     40
    .sgpr_spill_count: 0
    .symbol:         _ZL39rocblas_trsm_block_forward_substitutionI19rocblas_complex_numIdES1_PKS1_PS1_Lb1ELb0ELb0EEv18rocblas_operation_llT0_T1_lllT2_lllib.kd
    .uniform_work_group_size: 1
    .uses_dynamic_stack: false
    .vgpr_count:     26
    .vgpr_spill_count: 0
    .wavefront_size: 64
  - .agpr_count:     0
    .args:
      - .offset:         0
        .size:           4
        .value_kind:     by_value
      - .offset:         8
        .size:           8
        .value_kind:     by_value
      - .offset:         16
        .size:           8
        .value_kind:     by_value
      - .offset:         24
        .size:           16
        .value_kind:     by_value
      - .address_space:  global
        .offset:         40
        .size:           8
        .value_kind:     global_buffer
      - .offset:         48
        .size:           8
        .value_kind:     by_value
      - .offset:         56
        .size:           8
        .value_kind:     by_value
      - .offset:         64
        .size:           8
        .value_kind:     by_value
      - .address_space:  global
        .offset:         72
        .size:           8
        .value_kind:     global_buffer
      - .offset:         80
        .size:           8
        .value_kind:     by_value
      - .offset:         88
        .size:           8
        .value_kind:     by_value
      - .offset:         96
        .size:           8
        .value_kind:     by_value
      - .offset:         104
        .size:           4
        .value_kind:     by_value
      - .offset:         108
        .size:           1
        .value_kind:     by_value
      - .offset:         112
        .size:           4
        .value_kind:     hidden_block_count_x
      - .offset:         116
        .size:           4
        .value_kind:     hidden_block_count_y
      - .offset:         120
        .size:           4
        .value_kind:     hidden_block_count_z
      - .offset:         124
        .size:           2
        .value_kind:     hidden_group_size_x
      - .offset:         126
        .size:           2
        .value_kind:     hidden_group_size_y
      - .offset:         128
        .size:           2
        .value_kind:     hidden_group_size_z
      - .offset:         130
        .size:           2
        .value_kind:     hidden_remainder_x
      - .offset:         132
        .size:           2
        .value_kind:     hidden_remainder_y
      - .offset:         134
        .size:           2
        .value_kind:     hidden_remainder_z
      - .offset:         152
        .size:           8
        .value_kind:     hidden_global_offset_x
      - .offset:         160
        .size:           8
        .value_kind:     hidden_global_offset_y
      - .offset:         168
        .size:           8
        .value_kind:     hidden_global_offset_z
      - .offset:         176
        .size:           2
        .value_kind:     hidden_grid_dims
      - .offset:         232
        .size:           4
        .value_kind:     hidden_dynamic_lds_size
    .group_segment_fixed_size: 0
    .kernarg_segment_align: 8
    .kernarg_segment_size: 368
    .language:       OpenCL C
    .language_version:
      - 2
      - 0
    .max_flat_workgroup_size: 1024
    .name:           _ZL40rocblas_trsm_block_backward_substitutionI19rocblas_complex_numIdES1_PKS1_PS1_Lb1ELb0ELb0EEv18rocblas_operation_llT0_T1_lllT2_lllib
    .private_segment_fixed_size: 0
    .sgpr_count:     48
    .sgpr_spill_count: 0
    .symbol:         _ZL40rocblas_trsm_block_backward_substitutionI19rocblas_complex_numIdES1_PKS1_PS1_Lb1ELb0ELb0EEv18rocblas_operation_llT0_T1_lllT2_lllib.kd
    .uniform_work_group_size: 1
    .uses_dynamic_stack: false
    .vgpr_count:     26
    .vgpr_spill_count: 0
    .wavefront_size: 64
  - .agpr_count:     0
    .args:
      - .offset:         0
        .size:           4
        .value_kind:     by_value
      - .offset:         8
        .size:           8
        .value_kind:     by_value
      - .offset:         16
        .size:           8
        .value_kind:     by_value
      - .offset:         24
        .size:           16
        .value_kind:     by_value
      - .address_space:  global
        .offset:         40
        .size:           8
        .value_kind:     global_buffer
      - .offset:         48
        .size:           8
        .value_kind:     by_value
      - .offset:         56
        .size:           8
        .value_kind:     by_value
      - .offset:         64
        .size:           8
        .value_kind:     by_value
      - .address_space:  global
        .offset:         72
        .size:           8
        .value_kind:     global_buffer
      - .offset:         80
        .size:           8
        .value_kind:     by_value
      - .offset:         88
        .size:           8
        .value_kind:     by_value
      - .offset:         96
        .size:           8
        .value_kind:     by_value
      - .offset:         104
        .size:           4
        .value_kind:     by_value
      - .offset:         108
        .size:           1
        .value_kind:     by_value
      - .offset:         112
        .size:           4
        .value_kind:     hidden_block_count_x
      - .offset:         116
        .size:           4
        .value_kind:     hidden_block_count_y
      - .offset:         120
        .size:           4
        .value_kind:     hidden_block_count_z
      - .offset:         124
        .size:           2
        .value_kind:     hidden_group_size_x
      - .offset:         126
        .size:           2
        .value_kind:     hidden_group_size_y
      - .offset:         128
        .size:           2
        .value_kind:     hidden_group_size_z
      - .offset:         130
        .size:           2
        .value_kind:     hidden_remainder_x
      - .offset:         132
        .size:           2
        .value_kind:     hidden_remainder_y
      - .offset:         134
        .size:           2
        .value_kind:     hidden_remainder_z
      - .offset:         152
        .size:           8
        .value_kind:     hidden_global_offset_x
      - .offset:         160
        .size:           8
        .value_kind:     hidden_global_offset_y
      - .offset:         168
        .size:           8
        .value_kind:     hidden_global_offset_z
      - .offset:         176
        .size:           2
        .value_kind:     hidden_grid_dims
      - .offset:         232
        .size:           4
        .value_kind:     hidden_dynamic_lds_size
    .group_segment_fixed_size: 0
    .kernarg_segment_align: 8
    .kernarg_segment_size: 368
    .language:       OpenCL C
    .language_version:
      - 2
      - 0
    .max_flat_workgroup_size: 1024
    .name:           _ZL39rocblas_trsm_block_forward_substitutionI19rocblas_complex_numIdES1_PKS1_PS1_Lb1ELb0ELb1EEv18rocblas_operation_llT0_T1_lllT2_lllib
    .private_segment_fixed_size: 0
    .sgpr_count:     36
    .sgpr_spill_count: 0
    .symbol:         _ZL39rocblas_trsm_block_forward_substitutionI19rocblas_complex_numIdES1_PKS1_PS1_Lb1ELb0ELb1EEv18rocblas_operation_llT0_T1_lllT2_lllib.kd
    .uniform_work_group_size: 1
    .uses_dynamic_stack: false
    .vgpr_count:     22
    .vgpr_spill_count: 0
    .wavefront_size: 64
  - .agpr_count:     0
    .args:
      - .offset:         0
        .size:           4
        .value_kind:     by_value
      - .offset:         8
        .size:           8
        .value_kind:     by_value
      - .offset:         16
        .size:           8
        .value_kind:     by_value
      - .offset:         24
        .size:           16
        .value_kind:     by_value
      - .address_space:  global
        .offset:         40
        .size:           8
        .value_kind:     global_buffer
      - .offset:         48
        .size:           8
        .value_kind:     by_value
      - .offset:         56
        .size:           8
        .value_kind:     by_value
      - .offset:         64
        .size:           8
        .value_kind:     by_value
      - .address_space:  global
        .offset:         72
        .size:           8
        .value_kind:     global_buffer
      - .offset:         80
        .size:           8
        .value_kind:     by_value
      - .offset:         88
        .size:           8
        .value_kind:     by_value
      - .offset:         96
        .size:           8
        .value_kind:     by_value
      - .offset:         104
        .size:           4
        .value_kind:     by_value
      - .offset:         108
        .size:           1
        .value_kind:     by_value
      - .offset:         112
        .size:           4
        .value_kind:     hidden_block_count_x
      - .offset:         116
        .size:           4
        .value_kind:     hidden_block_count_y
      - .offset:         120
        .size:           4
        .value_kind:     hidden_block_count_z
      - .offset:         124
        .size:           2
        .value_kind:     hidden_group_size_x
      - .offset:         126
        .size:           2
        .value_kind:     hidden_group_size_y
      - .offset:         128
        .size:           2
        .value_kind:     hidden_group_size_z
      - .offset:         130
        .size:           2
        .value_kind:     hidden_remainder_x
      - .offset:         132
        .size:           2
        .value_kind:     hidden_remainder_y
      - .offset:         134
        .size:           2
        .value_kind:     hidden_remainder_z
      - .offset:         152
        .size:           8
        .value_kind:     hidden_global_offset_x
      - .offset:         160
        .size:           8
        .value_kind:     hidden_global_offset_y
      - .offset:         168
        .size:           8
        .value_kind:     hidden_global_offset_z
      - .offset:         176
        .size:           2
        .value_kind:     hidden_grid_dims
      - .offset:         232
        .size:           4
        .value_kind:     hidden_dynamic_lds_size
    .group_segment_fixed_size: 0
    .kernarg_segment_align: 8
    .kernarg_segment_size: 368
    .language:       OpenCL C
    .language_version:
      - 2
      - 0
    .max_flat_workgroup_size: 1024
    .name:           _ZL40rocblas_trsm_block_backward_substitutionI19rocblas_complex_numIdES1_PKS1_PS1_Lb1ELb0ELb1EEv18rocblas_operation_llT0_T1_lllT2_lllib
    .private_segment_fixed_size: 0
    .sgpr_count:     48
    .sgpr_spill_count: 0
    .symbol:         _ZL40rocblas_trsm_block_backward_substitutionI19rocblas_complex_numIdES1_PKS1_PS1_Lb1ELb0ELb1EEv18rocblas_operation_llT0_T1_lllT2_lllib.kd
    .uniform_work_group_size: 1
    .uses_dynamic_stack: false
    .vgpr_count:     22
    .vgpr_spill_count: 0
    .wavefront_size: 64
  - .agpr_count:     0
    .args:
      - .address_space:  global
        .offset:         0
        .size:           8
        .value_kind:     global_buffer
      - .offset:         8
        .size:           8
        .value_kind:     by_value
      - .address_space:  global
        .offset:         16
        .size:           8
        .value_kind:     global_buffer
    .group_segment_fixed_size: 0
    .kernarg_segment_align: 8
    .kernarg_segment_size: 24
    .language:       OpenCL C
    .language_version:
      - 2
      - 0
    .max_flat_workgroup_size: 128
    .name:           _ZL26setup_batched_array_kernelILi128E19rocblas_complex_numIdEEvPT0_lPS3_
    .private_segment_fixed_size: 0
    .sgpr_count:     13
    .sgpr_spill_count: 0
    .symbol:         _ZL26setup_batched_array_kernelILi128E19rocblas_complex_numIdEEvPT0_lPS3_.kd
    .uniform_work_group_size: 1
    .uses_dynamic_stack: false
    .vgpr_count:     3
    .vgpr_spill_count: 0
    .wavefront_size: 64
  - .agpr_count:     0
    .args:
      - .offset:         0
        .size:           4
        .value_kind:     by_value
      - .offset:         4
        .size:           4
        .value_kind:     by_value
      - .address_space:  global
        .offset:         8
        .size:           8
        .value_kind:     global_buffer
      - .offset:         16
        .size:           8
        .value_kind:     by_value
      - .offset:         24
        .size:           4
        .value_kind:     by_value
      - .offset:         32
        .size:           8
        .value_kind:     by_value
      - .address_space:  global
        .offset:         40
        .size:           8
        .value_kind:     global_buffer
      - .offset:         48
        .size:           8
        .value_kind:     by_value
      - .offset:         56
        .size:           8
        .value_kind:     by_value
      - .offset:         64
        .size:           4
        .value_kind:     by_value
    .group_segment_fixed_size: 16384
    .kernarg_segment_align: 8
    .kernarg_segment_size: 68
    .language:       OpenCL C
    .language_version:
      - 2
      - 0
    .max_flat_workgroup_size: 256
    .name:           _ZL25rocblas_trtri_trsm_kernelILi128ELi16ELi8E19rocblas_complex_numIdEPKS1_PS1_Ev13rocblas_fill_17rocblas_diagonal_T3_lilT4_lli
    .private_segment_fixed_size: 0
    .sgpr_count:     44
    .sgpr_spill_count: 0
    .symbol:         _ZL25rocblas_trtri_trsm_kernelILi128ELi16ELi8E19rocblas_complex_numIdEPKS1_PS1_Ev13rocblas_fill_17rocblas_diagonal_T3_lilT4_lli.kd
    .uniform_work_group_size: 1
    .uses_dynamic_stack: false
    .vgpr_count:     94
    .vgpr_spill_count: 0
    .wavefront_size: 64
  - .agpr_count:     0
    .args:
      - .address_space:  global
        .offset:         0
        .size:           8
        .value_kind:     global_buffer
      - .offset:         8
        .size:           4
        .value_kind:     by_value
      - .offset:         12
        .size:           4
        .value_kind:     by_value
      - .offset:         16
        .size:           8
        .value_kind:     by_value
      - .offset:         24
        .size:           4
        .value_kind:     by_value
      - .offset:         32
        .size:           8
        .value_kind:     by_value
      - .address_space:  global
        .offset:         40
        .size:           8
        .value_kind:     global_buffer
      - .offset:         48
        .size:           8
        .value_kind:     by_value
      - .offset:         56
        .size:           8
        .value_kind:     by_value
      - .offset:         64
        .size:           4
        .value_kind:     by_value
      - .offset:         68
        .size:           4
        .value_kind:     by_value
      - .offset:         72
        .size:           4
        .value_kind:     hidden_block_count_x
      - .offset:         76
        .size:           4
        .value_kind:     hidden_block_count_y
      - .offset:         80
        .size:           4
        .value_kind:     hidden_block_count_z
      - .offset:         84
        .size:           2
        .value_kind:     hidden_group_size_x
      - .offset:         86
        .size:           2
        .value_kind:     hidden_group_size_y
      - .offset:         88
        .size:           2
        .value_kind:     hidden_group_size_z
      - .offset:         90
        .size:           2
        .value_kind:     hidden_remainder_x
      - .offset:         92
        .size:           2
        .value_kind:     hidden_remainder_y
      - .offset:         94
        .size:           2
        .value_kind:     hidden_remainder_z
      - .offset:         112
        .size:           8
        .value_kind:     hidden_global_offset_x
      - .offset:         120
        .size:           8
        .value_kind:     hidden_global_offset_y
      - .offset:         128
        .size:           8
        .value_kind:     hidden_global_offset_z
      - .offset:         136
        .size:           2
        .value_kind:     hidden_grid_dims
    .group_segment_fixed_size: 0
    .kernarg_segment_align: 8
    .kernarg_segment_size: 328
    .language:       OpenCL C
    .language_version:
      - 2
      - 0
    .max_flat_workgroup_size: 128
    .name:           _ZL18rocblas_trtri_fillILi128E19rocblas_complex_numIdEPS1_EvP15_rocblas_handle13rocblas_fill_ililT1_llii
    .private_segment_fixed_size: 0
    .sgpr_count:     32
    .sgpr_spill_count: 0
    .symbol:         _ZL18rocblas_trtri_fillILi128E19rocblas_complex_numIdEPS1_EvP15_rocblas_handle13rocblas_fill_ililT1_llii.kd
    .uniform_work_group_size: 1
    .uses_dynamic_stack: false
    .vgpr_count:     26
    .vgpr_spill_count: 0
    .wavefront_size: 64
  - .agpr_count:     0
    .args:
      - .offset:         0
        .size:           4
        .value_kind:     by_value
      - .offset:         4
        .size:           4
        .value_kind:     by_value
      - .offset:         8
        .size:           4
        .value_kind:     by_value
      - .address_space:  global
        .offset:         16
        .size:           8
        .value_kind:     global_buffer
      - .offset:         24
        .size:           4
        .value_kind:     by_value
      - .offset:         32
        .size:           8
        .value_kind:     by_value
      - .address_space:  global
        .offset:         40
        .size:           8
        .value_kind:     global_buffer
      - .offset:         48
        .size:           4
        .value_kind:     by_value
      - .offset:         56
        .size:           8
        .value_kind:     by_value
      - .offset:         64
        .size:           8
        .value_kind:     by_value
      - .offset:         72
        .size:           8
        .value_kind:     by_value
      - .offset:         80
        .size:           4
        .value_kind:     by_value
      - .offset:         88
        .size:           4
        .value_kind:     hidden_block_count_x
      - .offset:         92
        .size:           4
        .value_kind:     hidden_block_count_y
      - .offset:         96
        .size:           4
        .value_kind:     hidden_block_count_z
      - .offset:         100
        .size:           2
        .value_kind:     hidden_group_size_x
      - .offset:         102
        .size:           2
        .value_kind:     hidden_group_size_y
      - .offset:         104
        .size:           2
        .value_kind:     hidden_group_size_z
      - .offset:         106
        .size:           2
        .value_kind:     hidden_remainder_x
      - .offset:         108
        .size:           2
        .value_kind:     hidden_remainder_y
      - .offset:         110
        .size:           2
        .value_kind:     hidden_remainder_z
      - .offset:         128
        .size:           8
        .value_kind:     hidden_global_offset_x
      - .offset:         136
        .size:           8
        .value_kind:     hidden_global_offset_y
      - .offset:         144
        .size:           8
        .value_kind:     hidden_global_offset_z
      - .offset:         152
        .size:           2
        .value_kind:     hidden_grid_dims
    .group_segment_fixed_size: 0
    .kernarg_segment_align: 8
    .kernarg_segment_size: 344
    .language:       OpenCL C
    .language_version:
      - 2
      - 0
    .max_flat_workgroup_size: 1024
    .name:           _ZL24rocblas_copy_matrix_trsmILi128ELi8E19rocblas_complex_numIdEPKS1_PS1_EviiiT2_ilT3_illli
    .private_segment_fixed_size: 0
    .sgpr_count:     27
    .sgpr_spill_count: 0
    .symbol:         _ZL24rocblas_copy_matrix_trsmILi128ELi8E19rocblas_complex_numIdEPKS1_PS1_EviiiT2_ilT3_illli.kd
    .uniform_work_group_size: 1
    .uses_dynamic_stack: false
    .vgpr_count:     14
    .vgpr_spill_count: 0
    .wavefront_size: 64
amdhsa.target:   amdgcn-amd-amdhsa--gfx90a
amdhsa.version:
  - 1
  - 2
...

	.end_amdgpu_metadata
